;; amdgpu-corpus repo=ROCm/hipCUB kind=compiled arch=gfx906 opt=O3
	.amdgcn_target "amdgcn-amd-amdhsa--gfx906"
	.amdhsa_code_object_version 6
	.section	.text._Z26warp_inclusive_scan_kernelIfLj1ELj61EENSt9enable_ifIXsr10test_utilsE35device_test_enabled_for_warp_size_vIXT1_EEEvE4typeEPT_S4_,"axG",@progbits,_Z26warp_inclusive_scan_kernelIfLj1ELj61EENSt9enable_ifIXsr10test_utilsE35device_test_enabled_for_warp_size_vIXT1_EEEvE4typeEPT_S4_,comdat
	.protected	_Z26warp_inclusive_scan_kernelIfLj1ELj61EENSt9enable_ifIXsr10test_utilsE35device_test_enabled_for_warp_size_vIXT1_EEEvE4typeEPT_S4_ ; -- Begin function _Z26warp_inclusive_scan_kernelIfLj1ELj61EENSt9enable_ifIXsr10test_utilsE35device_test_enabled_for_warp_size_vIXT1_EEEvE4typeEPT_S4_
	.globl	_Z26warp_inclusive_scan_kernelIfLj1ELj61EENSt9enable_ifIXsr10test_utilsE35device_test_enabled_for_warp_size_vIXT1_EEEvE4typeEPT_S4_
	.p2align	8
	.type	_Z26warp_inclusive_scan_kernelIfLj1ELj61EENSt9enable_ifIXsr10test_utilsE35device_test_enabled_for_warp_size_vIXT1_EEEvE4typeEPT_S4_,@function
_Z26warp_inclusive_scan_kernelIfLj1ELj61EENSt9enable_ifIXsr10test_utilsE35device_test_enabled_for_warp_size_vIXT1_EEEvE4typeEPT_S4_: ; @_Z26warp_inclusive_scan_kernelIfLj1ELj61EENSt9enable_ifIXsr10test_utilsE35device_test_enabled_for_warp_size_vIXT1_EEEvE4typeEPT_S4_
; %bb.0:
	s_load_dword s7, s[4:5], 0x1c
	s_load_dwordx4 s[0:3], s[4:5], 0x0
	s_mov_b32 s5, 0
	v_mbcnt_lo_u32_b32 v0, -1, 0
	v_mbcnt_hi_u32_b32 v0, -1, v0
	s_waitcnt lgkmcnt(0)
	s_and_b32 s4, s7, 0xffff
	s_mul_i32 s4, s6, s4
	s_lshl_b64 s[4:5], s[4:5], 2
	s_mov_b32 s6, 0x4325c54
	v_mul_hi_u32 v1, v0, s6
	s_add_u32 s0, s0, s4
	s_addc_u32 s1, s1, s5
	s_load_dword s0, s[0:1], 0x0
	v_mul_u32_u24_e32 v1, 61, v1
	v_sub_u32_e32 v1, v0, v1
	v_cmp_eq_u32_e32 vcc, 0, v1
	v_readfirstlane_b32 s6, v1
	v_lshlrev_b32_e32 v0, 2, v1
	s_waitcnt lgkmcnt(0)
	v_mov_b32_e32 v2, s0
	s_and_b64 s[8:9], vcc, exec
	v_cmp_ne_u32_e32 vcc, 0, v1
	ds_write_b32 v0, v2
	; wave barrier
	s_cbranch_scc1 .LBB0_2
; %bb.1:
	v_add_u32_e32 v1, -4, v0
	ds_read_b32 v1, v1
	s_waitcnt lgkmcnt(0)
	v_add_f32_e32 v1, s0, v1
	s_branch .LBB0_3
.LBB0_2:
	v_mov_b32_e32 v1, s0
.LBB0_3:
	s_andn2_b64 vcc, exec, vcc
	; wave barrier
	s_cbranch_vccnz .LBB0_5
; %bb.4:
	ds_write_b32 v0, v1
.LBB0_5:
	s_cmp_gt_u32 s6, 1
	s_cselect_b64 s[0:1], -1, 0
	s_cmp_lt_u32 s6, 2
	; wave barrier
	s_cbranch_scc1 .LBB0_7
; %bb.6:
	v_add_u32_e32 v2, -8, v0
	ds_read_b32 v2, v2
	s_waitcnt lgkmcnt(0)
	v_add_f32_e32 v1, v1, v2
.LBB0_7:
	s_andn2_b64 vcc, exec, s[0:1]
	; wave barrier
	s_cbranch_vccnz .LBB0_9
; %bb.8:
	ds_write_b32 v0, v1
.LBB0_9:
	s_cmp_gt_u32 s6, 3
	s_cselect_b64 s[0:1], -1, 0
	s_cmp_lt_u32 s6, 4
	; wave barrier
	s_cbranch_scc1 .LBB0_11
; %bb.10:
	v_add_u32_e32 v2, -16, v0
	ds_read_b32 v2, v2
	s_waitcnt lgkmcnt(0)
	v_add_f32_e32 v1, v1, v2
.LBB0_11:
	s_andn2_b64 vcc, exec, s[0:1]
	; wave barrier
	s_cbranch_vccnz .LBB0_13
; %bb.12:
	ds_write_b32 v0, v1
.LBB0_13:
	s_cmp_gt_u32 s6, 7
	s_cselect_b64 s[0:1], -1, 0
	s_cmp_lt_u32 s6, 8
	; wave barrier
	s_cbranch_scc1 .LBB0_15
; %bb.14:
	v_subrev_u32_e32 v2, 32, v0
	ds_read_b32 v2, v2
	s_waitcnt lgkmcnt(0)
	v_add_f32_e32 v1, v1, v2
.LBB0_15:
	s_andn2_b64 vcc, exec, s[0:1]
	; wave barrier
	s_cbranch_vccnz .LBB0_17
; %bb.16:
	ds_write_b32 v0, v1
.LBB0_17:
	s_cmp_gt_u32 s6, 15
	s_cselect_b64 s[0:1], -1, 0
	s_cmp_lt_u32 s6, 16
	; wave barrier
	s_cbranch_scc1 .LBB0_19
; %bb.18:
	v_subrev_u32_e32 v2, 64, v0
	ds_read_b32 v2, v2
	s_waitcnt lgkmcnt(0)
	v_add_f32_e32 v1, v1, v2
.LBB0_19:
	s_andn2_b64 vcc, exec, s[0:1]
	; wave barrier
	s_cbranch_vccnz .LBB0_21
; %bb.20:
	ds_write_b32 v0, v1
.LBB0_21:
	s_cmp_gt_u32 s6, 31
	s_cselect_b64 s[0:1], -1, 0
	s_cmp_lt_u32 s6, 32
	; wave barrier
	s_cbranch_scc1 .LBB0_23
; %bb.22:
	v_add_u32_e32 v2, 0xffffff80, v0
	ds_read_b32 v2, v2
	s_waitcnt lgkmcnt(0)
	v_add_f32_e32 v1, v1, v2
.LBB0_23:
	s_andn2_b64 vcc, exec, s[0:1]
	; wave barrier
	s_cbranch_vccnz .LBB0_25
; %bb.24:
	ds_write_b32 v0, v1
.LBB0_25:
	s_add_u32 s0, s2, s4
	s_addc_u32 s1, s3, s5
	v_mov_b32_e32 v0, 0
	; wave barrier
	global_store_dword v0, v1, s[0:1]
	s_endpgm
	.section	.rodata,"a",@progbits
	.p2align	6, 0x0
	.amdhsa_kernel _Z26warp_inclusive_scan_kernelIfLj1ELj61EENSt9enable_ifIXsr10test_utilsE35device_test_enabled_for_warp_size_vIXT1_EEEvE4typeEPT_S4_
		.amdhsa_group_segment_fixed_size 244
		.amdhsa_private_segment_fixed_size 0
		.amdhsa_kernarg_size 272
		.amdhsa_user_sgpr_count 6
		.amdhsa_user_sgpr_private_segment_buffer 1
		.amdhsa_user_sgpr_dispatch_ptr 0
		.amdhsa_user_sgpr_queue_ptr 0
		.amdhsa_user_sgpr_kernarg_segment_ptr 1
		.amdhsa_user_sgpr_dispatch_id 0
		.amdhsa_user_sgpr_flat_scratch_init 0
		.amdhsa_user_sgpr_private_segment_size 0
		.amdhsa_uses_dynamic_stack 0
		.amdhsa_system_sgpr_private_segment_wavefront_offset 0
		.amdhsa_system_sgpr_workgroup_id_x 1
		.amdhsa_system_sgpr_workgroup_id_y 0
		.amdhsa_system_sgpr_workgroup_id_z 0
		.amdhsa_system_sgpr_workgroup_info 0
		.amdhsa_system_vgpr_workitem_id 0
		.amdhsa_next_free_vgpr 3
		.amdhsa_next_free_sgpr 10
		.amdhsa_reserve_vcc 1
		.amdhsa_reserve_flat_scratch 0
		.amdhsa_float_round_mode_32 0
		.amdhsa_float_round_mode_16_64 0
		.amdhsa_float_denorm_mode_32 3
		.amdhsa_float_denorm_mode_16_64 3
		.amdhsa_dx10_clamp 1
		.amdhsa_ieee_mode 1
		.amdhsa_fp16_overflow 0
		.amdhsa_exception_fp_ieee_invalid_op 0
		.amdhsa_exception_fp_denorm_src 0
		.amdhsa_exception_fp_ieee_div_zero 0
		.amdhsa_exception_fp_ieee_overflow 0
		.amdhsa_exception_fp_ieee_underflow 0
		.amdhsa_exception_fp_ieee_inexact 0
		.amdhsa_exception_int_div_zero 0
	.end_amdhsa_kernel
	.section	.text._Z26warp_inclusive_scan_kernelIfLj1ELj61EENSt9enable_ifIXsr10test_utilsE35device_test_enabled_for_warp_size_vIXT1_EEEvE4typeEPT_S4_,"axG",@progbits,_Z26warp_inclusive_scan_kernelIfLj1ELj61EENSt9enable_ifIXsr10test_utilsE35device_test_enabled_for_warp_size_vIXT1_EEEvE4typeEPT_S4_,comdat
.Lfunc_end0:
	.size	_Z26warp_inclusive_scan_kernelIfLj1ELj61EENSt9enable_ifIXsr10test_utilsE35device_test_enabled_for_warp_size_vIXT1_EEEvE4typeEPT_S4_, .Lfunc_end0-_Z26warp_inclusive_scan_kernelIfLj1ELj61EENSt9enable_ifIXsr10test_utilsE35device_test_enabled_for_warp_size_vIXT1_EEEvE4typeEPT_S4_
                                        ; -- End function
	.set _Z26warp_inclusive_scan_kernelIfLj1ELj61EENSt9enable_ifIXsr10test_utilsE35device_test_enabled_for_warp_size_vIXT1_EEEvE4typeEPT_S4_.num_vgpr, 3
	.set _Z26warp_inclusive_scan_kernelIfLj1ELj61EENSt9enable_ifIXsr10test_utilsE35device_test_enabled_for_warp_size_vIXT1_EEEvE4typeEPT_S4_.num_agpr, 0
	.set _Z26warp_inclusive_scan_kernelIfLj1ELj61EENSt9enable_ifIXsr10test_utilsE35device_test_enabled_for_warp_size_vIXT1_EEEvE4typeEPT_S4_.numbered_sgpr, 10
	.set _Z26warp_inclusive_scan_kernelIfLj1ELj61EENSt9enable_ifIXsr10test_utilsE35device_test_enabled_for_warp_size_vIXT1_EEEvE4typeEPT_S4_.num_named_barrier, 0
	.set _Z26warp_inclusive_scan_kernelIfLj1ELj61EENSt9enable_ifIXsr10test_utilsE35device_test_enabled_for_warp_size_vIXT1_EEEvE4typeEPT_S4_.private_seg_size, 0
	.set _Z26warp_inclusive_scan_kernelIfLj1ELj61EENSt9enable_ifIXsr10test_utilsE35device_test_enabled_for_warp_size_vIXT1_EEEvE4typeEPT_S4_.uses_vcc, 1
	.set _Z26warp_inclusive_scan_kernelIfLj1ELj61EENSt9enable_ifIXsr10test_utilsE35device_test_enabled_for_warp_size_vIXT1_EEEvE4typeEPT_S4_.uses_flat_scratch, 0
	.set _Z26warp_inclusive_scan_kernelIfLj1ELj61EENSt9enable_ifIXsr10test_utilsE35device_test_enabled_for_warp_size_vIXT1_EEEvE4typeEPT_S4_.has_dyn_sized_stack, 0
	.set _Z26warp_inclusive_scan_kernelIfLj1ELj61EENSt9enable_ifIXsr10test_utilsE35device_test_enabled_for_warp_size_vIXT1_EEEvE4typeEPT_S4_.has_recursion, 0
	.set _Z26warp_inclusive_scan_kernelIfLj1ELj61EENSt9enable_ifIXsr10test_utilsE35device_test_enabled_for_warp_size_vIXT1_EEEvE4typeEPT_S4_.has_indirect_call, 0
	.section	.AMDGPU.csdata,"",@progbits
; Kernel info:
; codeLenInByte = 468
; TotalNumSgprs: 14
; NumVgprs: 3
; ScratchSize: 0
; MemoryBound: 0
; FloatMode: 240
; IeeeMode: 1
; LDSByteSize: 244 bytes/workgroup (compile time only)
; SGPRBlocks: 1
; VGPRBlocks: 0
; NumSGPRsForWavesPerEU: 14
; NumVGPRsForWavesPerEU: 3
; Occupancy: 10
; WaveLimiterHint : 0
; COMPUTE_PGM_RSRC2:SCRATCH_EN: 0
; COMPUTE_PGM_RSRC2:USER_SGPR: 6
; COMPUTE_PGM_RSRC2:TRAP_HANDLER: 0
; COMPUTE_PGM_RSRC2:TGID_X_EN: 1
; COMPUTE_PGM_RSRC2:TGID_Y_EN: 0
; COMPUTE_PGM_RSRC2:TGID_Z_EN: 0
; COMPUTE_PGM_RSRC2:TIDIG_COMP_CNT: 0
	.section	.text._Z26warp_inclusive_scan_kernelIfLj61ELj61EENSt9enable_ifIXsr10test_utilsE35device_test_enabled_for_warp_size_vIXT1_EEEvE4typeEPT_S4_,"axG",@progbits,_Z26warp_inclusive_scan_kernelIfLj61ELj61EENSt9enable_ifIXsr10test_utilsE35device_test_enabled_for_warp_size_vIXT1_EEEvE4typeEPT_S4_,comdat
	.protected	_Z26warp_inclusive_scan_kernelIfLj61ELj61EENSt9enable_ifIXsr10test_utilsE35device_test_enabled_for_warp_size_vIXT1_EEEvE4typeEPT_S4_ ; -- Begin function _Z26warp_inclusive_scan_kernelIfLj61ELj61EENSt9enable_ifIXsr10test_utilsE35device_test_enabled_for_warp_size_vIXT1_EEEvE4typeEPT_S4_
	.globl	_Z26warp_inclusive_scan_kernelIfLj61ELj61EENSt9enable_ifIXsr10test_utilsE35device_test_enabled_for_warp_size_vIXT1_EEEvE4typeEPT_S4_
	.p2align	8
	.type	_Z26warp_inclusive_scan_kernelIfLj61ELj61EENSt9enable_ifIXsr10test_utilsE35device_test_enabled_for_warp_size_vIXT1_EEEvE4typeEPT_S4_,@function
_Z26warp_inclusive_scan_kernelIfLj61ELj61EENSt9enable_ifIXsr10test_utilsE35device_test_enabled_for_warp_size_vIXT1_EEEvE4typeEPT_S4_: ; @_Z26warp_inclusive_scan_kernelIfLj61ELj61EENSt9enable_ifIXsr10test_utilsE35device_test_enabled_for_warp_size_vIXT1_EEEvE4typeEPT_S4_
; %bb.0:
	s_load_dword s7, s[4:5], 0x1c
	s_load_dwordx4 s[0:3], s[4:5], 0x0
	v_mov_b32_e32 v2, 0
	s_waitcnt lgkmcnt(0)
	s_and_b32 s4, s7, 0xffff
	s_mul_i32 s6, s6, s4
	v_add_u32_e32 v1, s6, v0
	v_lshlrev_b64 v[1:2], 2, v[1:2]
	v_mov_b32_e32 v4, s1
	v_add_co_u32_e32 v3, vcc, s0, v1
	v_addc_co_u32_e32 v4, vcc, v4, v2, vcc
	global_load_dword v3, v[3:4], off
	v_mbcnt_lo_u32_b32 v4, -1, 0
	s_mov_b32 s0, 0x4325c54
	v_mbcnt_hi_u32_b32 v4, -1, v4
	v_mul_hi_u32 v5, v4, s0
	v_mul_u32_u24_e32 v0, 0x433, v0
	s_movk_i32 s0, 0xf4
	v_lshrrev_b32_e32 v0, 16, v0
	v_mul_u32_u24_e32 v5, 61, v5
	v_sub_u32_e32 v4, v4, v5
	v_lshlrev_b32_e32 v5, 2, v4
	v_mad_u32_u24 v0, v0, s0, v5
	v_cmp_ne_u32_e32 vcc, 0, v4
	s_waitcnt vmcnt(0)
	ds_write_b32 v0, v3
	; wave barrier
	s_and_saveexec_b64 s[0:1], vcc
	s_cbranch_execz .LBB1_2
; %bb.1:
	v_add_u32_e32 v5, -4, v0
	ds_read_b32 v5, v5
	s_waitcnt lgkmcnt(0)
	v_add_f32_e32 v3, v3, v5
.LBB1_2:
	s_or_b64 exec, exec, s[0:1]
	; wave barrier
	s_and_saveexec_b64 s[0:1], vcc
; %bb.3:
	ds_write_b32 v0, v3
; %bb.4:
	s_or_b64 exec, exec, s[0:1]
	v_cmp_lt_u32_e32 vcc, 1, v4
	; wave barrier
	s_and_saveexec_b64 s[0:1], vcc
	s_cbranch_execz .LBB1_6
; %bb.5:
	v_add_u32_e32 v5, -8, v0
	ds_read_b32 v5, v5
	s_waitcnt lgkmcnt(0)
	v_add_f32_e32 v3, v3, v5
.LBB1_6:
	s_or_b64 exec, exec, s[0:1]
	; wave barrier
	s_and_saveexec_b64 s[0:1], vcc
; %bb.7:
	ds_write_b32 v0, v3
; %bb.8:
	s_or_b64 exec, exec, s[0:1]
	v_cmp_lt_u32_e32 vcc, 3, v4
	;; [unrolled: 17-line block ×3, first 2 shown]
	; wave barrier
	s_and_saveexec_b64 s[0:1], vcc
	s_cbranch_execz .LBB1_14
; %bb.13:
	v_subrev_u32_e32 v5, 32, v0
	ds_read_b32 v5, v5
	s_waitcnt lgkmcnt(0)
	v_add_f32_e32 v3, v3, v5
.LBB1_14:
	s_or_b64 exec, exec, s[0:1]
	; wave barrier
	s_and_saveexec_b64 s[0:1], vcc
; %bb.15:
	ds_write_b32 v0, v3
; %bb.16:
	s_or_b64 exec, exec, s[0:1]
	v_cmp_lt_u32_e32 vcc, 15, v4
	; wave barrier
	s_and_saveexec_b64 s[0:1], vcc
	s_cbranch_execz .LBB1_18
; %bb.17:
	v_subrev_u32_e32 v5, 64, v0
	ds_read_b32 v5, v5
	s_waitcnt lgkmcnt(0)
	v_add_f32_e32 v3, v3, v5
.LBB1_18:
	s_or_b64 exec, exec, s[0:1]
	; wave barrier
	s_and_saveexec_b64 s[0:1], vcc
; %bb.19:
	ds_write_b32 v0, v3
; %bb.20:
	s_or_b64 exec, exec, s[0:1]
	v_cmp_lt_u32_e32 vcc, 31, v4
	; wave barrier
	s_and_saveexec_b64 s[0:1], vcc
	s_cbranch_execz .LBB1_22
; %bb.21:
	v_add_u32_e32 v4, 0xffffff80, v0
	ds_read_b32 v4, v4
	s_waitcnt lgkmcnt(0)
	v_add_f32_e32 v3, v3, v4
.LBB1_22:
	s_or_b64 exec, exec, s[0:1]
	; wave barrier
	s_and_saveexec_b64 s[0:1], vcc
; %bb.23:
	ds_write_b32 v0, v3
; %bb.24:
	s_or_b64 exec, exec, s[0:1]
	v_mov_b32_e32 v4, s3
	v_add_co_u32_e32 v0, vcc, s2, v1
	v_addc_co_u32_e32 v1, vcc, v4, v2, vcc
	; wave barrier
	global_store_dword v[0:1], v3, off
	s_endpgm
	.section	.rodata,"a",@progbits
	.p2align	6, 0x0
	.amdhsa_kernel _Z26warp_inclusive_scan_kernelIfLj61ELj61EENSt9enable_ifIXsr10test_utilsE35device_test_enabled_for_warp_size_vIXT1_EEEvE4typeEPT_S4_
		.amdhsa_group_segment_fixed_size 244
		.amdhsa_private_segment_fixed_size 0
		.amdhsa_kernarg_size 272
		.amdhsa_user_sgpr_count 6
		.amdhsa_user_sgpr_private_segment_buffer 1
		.amdhsa_user_sgpr_dispatch_ptr 0
		.amdhsa_user_sgpr_queue_ptr 0
		.amdhsa_user_sgpr_kernarg_segment_ptr 1
		.amdhsa_user_sgpr_dispatch_id 0
		.amdhsa_user_sgpr_flat_scratch_init 0
		.amdhsa_user_sgpr_private_segment_size 0
		.amdhsa_uses_dynamic_stack 0
		.amdhsa_system_sgpr_private_segment_wavefront_offset 0
		.amdhsa_system_sgpr_workgroup_id_x 1
		.amdhsa_system_sgpr_workgroup_id_y 0
		.amdhsa_system_sgpr_workgroup_id_z 0
		.amdhsa_system_sgpr_workgroup_info 0
		.amdhsa_system_vgpr_workitem_id 0
		.amdhsa_next_free_vgpr 6
		.amdhsa_next_free_sgpr 8
		.amdhsa_reserve_vcc 1
		.amdhsa_reserve_flat_scratch 0
		.amdhsa_float_round_mode_32 0
		.amdhsa_float_round_mode_16_64 0
		.amdhsa_float_denorm_mode_32 3
		.amdhsa_float_denorm_mode_16_64 3
		.amdhsa_dx10_clamp 1
		.amdhsa_ieee_mode 1
		.amdhsa_fp16_overflow 0
		.amdhsa_exception_fp_ieee_invalid_op 0
		.amdhsa_exception_fp_denorm_src 0
		.amdhsa_exception_fp_ieee_div_zero 0
		.amdhsa_exception_fp_ieee_overflow 0
		.amdhsa_exception_fp_ieee_underflow 0
		.amdhsa_exception_fp_ieee_inexact 0
		.amdhsa_exception_int_div_zero 0
	.end_amdhsa_kernel
	.section	.text._Z26warp_inclusive_scan_kernelIfLj61ELj61EENSt9enable_ifIXsr10test_utilsE35device_test_enabled_for_warp_size_vIXT1_EEEvE4typeEPT_S4_,"axG",@progbits,_Z26warp_inclusive_scan_kernelIfLj61ELj61EENSt9enable_ifIXsr10test_utilsE35device_test_enabled_for_warp_size_vIXT1_EEEvE4typeEPT_S4_,comdat
.Lfunc_end1:
	.size	_Z26warp_inclusive_scan_kernelIfLj61ELj61EENSt9enable_ifIXsr10test_utilsE35device_test_enabled_for_warp_size_vIXT1_EEEvE4typeEPT_S4_, .Lfunc_end1-_Z26warp_inclusive_scan_kernelIfLj61ELj61EENSt9enable_ifIXsr10test_utilsE35device_test_enabled_for_warp_size_vIXT1_EEEvE4typeEPT_S4_
                                        ; -- End function
	.set _Z26warp_inclusive_scan_kernelIfLj61ELj61EENSt9enable_ifIXsr10test_utilsE35device_test_enabled_for_warp_size_vIXT1_EEEvE4typeEPT_S4_.num_vgpr, 6
	.set _Z26warp_inclusive_scan_kernelIfLj61ELj61EENSt9enable_ifIXsr10test_utilsE35device_test_enabled_for_warp_size_vIXT1_EEEvE4typeEPT_S4_.num_agpr, 0
	.set _Z26warp_inclusive_scan_kernelIfLj61ELj61EENSt9enable_ifIXsr10test_utilsE35device_test_enabled_for_warp_size_vIXT1_EEEvE4typeEPT_S4_.numbered_sgpr, 8
	.set _Z26warp_inclusive_scan_kernelIfLj61ELj61EENSt9enable_ifIXsr10test_utilsE35device_test_enabled_for_warp_size_vIXT1_EEEvE4typeEPT_S4_.num_named_barrier, 0
	.set _Z26warp_inclusive_scan_kernelIfLj61ELj61EENSt9enable_ifIXsr10test_utilsE35device_test_enabled_for_warp_size_vIXT1_EEEvE4typeEPT_S4_.private_seg_size, 0
	.set _Z26warp_inclusive_scan_kernelIfLj61ELj61EENSt9enable_ifIXsr10test_utilsE35device_test_enabled_for_warp_size_vIXT1_EEEvE4typeEPT_S4_.uses_vcc, 1
	.set _Z26warp_inclusive_scan_kernelIfLj61ELj61EENSt9enable_ifIXsr10test_utilsE35device_test_enabled_for_warp_size_vIXT1_EEEvE4typeEPT_S4_.uses_flat_scratch, 0
	.set _Z26warp_inclusive_scan_kernelIfLj61ELj61EENSt9enable_ifIXsr10test_utilsE35device_test_enabled_for_warp_size_vIXT1_EEEvE4typeEPT_S4_.has_dyn_sized_stack, 0
	.set _Z26warp_inclusive_scan_kernelIfLj61ELj61EENSt9enable_ifIXsr10test_utilsE35device_test_enabled_for_warp_size_vIXT1_EEEvE4typeEPT_S4_.has_recursion, 0
	.set _Z26warp_inclusive_scan_kernelIfLj61ELj61EENSt9enable_ifIXsr10test_utilsE35device_test_enabled_for_warp_size_vIXT1_EEEvE4typeEPT_S4_.has_indirect_call, 0
	.section	.AMDGPU.csdata,"",@progbits
; Kernel info:
; codeLenInByte = 488
; TotalNumSgprs: 12
; NumVgprs: 6
; ScratchSize: 0
; MemoryBound: 0
; FloatMode: 240
; IeeeMode: 1
; LDSByteSize: 244 bytes/workgroup (compile time only)
; SGPRBlocks: 1
; VGPRBlocks: 1
; NumSGPRsForWavesPerEU: 12
; NumVGPRsForWavesPerEU: 6
; Occupancy: 10
; WaveLimiterHint : 0
; COMPUTE_PGM_RSRC2:SCRATCH_EN: 0
; COMPUTE_PGM_RSRC2:USER_SGPR: 6
; COMPUTE_PGM_RSRC2:TRAP_HANDLER: 0
; COMPUTE_PGM_RSRC2:TGID_X_EN: 1
; COMPUTE_PGM_RSRC2:TGID_Y_EN: 0
; COMPUTE_PGM_RSRC2:TGID_Z_EN: 0
; COMPUTE_PGM_RSRC2:TIDIG_COMP_CNT: 0
	.section	.text._Z26warp_inclusive_scan_kernelIfLj1ELj37EENSt9enable_ifIXsr10test_utilsE35device_test_enabled_for_warp_size_vIXT1_EEEvE4typeEPT_S4_,"axG",@progbits,_Z26warp_inclusive_scan_kernelIfLj1ELj37EENSt9enable_ifIXsr10test_utilsE35device_test_enabled_for_warp_size_vIXT1_EEEvE4typeEPT_S4_,comdat
	.protected	_Z26warp_inclusive_scan_kernelIfLj1ELj37EENSt9enable_ifIXsr10test_utilsE35device_test_enabled_for_warp_size_vIXT1_EEEvE4typeEPT_S4_ ; -- Begin function _Z26warp_inclusive_scan_kernelIfLj1ELj37EENSt9enable_ifIXsr10test_utilsE35device_test_enabled_for_warp_size_vIXT1_EEEvE4typeEPT_S4_
	.globl	_Z26warp_inclusive_scan_kernelIfLj1ELj37EENSt9enable_ifIXsr10test_utilsE35device_test_enabled_for_warp_size_vIXT1_EEEvE4typeEPT_S4_
	.p2align	8
	.type	_Z26warp_inclusive_scan_kernelIfLj1ELj37EENSt9enable_ifIXsr10test_utilsE35device_test_enabled_for_warp_size_vIXT1_EEEvE4typeEPT_S4_,@function
_Z26warp_inclusive_scan_kernelIfLj1ELj37EENSt9enable_ifIXsr10test_utilsE35device_test_enabled_for_warp_size_vIXT1_EEEvE4typeEPT_S4_: ; @_Z26warp_inclusive_scan_kernelIfLj1ELj37EENSt9enable_ifIXsr10test_utilsE35device_test_enabled_for_warp_size_vIXT1_EEEvE4typeEPT_S4_
; %bb.0:
	s_load_dword s7, s[4:5], 0x1c
	s_load_dwordx4 s[0:3], s[4:5], 0x0
	s_mov_b32 s5, 0
	v_mbcnt_lo_u32_b32 v0, -1, 0
	v_mbcnt_hi_u32_b32 v0, -1, v0
	s_waitcnt lgkmcnt(0)
	s_and_b32 s4, s7, 0xffff
	s_mul_i32 s4, s6, s4
	s_lshl_b64 s[4:5], s[4:5], 2
	s_mov_b32 s6, 0x6eb3e46
	v_mul_hi_u32 v1, v0, s6
	s_add_u32 s0, s0, s4
	s_addc_u32 s1, s1, s5
	s_load_dword s0, s[0:1], 0x0
	v_mul_u32_u24_e32 v1, 37, v1
	v_sub_u32_e32 v1, v0, v1
	v_cmp_eq_u32_e32 vcc, 0, v1
	v_readfirstlane_b32 s6, v1
	v_lshlrev_b32_e32 v0, 2, v1
	s_waitcnt lgkmcnt(0)
	v_mov_b32_e32 v2, s0
	s_and_b64 s[8:9], vcc, exec
	v_cmp_ne_u32_e32 vcc, 0, v1
	ds_write_b32 v0, v2
	; wave barrier
	s_cbranch_scc1 .LBB2_2
; %bb.1:
	v_add_u32_e32 v1, -4, v0
	ds_read_b32 v1, v1
	s_waitcnt lgkmcnt(0)
	v_add_f32_e32 v1, s0, v1
	s_branch .LBB2_3
.LBB2_2:
	v_mov_b32_e32 v1, s0
.LBB2_3:
	s_andn2_b64 vcc, exec, vcc
	; wave barrier
	s_cbranch_vccnz .LBB2_5
; %bb.4:
	ds_write_b32 v0, v1
.LBB2_5:
	s_cmp_gt_u32 s6, 1
	s_cselect_b64 s[0:1], -1, 0
	s_cmp_lt_u32 s6, 2
	; wave barrier
	s_cbranch_scc1 .LBB2_7
; %bb.6:
	v_add_u32_e32 v2, -8, v0
	ds_read_b32 v2, v2
	s_waitcnt lgkmcnt(0)
	v_add_f32_e32 v1, v1, v2
.LBB2_7:
	s_andn2_b64 vcc, exec, s[0:1]
	; wave barrier
	s_cbranch_vccnz .LBB2_9
; %bb.8:
	ds_write_b32 v0, v1
.LBB2_9:
	s_cmp_gt_u32 s6, 3
	s_cselect_b64 s[0:1], -1, 0
	s_cmp_lt_u32 s6, 4
	; wave barrier
	s_cbranch_scc1 .LBB2_11
; %bb.10:
	v_add_u32_e32 v2, -16, v0
	ds_read_b32 v2, v2
	s_waitcnt lgkmcnt(0)
	v_add_f32_e32 v1, v1, v2
.LBB2_11:
	s_andn2_b64 vcc, exec, s[0:1]
	; wave barrier
	s_cbranch_vccnz .LBB2_13
; %bb.12:
	ds_write_b32 v0, v1
.LBB2_13:
	s_cmp_gt_u32 s6, 7
	s_cselect_b64 s[0:1], -1, 0
	s_cmp_lt_u32 s6, 8
	; wave barrier
	s_cbranch_scc1 .LBB2_15
; %bb.14:
	v_subrev_u32_e32 v2, 32, v0
	ds_read_b32 v2, v2
	s_waitcnt lgkmcnt(0)
	v_add_f32_e32 v1, v1, v2
.LBB2_15:
	s_andn2_b64 vcc, exec, s[0:1]
	; wave barrier
	s_cbranch_vccnz .LBB2_17
; %bb.16:
	ds_write_b32 v0, v1
.LBB2_17:
	s_cmp_gt_u32 s6, 15
	s_cselect_b64 s[0:1], -1, 0
	s_cmp_lt_u32 s6, 16
	; wave barrier
	s_cbranch_scc1 .LBB2_19
; %bb.18:
	v_subrev_u32_e32 v2, 64, v0
	ds_read_b32 v2, v2
	s_waitcnt lgkmcnt(0)
	v_add_f32_e32 v1, v1, v2
.LBB2_19:
	s_andn2_b64 vcc, exec, s[0:1]
	; wave barrier
	s_cbranch_vccnz .LBB2_21
; %bb.20:
	ds_write_b32 v0, v1
.LBB2_21:
	s_cmp_gt_u32 s6, 31
	s_cselect_b64 s[0:1], -1, 0
	s_cmp_lt_u32 s6, 32
	; wave barrier
	s_cbranch_scc1 .LBB2_23
; %bb.22:
	v_add_u32_e32 v2, 0xffffff80, v0
	ds_read_b32 v2, v2
	s_waitcnt lgkmcnt(0)
	v_add_f32_e32 v1, v1, v2
.LBB2_23:
	s_andn2_b64 vcc, exec, s[0:1]
	; wave barrier
	s_cbranch_vccnz .LBB2_25
; %bb.24:
	ds_write_b32 v0, v1
.LBB2_25:
	s_add_u32 s0, s2, s4
	s_addc_u32 s1, s3, s5
	v_mov_b32_e32 v0, 0
	; wave barrier
	global_store_dword v0, v1, s[0:1]
	s_endpgm
	.section	.rodata,"a",@progbits
	.p2align	6, 0x0
	.amdhsa_kernel _Z26warp_inclusive_scan_kernelIfLj1ELj37EENSt9enable_ifIXsr10test_utilsE35device_test_enabled_for_warp_size_vIXT1_EEEvE4typeEPT_S4_
		.amdhsa_group_segment_fixed_size 148
		.amdhsa_private_segment_fixed_size 0
		.amdhsa_kernarg_size 272
		.amdhsa_user_sgpr_count 6
		.amdhsa_user_sgpr_private_segment_buffer 1
		.amdhsa_user_sgpr_dispatch_ptr 0
		.amdhsa_user_sgpr_queue_ptr 0
		.amdhsa_user_sgpr_kernarg_segment_ptr 1
		.amdhsa_user_sgpr_dispatch_id 0
		.amdhsa_user_sgpr_flat_scratch_init 0
		.amdhsa_user_sgpr_private_segment_size 0
		.amdhsa_uses_dynamic_stack 0
		.amdhsa_system_sgpr_private_segment_wavefront_offset 0
		.amdhsa_system_sgpr_workgroup_id_x 1
		.amdhsa_system_sgpr_workgroup_id_y 0
		.amdhsa_system_sgpr_workgroup_id_z 0
		.amdhsa_system_sgpr_workgroup_info 0
		.amdhsa_system_vgpr_workitem_id 0
		.amdhsa_next_free_vgpr 3
		.amdhsa_next_free_sgpr 10
		.amdhsa_reserve_vcc 1
		.amdhsa_reserve_flat_scratch 0
		.amdhsa_float_round_mode_32 0
		.amdhsa_float_round_mode_16_64 0
		.amdhsa_float_denorm_mode_32 3
		.amdhsa_float_denorm_mode_16_64 3
		.amdhsa_dx10_clamp 1
		.amdhsa_ieee_mode 1
		.amdhsa_fp16_overflow 0
		.amdhsa_exception_fp_ieee_invalid_op 0
		.amdhsa_exception_fp_denorm_src 0
		.amdhsa_exception_fp_ieee_div_zero 0
		.amdhsa_exception_fp_ieee_overflow 0
		.amdhsa_exception_fp_ieee_underflow 0
		.amdhsa_exception_fp_ieee_inexact 0
		.amdhsa_exception_int_div_zero 0
	.end_amdhsa_kernel
	.section	.text._Z26warp_inclusive_scan_kernelIfLj1ELj37EENSt9enable_ifIXsr10test_utilsE35device_test_enabled_for_warp_size_vIXT1_EEEvE4typeEPT_S4_,"axG",@progbits,_Z26warp_inclusive_scan_kernelIfLj1ELj37EENSt9enable_ifIXsr10test_utilsE35device_test_enabled_for_warp_size_vIXT1_EEEvE4typeEPT_S4_,comdat
.Lfunc_end2:
	.size	_Z26warp_inclusive_scan_kernelIfLj1ELj37EENSt9enable_ifIXsr10test_utilsE35device_test_enabled_for_warp_size_vIXT1_EEEvE4typeEPT_S4_, .Lfunc_end2-_Z26warp_inclusive_scan_kernelIfLj1ELj37EENSt9enable_ifIXsr10test_utilsE35device_test_enabled_for_warp_size_vIXT1_EEEvE4typeEPT_S4_
                                        ; -- End function
	.set _Z26warp_inclusive_scan_kernelIfLj1ELj37EENSt9enable_ifIXsr10test_utilsE35device_test_enabled_for_warp_size_vIXT1_EEEvE4typeEPT_S4_.num_vgpr, 3
	.set _Z26warp_inclusive_scan_kernelIfLj1ELj37EENSt9enable_ifIXsr10test_utilsE35device_test_enabled_for_warp_size_vIXT1_EEEvE4typeEPT_S4_.num_agpr, 0
	.set _Z26warp_inclusive_scan_kernelIfLj1ELj37EENSt9enable_ifIXsr10test_utilsE35device_test_enabled_for_warp_size_vIXT1_EEEvE4typeEPT_S4_.numbered_sgpr, 10
	.set _Z26warp_inclusive_scan_kernelIfLj1ELj37EENSt9enable_ifIXsr10test_utilsE35device_test_enabled_for_warp_size_vIXT1_EEEvE4typeEPT_S4_.num_named_barrier, 0
	.set _Z26warp_inclusive_scan_kernelIfLj1ELj37EENSt9enable_ifIXsr10test_utilsE35device_test_enabled_for_warp_size_vIXT1_EEEvE4typeEPT_S4_.private_seg_size, 0
	.set _Z26warp_inclusive_scan_kernelIfLj1ELj37EENSt9enable_ifIXsr10test_utilsE35device_test_enabled_for_warp_size_vIXT1_EEEvE4typeEPT_S4_.uses_vcc, 1
	.set _Z26warp_inclusive_scan_kernelIfLj1ELj37EENSt9enable_ifIXsr10test_utilsE35device_test_enabled_for_warp_size_vIXT1_EEEvE4typeEPT_S4_.uses_flat_scratch, 0
	.set _Z26warp_inclusive_scan_kernelIfLj1ELj37EENSt9enable_ifIXsr10test_utilsE35device_test_enabled_for_warp_size_vIXT1_EEEvE4typeEPT_S4_.has_dyn_sized_stack, 0
	.set _Z26warp_inclusive_scan_kernelIfLj1ELj37EENSt9enable_ifIXsr10test_utilsE35device_test_enabled_for_warp_size_vIXT1_EEEvE4typeEPT_S4_.has_recursion, 0
	.set _Z26warp_inclusive_scan_kernelIfLj1ELj37EENSt9enable_ifIXsr10test_utilsE35device_test_enabled_for_warp_size_vIXT1_EEEvE4typeEPT_S4_.has_indirect_call, 0
	.section	.AMDGPU.csdata,"",@progbits
; Kernel info:
; codeLenInByte = 468
; TotalNumSgprs: 14
; NumVgprs: 3
; ScratchSize: 0
; MemoryBound: 0
; FloatMode: 240
; IeeeMode: 1
; LDSByteSize: 148 bytes/workgroup (compile time only)
; SGPRBlocks: 1
; VGPRBlocks: 0
; NumSGPRsForWavesPerEU: 14
; NumVGPRsForWavesPerEU: 3
; Occupancy: 10
; WaveLimiterHint : 0
; COMPUTE_PGM_RSRC2:SCRATCH_EN: 0
; COMPUTE_PGM_RSRC2:USER_SGPR: 6
; COMPUTE_PGM_RSRC2:TRAP_HANDLER: 0
; COMPUTE_PGM_RSRC2:TGID_X_EN: 1
; COMPUTE_PGM_RSRC2:TGID_Y_EN: 0
; COMPUTE_PGM_RSRC2:TGID_Z_EN: 0
; COMPUTE_PGM_RSRC2:TIDIG_COMP_CNT: 0
	.section	.text._Z26warp_inclusive_scan_kernelIfLj37ELj37EENSt9enable_ifIXsr10test_utilsE35device_test_enabled_for_warp_size_vIXT1_EEEvE4typeEPT_S4_,"axG",@progbits,_Z26warp_inclusive_scan_kernelIfLj37ELj37EENSt9enable_ifIXsr10test_utilsE35device_test_enabled_for_warp_size_vIXT1_EEEvE4typeEPT_S4_,comdat
	.protected	_Z26warp_inclusive_scan_kernelIfLj37ELj37EENSt9enable_ifIXsr10test_utilsE35device_test_enabled_for_warp_size_vIXT1_EEEvE4typeEPT_S4_ ; -- Begin function _Z26warp_inclusive_scan_kernelIfLj37ELj37EENSt9enable_ifIXsr10test_utilsE35device_test_enabled_for_warp_size_vIXT1_EEEvE4typeEPT_S4_
	.globl	_Z26warp_inclusive_scan_kernelIfLj37ELj37EENSt9enable_ifIXsr10test_utilsE35device_test_enabled_for_warp_size_vIXT1_EEEvE4typeEPT_S4_
	.p2align	8
	.type	_Z26warp_inclusive_scan_kernelIfLj37ELj37EENSt9enable_ifIXsr10test_utilsE35device_test_enabled_for_warp_size_vIXT1_EEEvE4typeEPT_S4_,@function
_Z26warp_inclusive_scan_kernelIfLj37ELj37EENSt9enable_ifIXsr10test_utilsE35device_test_enabled_for_warp_size_vIXT1_EEEvE4typeEPT_S4_: ; @_Z26warp_inclusive_scan_kernelIfLj37ELj37EENSt9enable_ifIXsr10test_utilsE35device_test_enabled_for_warp_size_vIXT1_EEEvE4typeEPT_S4_
; %bb.0:
	s_load_dword s7, s[4:5], 0x1c
	s_load_dwordx4 s[0:3], s[4:5], 0x0
	v_mov_b32_e32 v2, 0
	s_waitcnt lgkmcnt(0)
	s_and_b32 s4, s7, 0xffff
	s_mul_i32 s6, s6, s4
	v_add_u32_e32 v1, s6, v0
	v_lshlrev_b64 v[1:2], 2, v[1:2]
	v_mov_b32_e32 v4, s1
	v_add_co_u32_e32 v3, vcc, s0, v1
	v_addc_co_u32_e32 v4, vcc, v4, v2, vcc
	global_load_dword v3, v[3:4], off
	v_mbcnt_lo_u32_b32 v4, -1, 0
	s_mov_b32 s0, 0x6eb3e46
	v_mbcnt_hi_u32_b32 v4, -1, v4
	v_mul_hi_u32 v5, v4, s0
	v_mul_u32_u24_e32 v0, 0x6ec, v0
	s_movk_i32 s0, 0x94
	v_lshrrev_b32_e32 v0, 16, v0
	v_mul_u32_u24_e32 v5, 37, v5
	v_sub_u32_e32 v4, v4, v5
	v_lshlrev_b32_e32 v5, 2, v4
	v_mad_u32_u24 v0, v0, s0, v5
	v_cmp_ne_u32_e32 vcc, 0, v4
	s_waitcnt vmcnt(0)
	ds_write_b32 v0, v3
	; wave barrier
	s_and_saveexec_b64 s[0:1], vcc
	s_cbranch_execz .LBB3_2
; %bb.1:
	v_add_u32_e32 v5, -4, v0
	ds_read_b32 v5, v5
	s_waitcnt lgkmcnt(0)
	v_add_f32_e32 v3, v3, v5
.LBB3_2:
	s_or_b64 exec, exec, s[0:1]
	; wave barrier
	s_and_saveexec_b64 s[0:1], vcc
; %bb.3:
	ds_write_b32 v0, v3
; %bb.4:
	s_or_b64 exec, exec, s[0:1]
	v_cmp_lt_u32_e32 vcc, 1, v4
	; wave barrier
	s_and_saveexec_b64 s[0:1], vcc
	s_cbranch_execz .LBB3_6
; %bb.5:
	v_add_u32_e32 v5, -8, v0
	ds_read_b32 v5, v5
	s_waitcnt lgkmcnt(0)
	v_add_f32_e32 v3, v3, v5
.LBB3_6:
	s_or_b64 exec, exec, s[0:1]
	; wave barrier
	s_and_saveexec_b64 s[0:1], vcc
; %bb.7:
	ds_write_b32 v0, v3
; %bb.8:
	s_or_b64 exec, exec, s[0:1]
	v_cmp_lt_u32_e32 vcc, 3, v4
	;; [unrolled: 17-line block ×3, first 2 shown]
	; wave barrier
	s_and_saveexec_b64 s[0:1], vcc
	s_cbranch_execz .LBB3_14
; %bb.13:
	v_subrev_u32_e32 v5, 32, v0
	ds_read_b32 v5, v5
	s_waitcnt lgkmcnt(0)
	v_add_f32_e32 v3, v3, v5
.LBB3_14:
	s_or_b64 exec, exec, s[0:1]
	; wave barrier
	s_and_saveexec_b64 s[0:1], vcc
; %bb.15:
	ds_write_b32 v0, v3
; %bb.16:
	s_or_b64 exec, exec, s[0:1]
	v_cmp_lt_u32_e32 vcc, 15, v4
	; wave barrier
	s_and_saveexec_b64 s[0:1], vcc
	s_cbranch_execz .LBB3_18
; %bb.17:
	v_subrev_u32_e32 v5, 64, v0
	ds_read_b32 v5, v5
	s_waitcnt lgkmcnt(0)
	v_add_f32_e32 v3, v3, v5
.LBB3_18:
	s_or_b64 exec, exec, s[0:1]
	; wave barrier
	s_and_saveexec_b64 s[0:1], vcc
; %bb.19:
	ds_write_b32 v0, v3
; %bb.20:
	s_or_b64 exec, exec, s[0:1]
	v_cmp_lt_u32_e32 vcc, 31, v4
	; wave barrier
	s_and_saveexec_b64 s[0:1], vcc
	s_cbranch_execz .LBB3_22
; %bb.21:
	v_add_u32_e32 v4, 0xffffff80, v0
	ds_read_b32 v4, v4
	s_waitcnt lgkmcnt(0)
	v_add_f32_e32 v3, v3, v4
.LBB3_22:
	s_or_b64 exec, exec, s[0:1]
	; wave barrier
	s_and_saveexec_b64 s[0:1], vcc
; %bb.23:
	ds_write_b32 v0, v3
; %bb.24:
	s_or_b64 exec, exec, s[0:1]
	v_mov_b32_e32 v4, s3
	v_add_co_u32_e32 v0, vcc, s2, v1
	v_addc_co_u32_e32 v1, vcc, v4, v2, vcc
	; wave barrier
	global_store_dword v[0:1], v3, off
	s_endpgm
	.section	.rodata,"a",@progbits
	.p2align	6, 0x0
	.amdhsa_kernel _Z26warp_inclusive_scan_kernelIfLj37ELj37EENSt9enable_ifIXsr10test_utilsE35device_test_enabled_for_warp_size_vIXT1_EEEvE4typeEPT_S4_
		.amdhsa_group_segment_fixed_size 148
		.amdhsa_private_segment_fixed_size 0
		.amdhsa_kernarg_size 272
		.amdhsa_user_sgpr_count 6
		.amdhsa_user_sgpr_private_segment_buffer 1
		.amdhsa_user_sgpr_dispatch_ptr 0
		.amdhsa_user_sgpr_queue_ptr 0
		.amdhsa_user_sgpr_kernarg_segment_ptr 1
		.amdhsa_user_sgpr_dispatch_id 0
		.amdhsa_user_sgpr_flat_scratch_init 0
		.amdhsa_user_sgpr_private_segment_size 0
		.amdhsa_uses_dynamic_stack 0
		.amdhsa_system_sgpr_private_segment_wavefront_offset 0
		.amdhsa_system_sgpr_workgroup_id_x 1
		.amdhsa_system_sgpr_workgroup_id_y 0
		.amdhsa_system_sgpr_workgroup_id_z 0
		.amdhsa_system_sgpr_workgroup_info 0
		.amdhsa_system_vgpr_workitem_id 0
		.amdhsa_next_free_vgpr 6
		.amdhsa_next_free_sgpr 8
		.amdhsa_reserve_vcc 1
		.amdhsa_reserve_flat_scratch 0
		.amdhsa_float_round_mode_32 0
		.amdhsa_float_round_mode_16_64 0
		.amdhsa_float_denorm_mode_32 3
		.amdhsa_float_denorm_mode_16_64 3
		.amdhsa_dx10_clamp 1
		.amdhsa_ieee_mode 1
		.amdhsa_fp16_overflow 0
		.amdhsa_exception_fp_ieee_invalid_op 0
		.amdhsa_exception_fp_denorm_src 0
		.amdhsa_exception_fp_ieee_div_zero 0
		.amdhsa_exception_fp_ieee_overflow 0
		.amdhsa_exception_fp_ieee_underflow 0
		.amdhsa_exception_fp_ieee_inexact 0
		.amdhsa_exception_int_div_zero 0
	.end_amdhsa_kernel
	.section	.text._Z26warp_inclusive_scan_kernelIfLj37ELj37EENSt9enable_ifIXsr10test_utilsE35device_test_enabled_for_warp_size_vIXT1_EEEvE4typeEPT_S4_,"axG",@progbits,_Z26warp_inclusive_scan_kernelIfLj37ELj37EENSt9enable_ifIXsr10test_utilsE35device_test_enabled_for_warp_size_vIXT1_EEEvE4typeEPT_S4_,comdat
.Lfunc_end3:
	.size	_Z26warp_inclusive_scan_kernelIfLj37ELj37EENSt9enable_ifIXsr10test_utilsE35device_test_enabled_for_warp_size_vIXT1_EEEvE4typeEPT_S4_, .Lfunc_end3-_Z26warp_inclusive_scan_kernelIfLj37ELj37EENSt9enable_ifIXsr10test_utilsE35device_test_enabled_for_warp_size_vIXT1_EEEvE4typeEPT_S4_
                                        ; -- End function
	.set _Z26warp_inclusive_scan_kernelIfLj37ELj37EENSt9enable_ifIXsr10test_utilsE35device_test_enabled_for_warp_size_vIXT1_EEEvE4typeEPT_S4_.num_vgpr, 6
	.set _Z26warp_inclusive_scan_kernelIfLj37ELj37EENSt9enable_ifIXsr10test_utilsE35device_test_enabled_for_warp_size_vIXT1_EEEvE4typeEPT_S4_.num_agpr, 0
	.set _Z26warp_inclusive_scan_kernelIfLj37ELj37EENSt9enable_ifIXsr10test_utilsE35device_test_enabled_for_warp_size_vIXT1_EEEvE4typeEPT_S4_.numbered_sgpr, 8
	.set _Z26warp_inclusive_scan_kernelIfLj37ELj37EENSt9enable_ifIXsr10test_utilsE35device_test_enabled_for_warp_size_vIXT1_EEEvE4typeEPT_S4_.num_named_barrier, 0
	.set _Z26warp_inclusive_scan_kernelIfLj37ELj37EENSt9enable_ifIXsr10test_utilsE35device_test_enabled_for_warp_size_vIXT1_EEEvE4typeEPT_S4_.private_seg_size, 0
	.set _Z26warp_inclusive_scan_kernelIfLj37ELj37EENSt9enable_ifIXsr10test_utilsE35device_test_enabled_for_warp_size_vIXT1_EEEvE4typeEPT_S4_.uses_vcc, 1
	.set _Z26warp_inclusive_scan_kernelIfLj37ELj37EENSt9enable_ifIXsr10test_utilsE35device_test_enabled_for_warp_size_vIXT1_EEEvE4typeEPT_S4_.uses_flat_scratch, 0
	.set _Z26warp_inclusive_scan_kernelIfLj37ELj37EENSt9enable_ifIXsr10test_utilsE35device_test_enabled_for_warp_size_vIXT1_EEEvE4typeEPT_S4_.has_dyn_sized_stack, 0
	.set _Z26warp_inclusive_scan_kernelIfLj37ELj37EENSt9enable_ifIXsr10test_utilsE35device_test_enabled_for_warp_size_vIXT1_EEEvE4typeEPT_S4_.has_recursion, 0
	.set _Z26warp_inclusive_scan_kernelIfLj37ELj37EENSt9enable_ifIXsr10test_utilsE35device_test_enabled_for_warp_size_vIXT1_EEEvE4typeEPT_S4_.has_indirect_call, 0
	.section	.AMDGPU.csdata,"",@progbits
; Kernel info:
; codeLenInByte = 488
; TotalNumSgprs: 12
; NumVgprs: 6
; ScratchSize: 0
; MemoryBound: 0
; FloatMode: 240
; IeeeMode: 1
; LDSByteSize: 148 bytes/workgroup (compile time only)
; SGPRBlocks: 1
; VGPRBlocks: 1
; NumSGPRsForWavesPerEU: 12
; NumVGPRsForWavesPerEU: 6
; Occupancy: 10
; WaveLimiterHint : 0
; COMPUTE_PGM_RSRC2:SCRATCH_EN: 0
; COMPUTE_PGM_RSRC2:USER_SGPR: 6
; COMPUTE_PGM_RSRC2:TRAP_HANDLER: 0
; COMPUTE_PGM_RSRC2:TGID_X_EN: 1
; COMPUTE_PGM_RSRC2:TGID_Y_EN: 0
; COMPUTE_PGM_RSRC2:TGID_Z_EN: 0
; COMPUTE_PGM_RSRC2:TIDIG_COMP_CNT: 0
	.section	.text._Z26warp_inclusive_scan_kernelIfLj30ELj15EENSt9enable_ifIXsr10test_utilsE35device_test_enabled_for_warp_size_vIXT1_EEEvE4typeEPT_S4_,"axG",@progbits,_Z26warp_inclusive_scan_kernelIfLj30ELj15EENSt9enable_ifIXsr10test_utilsE35device_test_enabled_for_warp_size_vIXT1_EEEvE4typeEPT_S4_,comdat
	.protected	_Z26warp_inclusive_scan_kernelIfLj30ELj15EENSt9enable_ifIXsr10test_utilsE35device_test_enabled_for_warp_size_vIXT1_EEEvE4typeEPT_S4_ ; -- Begin function _Z26warp_inclusive_scan_kernelIfLj30ELj15EENSt9enable_ifIXsr10test_utilsE35device_test_enabled_for_warp_size_vIXT1_EEEvE4typeEPT_S4_
	.globl	_Z26warp_inclusive_scan_kernelIfLj30ELj15EENSt9enable_ifIXsr10test_utilsE35device_test_enabled_for_warp_size_vIXT1_EEEvE4typeEPT_S4_
	.p2align	8
	.type	_Z26warp_inclusive_scan_kernelIfLj30ELj15EENSt9enable_ifIXsr10test_utilsE35device_test_enabled_for_warp_size_vIXT1_EEEvE4typeEPT_S4_,@function
_Z26warp_inclusive_scan_kernelIfLj30ELj15EENSt9enable_ifIXsr10test_utilsE35device_test_enabled_for_warp_size_vIXT1_EEEvE4typeEPT_S4_: ; @_Z26warp_inclusive_scan_kernelIfLj30ELj15EENSt9enable_ifIXsr10test_utilsE35device_test_enabled_for_warp_size_vIXT1_EEEvE4typeEPT_S4_
; %bb.0:
	s_load_dword s7, s[4:5], 0x1c
	s_load_dwordx4 s[0:3], s[4:5], 0x0
	v_mov_b32_e32 v2, 0
	s_waitcnt lgkmcnt(0)
	s_and_b32 s4, s7, 0xffff
	s_mul_i32 s6, s6, s4
	v_add_u32_e32 v1, s6, v0
	v_lshlrev_b64 v[1:2], 2, v[1:2]
	v_mov_b32_e32 v4, s1
	v_add_co_u32_e32 v3, vcc, s0, v1
	v_addc_co_u32_e32 v4, vcc, v4, v2, vcc
	global_load_dword v3, v[3:4], off
	v_mbcnt_lo_u32_b32 v4, -1, 0
	s_mov_b32 s0, 0x11111112
	v_mbcnt_hi_u32_b32 v4, -1, v4
	v_mul_hi_u32 v5, v4, s0
	v_mul_u32_u24_e32 v0, 0x1112, v0
	v_lshrrev_b32_e32 v0, 16, v0
	v_mul_u32_u24_e32 v5, 15, v5
	v_sub_u32_e32 v4, v4, v5
	v_lshlrev_b32_e32 v5, 2, v4
	v_mad_u32_u24 v0, v0, 60, v5
	v_cmp_ne_u32_e32 vcc, 0, v4
	s_waitcnt vmcnt(0)
	ds_write_b32 v0, v3
	; wave barrier
	s_and_saveexec_b64 s[0:1], vcc
	s_cbranch_execz .LBB4_2
; %bb.1:
	v_add_u32_e32 v5, -4, v0
	ds_read_b32 v5, v5
	s_waitcnt lgkmcnt(0)
	v_add_f32_e32 v3, v3, v5
.LBB4_2:
	s_or_b64 exec, exec, s[0:1]
	; wave barrier
	s_and_saveexec_b64 s[0:1], vcc
; %bb.3:
	ds_write_b32 v0, v3
; %bb.4:
	s_or_b64 exec, exec, s[0:1]
	v_cmp_lt_u32_e32 vcc, 1, v4
	; wave barrier
	s_and_saveexec_b64 s[0:1], vcc
	s_cbranch_execz .LBB4_6
; %bb.5:
	v_add_u32_e32 v5, -8, v0
	ds_read_b32 v5, v5
	s_waitcnt lgkmcnt(0)
	v_add_f32_e32 v3, v3, v5
.LBB4_6:
	s_or_b64 exec, exec, s[0:1]
	; wave barrier
	s_and_saveexec_b64 s[0:1], vcc
; %bb.7:
	ds_write_b32 v0, v3
; %bb.8:
	s_or_b64 exec, exec, s[0:1]
	v_cmp_lt_u32_e32 vcc, 3, v4
	;; [unrolled: 17-line block ×3, first 2 shown]
	; wave barrier
	s_and_saveexec_b64 s[0:1], vcc
	s_cbranch_execz .LBB4_14
; %bb.13:
	v_subrev_u32_e32 v4, 32, v0
	ds_read_b32 v4, v4
	s_waitcnt lgkmcnt(0)
	v_add_f32_e32 v3, v3, v4
.LBB4_14:
	s_or_b64 exec, exec, s[0:1]
	; wave barrier
	s_and_saveexec_b64 s[0:1], vcc
; %bb.15:
	ds_write_b32 v0, v3
; %bb.16:
	s_or_b64 exec, exec, s[0:1]
	v_mov_b32_e32 v4, s3
	v_add_co_u32_e32 v0, vcc, s2, v1
	v_addc_co_u32_e32 v1, vcc, v4, v2, vcc
	; wave barrier
	global_store_dword v[0:1], v3, off
	s_endpgm
	.section	.rodata,"a",@progbits
	.p2align	6, 0x0
	.amdhsa_kernel _Z26warp_inclusive_scan_kernelIfLj30ELj15EENSt9enable_ifIXsr10test_utilsE35device_test_enabled_for_warp_size_vIXT1_EEEvE4typeEPT_S4_
		.amdhsa_group_segment_fixed_size 120
		.amdhsa_private_segment_fixed_size 0
		.amdhsa_kernarg_size 272
		.amdhsa_user_sgpr_count 6
		.amdhsa_user_sgpr_private_segment_buffer 1
		.amdhsa_user_sgpr_dispatch_ptr 0
		.amdhsa_user_sgpr_queue_ptr 0
		.amdhsa_user_sgpr_kernarg_segment_ptr 1
		.amdhsa_user_sgpr_dispatch_id 0
		.amdhsa_user_sgpr_flat_scratch_init 0
		.amdhsa_user_sgpr_private_segment_size 0
		.amdhsa_uses_dynamic_stack 0
		.amdhsa_system_sgpr_private_segment_wavefront_offset 0
		.amdhsa_system_sgpr_workgroup_id_x 1
		.amdhsa_system_sgpr_workgroup_id_y 0
		.amdhsa_system_sgpr_workgroup_id_z 0
		.amdhsa_system_sgpr_workgroup_info 0
		.amdhsa_system_vgpr_workitem_id 0
		.amdhsa_next_free_vgpr 6
		.amdhsa_next_free_sgpr 8
		.amdhsa_reserve_vcc 1
		.amdhsa_reserve_flat_scratch 0
		.amdhsa_float_round_mode_32 0
		.amdhsa_float_round_mode_16_64 0
		.amdhsa_float_denorm_mode_32 3
		.amdhsa_float_denorm_mode_16_64 3
		.amdhsa_dx10_clamp 1
		.amdhsa_ieee_mode 1
		.amdhsa_fp16_overflow 0
		.amdhsa_exception_fp_ieee_invalid_op 0
		.amdhsa_exception_fp_denorm_src 0
		.amdhsa_exception_fp_ieee_div_zero 0
		.amdhsa_exception_fp_ieee_overflow 0
		.amdhsa_exception_fp_ieee_underflow 0
		.amdhsa_exception_fp_ieee_inexact 0
		.amdhsa_exception_int_div_zero 0
	.end_amdhsa_kernel
	.section	.text._Z26warp_inclusive_scan_kernelIfLj30ELj15EENSt9enable_ifIXsr10test_utilsE35device_test_enabled_for_warp_size_vIXT1_EEEvE4typeEPT_S4_,"axG",@progbits,_Z26warp_inclusive_scan_kernelIfLj30ELj15EENSt9enable_ifIXsr10test_utilsE35device_test_enabled_for_warp_size_vIXT1_EEEvE4typeEPT_S4_,comdat
.Lfunc_end4:
	.size	_Z26warp_inclusive_scan_kernelIfLj30ELj15EENSt9enable_ifIXsr10test_utilsE35device_test_enabled_for_warp_size_vIXT1_EEEvE4typeEPT_S4_, .Lfunc_end4-_Z26warp_inclusive_scan_kernelIfLj30ELj15EENSt9enable_ifIXsr10test_utilsE35device_test_enabled_for_warp_size_vIXT1_EEEvE4typeEPT_S4_
                                        ; -- End function
	.set _Z26warp_inclusive_scan_kernelIfLj30ELj15EENSt9enable_ifIXsr10test_utilsE35device_test_enabled_for_warp_size_vIXT1_EEEvE4typeEPT_S4_.num_vgpr, 6
	.set _Z26warp_inclusive_scan_kernelIfLj30ELj15EENSt9enable_ifIXsr10test_utilsE35device_test_enabled_for_warp_size_vIXT1_EEEvE4typeEPT_S4_.num_agpr, 0
	.set _Z26warp_inclusive_scan_kernelIfLj30ELj15EENSt9enable_ifIXsr10test_utilsE35device_test_enabled_for_warp_size_vIXT1_EEEvE4typeEPT_S4_.numbered_sgpr, 8
	.set _Z26warp_inclusive_scan_kernelIfLj30ELj15EENSt9enable_ifIXsr10test_utilsE35device_test_enabled_for_warp_size_vIXT1_EEEvE4typeEPT_S4_.num_named_barrier, 0
	.set _Z26warp_inclusive_scan_kernelIfLj30ELj15EENSt9enable_ifIXsr10test_utilsE35device_test_enabled_for_warp_size_vIXT1_EEEvE4typeEPT_S4_.private_seg_size, 0
	.set _Z26warp_inclusive_scan_kernelIfLj30ELj15EENSt9enable_ifIXsr10test_utilsE35device_test_enabled_for_warp_size_vIXT1_EEEvE4typeEPT_S4_.uses_vcc, 1
	.set _Z26warp_inclusive_scan_kernelIfLj30ELj15EENSt9enable_ifIXsr10test_utilsE35device_test_enabled_for_warp_size_vIXT1_EEEvE4typeEPT_S4_.uses_flat_scratch, 0
	.set _Z26warp_inclusive_scan_kernelIfLj30ELj15EENSt9enable_ifIXsr10test_utilsE35device_test_enabled_for_warp_size_vIXT1_EEEvE4typeEPT_S4_.has_dyn_sized_stack, 0
	.set _Z26warp_inclusive_scan_kernelIfLj30ELj15EENSt9enable_ifIXsr10test_utilsE35device_test_enabled_for_warp_size_vIXT1_EEEvE4typeEPT_S4_.has_recursion, 0
	.set _Z26warp_inclusive_scan_kernelIfLj30ELj15EENSt9enable_ifIXsr10test_utilsE35device_test_enabled_for_warp_size_vIXT1_EEEvE4typeEPT_S4_.has_indirect_call, 0
	.section	.AMDGPU.csdata,"",@progbits
; Kernel info:
; codeLenInByte = 376
; TotalNumSgprs: 12
; NumVgprs: 6
; ScratchSize: 0
; MemoryBound: 0
; FloatMode: 240
; IeeeMode: 1
; LDSByteSize: 120 bytes/workgroup (compile time only)
; SGPRBlocks: 1
; VGPRBlocks: 1
; NumSGPRsForWavesPerEU: 12
; NumVGPRsForWavesPerEU: 6
; Occupancy: 10
; WaveLimiterHint : 0
; COMPUTE_PGM_RSRC2:SCRATCH_EN: 0
; COMPUTE_PGM_RSRC2:USER_SGPR: 6
; COMPUTE_PGM_RSRC2:TRAP_HANDLER: 0
; COMPUTE_PGM_RSRC2:TGID_X_EN: 1
; COMPUTE_PGM_RSRC2:TGID_Y_EN: 0
; COMPUTE_PGM_RSRC2:TGID_Z_EN: 0
; COMPUTE_PGM_RSRC2:TIDIG_COMP_CNT: 0
	.section	.text._Z26warp_inclusive_scan_kernelIfLj60ELj15EENSt9enable_ifIXsr10test_utilsE35device_test_enabled_for_warp_size_vIXT1_EEEvE4typeEPT_S4_,"axG",@progbits,_Z26warp_inclusive_scan_kernelIfLj60ELj15EENSt9enable_ifIXsr10test_utilsE35device_test_enabled_for_warp_size_vIXT1_EEEvE4typeEPT_S4_,comdat
	.protected	_Z26warp_inclusive_scan_kernelIfLj60ELj15EENSt9enable_ifIXsr10test_utilsE35device_test_enabled_for_warp_size_vIXT1_EEEvE4typeEPT_S4_ ; -- Begin function _Z26warp_inclusive_scan_kernelIfLj60ELj15EENSt9enable_ifIXsr10test_utilsE35device_test_enabled_for_warp_size_vIXT1_EEEvE4typeEPT_S4_
	.globl	_Z26warp_inclusive_scan_kernelIfLj60ELj15EENSt9enable_ifIXsr10test_utilsE35device_test_enabled_for_warp_size_vIXT1_EEEvE4typeEPT_S4_
	.p2align	8
	.type	_Z26warp_inclusive_scan_kernelIfLj60ELj15EENSt9enable_ifIXsr10test_utilsE35device_test_enabled_for_warp_size_vIXT1_EEEvE4typeEPT_S4_,@function
_Z26warp_inclusive_scan_kernelIfLj60ELj15EENSt9enable_ifIXsr10test_utilsE35device_test_enabled_for_warp_size_vIXT1_EEEvE4typeEPT_S4_: ; @_Z26warp_inclusive_scan_kernelIfLj60ELj15EENSt9enable_ifIXsr10test_utilsE35device_test_enabled_for_warp_size_vIXT1_EEEvE4typeEPT_S4_
; %bb.0:
	s_load_dword s7, s[4:5], 0x1c
	s_load_dwordx4 s[0:3], s[4:5], 0x0
	v_mov_b32_e32 v2, 0
	s_waitcnt lgkmcnt(0)
	s_and_b32 s4, s7, 0xffff
	s_mul_i32 s6, s6, s4
	v_add_u32_e32 v1, s6, v0
	v_lshlrev_b64 v[1:2], 2, v[1:2]
	v_mov_b32_e32 v4, s1
	v_add_co_u32_e32 v3, vcc, s0, v1
	v_addc_co_u32_e32 v4, vcc, v4, v2, vcc
	global_load_dword v3, v[3:4], off
	v_mbcnt_lo_u32_b32 v4, -1, 0
	s_mov_b32 s0, 0x11111112
	v_mbcnt_hi_u32_b32 v4, -1, v4
	v_mul_hi_u32 v5, v4, s0
	v_mul_u32_u24_e32 v0, 0x1112, v0
	v_lshrrev_b32_e32 v0, 16, v0
	v_mul_u32_u24_e32 v5, 15, v5
	v_sub_u32_e32 v4, v4, v5
	v_lshlrev_b32_e32 v5, 2, v4
	v_mad_u32_u24 v0, v0, 60, v5
	v_cmp_ne_u32_e32 vcc, 0, v4
	s_waitcnt vmcnt(0)
	ds_write_b32 v0, v3
	; wave barrier
	s_and_saveexec_b64 s[0:1], vcc
	s_cbranch_execz .LBB5_2
; %bb.1:
	v_add_u32_e32 v5, -4, v0
	ds_read_b32 v5, v5
	s_waitcnt lgkmcnt(0)
	v_add_f32_e32 v3, v3, v5
.LBB5_2:
	s_or_b64 exec, exec, s[0:1]
	; wave barrier
	s_and_saveexec_b64 s[0:1], vcc
; %bb.3:
	ds_write_b32 v0, v3
; %bb.4:
	s_or_b64 exec, exec, s[0:1]
	v_cmp_lt_u32_e32 vcc, 1, v4
	; wave barrier
	s_and_saveexec_b64 s[0:1], vcc
	s_cbranch_execz .LBB5_6
; %bb.5:
	v_add_u32_e32 v5, -8, v0
	ds_read_b32 v5, v5
	s_waitcnt lgkmcnt(0)
	v_add_f32_e32 v3, v3, v5
.LBB5_6:
	s_or_b64 exec, exec, s[0:1]
	; wave barrier
	s_and_saveexec_b64 s[0:1], vcc
; %bb.7:
	ds_write_b32 v0, v3
; %bb.8:
	s_or_b64 exec, exec, s[0:1]
	v_cmp_lt_u32_e32 vcc, 3, v4
	;; [unrolled: 17-line block ×3, first 2 shown]
	; wave barrier
	s_and_saveexec_b64 s[0:1], vcc
	s_cbranch_execz .LBB5_14
; %bb.13:
	v_subrev_u32_e32 v4, 32, v0
	ds_read_b32 v4, v4
	s_waitcnt lgkmcnt(0)
	v_add_f32_e32 v3, v3, v4
.LBB5_14:
	s_or_b64 exec, exec, s[0:1]
	; wave barrier
	s_and_saveexec_b64 s[0:1], vcc
; %bb.15:
	ds_write_b32 v0, v3
; %bb.16:
	s_or_b64 exec, exec, s[0:1]
	v_mov_b32_e32 v4, s3
	v_add_co_u32_e32 v0, vcc, s2, v1
	v_addc_co_u32_e32 v1, vcc, v4, v2, vcc
	; wave barrier
	global_store_dword v[0:1], v3, off
	s_endpgm
	.section	.rodata,"a",@progbits
	.p2align	6, 0x0
	.amdhsa_kernel _Z26warp_inclusive_scan_kernelIfLj60ELj15EENSt9enable_ifIXsr10test_utilsE35device_test_enabled_for_warp_size_vIXT1_EEEvE4typeEPT_S4_
		.amdhsa_group_segment_fixed_size 240
		.amdhsa_private_segment_fixed_size 0
		.amdhsa_kernarg_size 272
		.amdhsa_user_sgpr_count 6
		.amdhsa_user_sgpr_private_segment_buffer 1
		.amdhsa_user_sgpr_dispatch_ptr 0
		.amdhsa_user_sgpr_queue_ptr 0
		.amdhsa_user_sgpr_kernarg_segment_ptr 1
		.amdhsa_user_sgpr_dispatch_id 0
		.amdhsa_user_sgpr_flat_scratch_init 0
		.amdhsa_user_sgpr_private_segment_size 0
		.amdhsa_uses_dynamic_stack 0
		.amdhsa_system_sgpr_private_segment_wavefront_offset 0
		.amdhsa_system_sgpr_workgroup_id_x 1
		.amdhsa_system_sgpr_workgroup_id_y 0
		.amdhsa_system_sgpr_workgroup_id_z 0
		.amdhsa_system_sgpr_workgroup_info 0
		.amdhsa_system_vgpr_workitem_id 0
		.amdhsa_next_free_vgpr 6
		.amdhsa_next_free_sgpr 8
		.amdhsa_reserve_vcc 1
		.amdhsa_reserve_flat_scratch 0
		.amdhsa_float_round_mode_32 0
		.amdhsa_float_round_mode_16_64 0
		.amdhsa_float_denorm_mode_32 3
		.amdhsa_float_denorm_mode_16_64 3
		.amdhsa_dx10_clamp 1
		.amdhsa_ieee_mode 1
		.amdhsa_fp16_overflow 0
		.amdhsa_exception_fp_ieee_invalid_op 0
		.amdhsa_exception_fp_denorm_src 0
		.amdhsa_exception_fp_ieee_div_zero 0
		.amdhsa_exception_fp_ieee_overflow 0
		.amdhsa_exception_fp_ieee_underflow 0
		.amdhsa_exception_fp_ieee_inexact 0
		.amdhsa_exception_int_div_zero 0
	.end_amdhsa_kernel
	.section	.text._Z26warp_inclusive_scan_kernelIfLj60ELj15EENSt9enable_ifIXsr10test_utilsE35device_test_enabled_for_warp_size_vIXT1_EEEvE4typeEPT_S4_,"axG",@progbits,_Z26warp_inclusive_scan_kernelIfLj60ELj15EENSt9enable_ifIXsr10test_utilsE35device_test_enabled_for_warp_size_vIXT1_EEEvE4typeEPT_S4_,comdat
.Lfunc_end5:
	.size	_Z26warp_inclusive_scan_kernelIfLj60ELj15EENSt9enable_ifIXsr10test_utilsE35device_test_enabled_for_warp_size_vIXT1_EEEvE4typeEPT_S4_, .Lfunc_end5-_Z26warp_inclusive_scan_kernelIfLj60ELj15EENSt9enable_ifIXsr10test_utilsE35device_test_enabled_for_warp_size_vIXT1_EEEvE4typeEPT_S4_
                                        ; -- End function
	.set _Z26warp_inclusive_scan_kernelIfLj60ELj15EENSt9enable_ifIXsr10test_utilsE35device_test_enabled_for_warp_size_vIXT1_EEEvE4typeEPT_S4_.num_vgpr, 6
	.set _Z26warp_inclusive_scan_kernelIfLj60ELj15EENSt9enable_ifIXsr10test_utilsE35device_test_enabled_for_warp_size_vIXT1_EEEvE4typeEPT_S4_.num_agpr, 0
	.set _Z26warp_inclusive_scan_kernelIfLj60ELj15EENSt9enable_ifIXsr10test_utilsE35device_test_enabled_for_warp_size_vIXT1_EEEvE4typeEPT_S4_.numbered_sgpr, 8
	.set _Z26warp_inclusive_scan_kernelIfLj60ELj15EENSt9enable_ifIXsr10test_utilsE35device_test_enabled_for_warp_size_vIXT1_EEEvE4typeEPT_S4_.num_named_barrier, 0
	.set _Z26warp_inclusive_scan_kernelIfLj60ELj15EENSt9enable_ifIXsr10test_utilsE35device_test_enabled_for_warp_size_vIXT1_EEEvE4typeEPT_S4_.private_seg_size, 0
	.set _Z26warp_inclusive_scan_kernelIfLj60ELj15EENSt9enable_ifIXsr10test_utilsE35device_test_enabled_for_warp_size_vIXT1_EEEvE4typeEPT_S4_.uses_vcc, 1
	.set _Z26warp_inclusive_scan_kernelIfLj60ELj15EENSt9enable_ifIXsr10test_utilsE35device_test_enabled_for_warp_size_vIXT1_EEEvE4typeEPT_S4_.uses_flat_scratch, 0
	.set _Z26warp_inclusive_scan_kernelIfLj60ELj15EENSt9enable_ifIXsr10test_utilsE35device_test_enabled_for_warp_size_vIXT1_EEEvE4typeEPT_S4_.has_dyn_sized_stack, 0
	.set _Z26warp_inclusive_scan_kernelIfLj60ELj15EENSt9enable_ifIXsr10test_utilsE35device_test_enabled_for_warp_size_vIXT1_EEEvE4typeEPT_S4_.has_recursion, 0
	.set _Z26warp_inclusive_scan_kernelIfLj60ELj15EENSt9enable_ifIXsr10test_utilsE35device_test_enabled_for_warp_size_vIXT1_EEEvE4typeEPT_S4_.has_indirect_call, 0
	.section	.AMDGPU.csdata,"",@progbits
; Kernel info:
; codeLenInByte = 376
; TotalNumSgprs: 12
; NumVgprs: 6
; ScratchSize: 0
; MemoryBound: 0
; FloatMode: 240
; IeeeMode: 1
; LDSByteSize: 240 bytes/workgroup (compile time only)
; SGPRBlocks: 1
; VGPRBlocks: 1
; NumSGPRsForWavesPerEU: 12
; NumVGPRsForWavesPerEU: 6
; Occupancy: 10
; WaveLimiterHint : 0
; COMPUTE_PGM_RSRC2:SCRATCH_EN: 0
; COMPUTE_PGM_RSRC2:USER_SGPR: 6
; COMPUTE_PGM_RSRC2:TRAP_HANDLER: 0
; COMPUTE_PGM_RSRC2:TGID_X_EN: 1
; COMPUTE_PGM_RSRC2:TGID_Y_EN: 0
; COMPUTE_PGM_RSRC2:TGID_Z_EN: 0
; COMPUTE_PGM_RSRC2:TIDIG_COMP_CNT: 0
	.section	.text._Z26warp_inclusive_scan_kernelIfLj28ELj7EENSt9enable_ifIXsr10test_utilsE35device_test_enabled_for_warp_size_vIXT1_EEEvE4typeEPT_S4_,"axG",@progbits,_Z26warp_inclusive_scan_kernelIfLj28ELj7EENSt9enable_ifIXsr10test_utilsE35device_test_enabled_for_warp_size_vIXT1_EEEvE4typeEPT_S4_,comdat
	.protected	_Z26warp_inclusive_scan_kernelIfLj28ELj7EENSt9enable_ifIXsr10test_utilsE35device_test_enabled_for_warp_size_vIXT1_EEEvE4typeEPT_S4_ ; -- Begin function _Z26warp_inclusive_scan_kernelIfLj28ELj7EENSt9enable_ifIXsr10test_utilsE35device_test_enabled_for_warp_size_vIXT1_EEEvE4typeEPT_S4_
	.globl	_Z26warp_inclusive_scan_kernelIfLj28ELj7EENSt9enable_ifIXsr10test_utilsE35device_test_enabled_for_warp_size_vIXT1_EEEvE4typeEPT_S4_
	.p2align	8
	.type	_Z26warp_inclusive_scan_kernelIfLj28ELj7EENSt9enable_ifIXsr10test_utilsE35device_test_enabled_for_warp_size_vIXT1_EEEvE4typeEPT_S4_,@function
_Z26warp_inclusive_scan_kernelIfLj28ELj7EENSt9enable_ifIXsr10test_utilsE35device_test_enabled_for_warp_size_vIXT1_EEEvE4typeEPT_S4_: ; @_Z26warp_inclusive_scan_kernelIfLj28ELj7EENSt9enable_ifIXsr10test_utilsE35device_test_enabled_for_warp_size_vIXT1_EEEvE4typeEPT_S4_
; %bb.0:
	s_load_dword s7, s[4:5], 0x1c
	s_load_dwordx4 s[0:3], s[4:5], 0x0
	v_mov_b32_e32 v2, 0
	s_waitcnt lgkmcnt(0)
	s_and_b32 s4, s7, 0xffff
	s_mul_i32 s6, s6, s4
	v_add_u32_e32 v1, s6, v0
	v_lshlrev_b64 v[1:2], 2, v[1:2]
	v_mov_b32_e32 v4, s1
	v_add_co_u32_e32 v3, vcc, s0, v1
	v_addc_co_u32_e32 v4, vcc, v4, v2, vcc
	global_load_dword v3, v[3:4], off
	v_mbcnt_lo_u32_b32 v4, -1, 0
	s_mov_b32 s0, 0x24924925
	v_mbcnt_hi_u32_b32 v4, -1, v4
	v_mul_hi_u32 v5, v4, s0
	v_mul_u32_u24_e32 v0, 0x2493, v0
	v_lshrrev_b32_e32 v0, 16, v0
	v_mul_u32_u24_e32 v5, 7, v5
	v_sub_u32_e32 v4, v4, v5
	v_lshlrev_b32_e32 v5, 2, v4
	v_mad_u32_u24 v0, v0, 28, v5
	v_cmp_ne_u32_e32 vcc, 0, v4
	s_waitcnt vmcnt(0)
	ds_write_b32 v0, v3
	; wave barrier
	s_and_saveexec_b64 s[0:1], vcc
	s_cbranch_execz .LBB6_2
; %bb.1:
	v_add_u32_e32 v5, -4, v0
	ds_read_b32 v5, v5
	s_waitcnt lgkmcnt(0)
	v_add_f32_e32 v3, v3, v5
.LBB6_2:
	s_or_b64 exec, exec, s[0:1]
	; wave barrier
	s_and_saveexec_b64 s[0:1], vcc
; %bb.3:
	ds_write_b32 v0, v3
; %bb.4:
	s_or_b64 exec, exec, s[0:1]
	v_cmp_lt_u32_e32 vcc, 1, v4
	; wave barrier
	s_and_saveexec_b64 s[0:1], vcc
	s_cbranch_execz .LBB6_6
; %bb.5:
	v_add_u32_e32 v5, -8, v0
	ds_read_b32 v5, v5
	s_waitcnt lgkmcnt(0)
	v_add_f32_e32 v3, v3, v5
.LBB6_6:
	s_or_b64 exec, exec, s[0:1]
	; wave barrier
	s_and_saveexec_b64 s[0:1], vcc
; %bb.7:
	ds_write_b32 v0, v3
; %bb.8:
	s_or_b64 exec, exec, s[0:1]
	v_cmp_lt_u32_e32 vcc, 3, v4
	; wave barrier
	s_and_saveexec_b64 s[0:1], vcc
	s_cbranch_execz .LBB6_10
; %bb.9:
	v_add_u32_e32 v4, -16, v0
	ds_read_b32 v4, v4
	s_waitcnt lgkmcnt(0)
	v_add_f32_e32 v3, v3, v4
.LBB6_10:
	s_or_b64 exec, exec, s[0:1]
	; wave barrier
	s_and_saveexec_b64 s[0:1], vcc
; %bb.11:
	ds_write_b32 v0, v3
; %bb.12:
	s_or_b64 exec, exec, s[0:1]
	v_mov_b32_e32 v4, s3
	v_add_co_u32_e32 v0, vcc, s2, v1
	v_addc_co_u32_e32 v1, vcc, v4, v2, vcc
	; wave barrier
	global_store_dword v[0:1], v3, off
	s_endpgm
	.section	.rodata,"a",@progbits
	.p2align	6, 0x0
	.amdhsa_kernel _Z26warp_inclusive_scan_kernelIfLj28ELj7EENSt9enable_ifIXsr10test_utilsE35device_test_enabled_for_warp_size_vIXT1_EEEvE4typeEPT_S4_
		.amdhsa_group_segment_fixed_size 112
		.amdhsa_private_segment_fixed_size 0
		.amdhsa_kernarg_size 272
		.amdhsa_user_sgpr_count 6
		.amdhsa_user_sgpr_private_segment_buffer 1
		.amdhsa_user_sgpr_dispatch_ptr 0
		.amdhsa_user_sgpr_queue_ptr 0
		.amdhsa_user_sgpr_kernarg_segment_ptr 1
		.amdhsa_user_sgpr_dispatch_id 0
		.amdhsa_user_sgpr_flat_scratch_init 0
		.amdhsa_user_sgpr_private_segment_size 0
		.amdhsa_uses_dynamic_stack 0
		.amdhsa_system_sgpr_private_segment_wavefront_offset 0
		.amdhsa_system_sgpr_workgroup_id_x 1
		.amdhsa_system_sgpr_workgroup_id_y 0
		.amdhsa_system_sgpr_workgroup_id_z 0
		.amdhsa_system_sgpr_workgroup_info 0
		.amdhsa_system_vgpr_workitem_id 0
		.amdhsa_next_free_vgpr 6
		.amdhsa_next_free_sgpr 8
		.amdhsa_reserve_vcc 1
		.amdhsa_reserve_flat_scratch 0
		.amdhsa_float_round_mode_32 0
		.amdhsa_float_round_mode_16_64 0
		.amdhsa_float_denorm_mode_32 3
		.amdhsa_float_denorm_mode_16_64 3
		.amdhsa_dx10_clamp 1
		.amdhsa_ieee_mode 1
		.amdhsa_fp16_overflow 0
		.amdhsa_exception_fp_ieee_invalid_op 0
		.amdhsa_exception_fp_denorm_src 0
		.amdhsa_exception_fp_ieee_div_zero 0
		.amdhsa_exception_fp_ieee_overflow 0
		.amdhsa_exception_fp_ieee_underflow 0
		.amdhsa_exception_fp_ieee_inexact 0
		.amdhsa_exception_int_div_zero 0
	.end_amdhsa_kernel
	.section	.text._Z26warp_inclusive_scan_kernelIfLj28ELj7EENSt9enable_ifIXsr10test_utilsE35device_test_enabled_for_warp_size_vIXT1_EEEvE4typeEPT_S4_,"axG",@progbits,_Z26warp_inclusive_scan_kernelIfLj28ELj7EENSt9enable_ifIXsr10test_utilsE35device_test_enabled_for_warp_size_vIXT1_EEEvE4typeEPT_S4_,comdat
.Lfunc_end6:
	.size	_Z26warp_inclusive_scan_kernelIfLj28ELj7EENSt9enable_ifIXsr10test_utilsE35device_test_enabled_for_warp_size_vIXT1_EEEvE4typeEPT_S4_, .Lfunc_end6-_Z26warp_inclusive_scan_kernelIfLj28ELj7EENSt9enable_ifIXsr10test_utilsE35device_test_enabled_for_warp_size_vIXT1_EEEvE4typeEPT_S4_
                                        ; -- End function
	.set _Z26warp_inclusive_scan_kernelIfLj28ELj7EENSt9enable_ifIXsr10test_utilsE35device_test_enabled_for_warp_size_vIXT1_EEEvE4typeEPT_S4_.num_vgpr, 6
	.set _Z26warp_inclusive_scan_kernelIfLj28ELj7EENSt9enable_ifIXsr10test_utilsE35device_test_enabled_for_warp_size_vIXT1_EEEvE4typeEPT_S4_.num_agpr, 0
	.set _Z26warp_inclusive_scan_kernelIfLj28ELj7EENSt9enable_ifIXsr10test_utilsE35device_test_enabled_for_warp_size_vIXT1_EEEvE4typeEPT_S4_.numbered_sgpr, 8
	.set _Z26warp_inclusive_scan_kernelIfLj28ELj7EENSt9enable_ifIXsr10test_utilsE35device_test_enabled_for_warp_size_vIXT1_EEEvE4typeEPT_S4_.num_named_barrier, 0
	.set _Z26warp_inclusive_scan_kernelIfLj28ELj7EENSt9enable_ifIXsr10test_utilsE35device_test_enabled_for_warp_size_vIXT1_EEEvE4typeEPT_S4_.private_seg_size, 0
	.set _Z26warp_inclusive_scan_kernelIfLj28ELj7EENSt9enable_ifIXsr10test_utilsE35device_test_enabled_for_warp_size_vIXT1_EEEvE4typeEPT_S4_.uses_vcc, 1
	.set _Z26warp_inclusive_scan_kernelIfLj28ELj7EENSt9enable_ifIXsr10test_utilsE35device_test_enabled_for_warp_size_vIXT1_EEEvE4typeEPT_S4_.uses_flat_scratch, 0
	.set _Z26warp_inclusive_scan_kernelIfLj28ELj7EENSt9enable_ifIXsr10test_utilsE35device_test_enabled_for_warp_size_vIXT1_EEEvE4typeEPT_S4_.has_dyn_sized_stack, 0
	.set _Z26warp_inclusive_scan_kernelIfLj28ELj7EENSt9enable_ifIXsr10test_utilsE35device_test_enabled_for_warp_size_vIXT1_EEEvE4typeEPT_S4_.has_recursion, 0
	.set _Z26warp_inclusive_scan_kernelIfLj28ELj7EENSt9enable_ifIXsr10test_utilsE35device_test_enabled_for_warp_size_vIXT1_EEEvE4typeEPT_S4_.has_indirect_call, 0
	.section	.AMDGPU.csdata,"",@progbits
; Kernel info:
; codeLenInByte = 324
; TotalNumSgprs: 12
; NumVgprs: 6
; ScratchSize: 0
; MemoryBound: 0
; FloatMode: 240
; IeeeMode: 1
; LDSByteSize: 112 bytes/workgroup (compile time only)
; SGPRBlocks: 1
; VGPRBlocks: 1
; NumSGPRsForWavesPerEU: 12
; NumVGPRsForWavesPerEU: 6
; Occupancy: 10
; WaveLimiterHint : 0
; COMPUTE_PGM_RSRC2:SCRATCH_EN: 0
; COMPUTE_PGM_RSRC2:USER_SGPR: 6
; COMPUTE_PGM_RSRC2:TRAP_HANDLER: 0
; COMPUTE_PGM_RSRC2:TGID_X_EN: 1
; COMPUTE_PGM_RSRC2:TGID_Y_EN: 0
; COMPUTE_PGM_RSRC2:TGID_Z_EN: 0
; COMPUTE_PGM_RSRC2:TIDIG_COMP_CNT: 0
	.section	.text._Z26warp_inclusive_scan_kernelIfLj63ELj7EENSt9enable_ifIXsr10test_utilsE35device_test_enabled_for_warp_size_vIXT1_EEEvE4typeEPT_S4_,"axG",@progbits,_Z26warp_inclusive_scan_kernelIfLj63ELj7EENSt9enable_ifIXsr10test_utilsE35device_test_enabled_for_warp_size_vIXT1_EEEvE4typeEPT_S4_,comdat
	.protected	_Z26warp_inclusive_scan_kernelIfLj63ELj7EENSt9enable_ifIXsr10test_utilsE35device_test_enabled_for_warp_size_vIXT1_EEEvE4typeEPT_S4_ ; -- Begin function _Z26warp_inclusive_scan_kernelIfLj63ELj7EENSt9enable_ifIXsr10test_utilsE35device_test_enabled_for_warp_size_vIXT1_EEEvE4typeEPT_S4_
	.globl	_Z26warp_inclusive_scan_kernelIfLj63ELj7EENSt9enable_ifIXsr10test_utilsE35device_test_enabled_for_warp_size_vIXT1_EEEvE4typeEPT_S4_
	.p2align	8
	.type	_Z26warp_inclusive_scan_kernelIfLj63ELj7EENSt9enable_ifIXsr10test_utilsE35device_test_enabled_for_warp_size_vIXT1_EEEvE4typeEPT_S4_,@function
_Z26warp_inclusive_scan_kernelIfLj63ELj7EENSt9enable_ifIXsr10test_utilsE35device_test_enabled_for_warp_size_vIXT1_EEEvE4typeEPT_S4_: ; @_Z26warp_inclusive_scan_kernelIfLj63ELj7EENSt9enable_ifIXsr10test_utilsE35device_test_enabled_for_warp_size_vIXT1_EEEvE4typeEPT_S4_
; %bb.0:
	s_load_dword s7, s[4:5], 0x1c
	s_load_dwordx4 s[0:3], s[4:5], 0x0
	v_mov_b32_e32 v2, 0
	s_waitcnt lgkmcnt(0)
	s_and_b32 s4, s7, 0xffff
	s_mul_i32 s6, s6, s4
	v_add_u32_e32 v1, s6, v0
	v_lshlrev_b64 v[1:2], 2, v[1:2]
	v_mov_b32_e32 v4, s1
	v_add_co_u32_e32 v3, vcc, s0, v1
	v_addc_co_u32_e32 v4, vcc, v4, v2, vcc
	global_load_dword v3, v[3:4], off
	v_mbcnt_lo_u32_b32 v4, -1, 0
	s_mov_b32 s0, 0x24924925
	v_mbcnt_hi_u32_b32 v4, -1, v4
	v_mul_hi_u32 v5, v4, s0
	v_mul_u32_u24_e32 v0, 0x2493, v0
	v_lshrrev_b32_e32 v0, 16, v0
	v_mul_u32_u24_e32 v5, 7, v5
	v_sub_u32_e32 v4, v4, v5
	v_lshlrev_b32_e32 v5, 2, v4
	v_mad_u32_u24 v0, v0, 28, v5
	v_cmp_ne_u32_e32 vcc, 0, v4
	s_waitcnt vmcnt(0)
	ds_write_b32 v0, v3
	; wave barrier
	s_and_saveexec_b64 s[0:1], vcc
	s_cbranch_execz .LBB7_2
; %bb.1:
	v_add_u32_e32 v5, -4, v0
	ds_read_b32 v5, v5
	s_waitcnt lgkmcnt(0)
	v_add_f32_e32 v3, v3, v5
.LBB7_2:
	s_or_b64 exec, exec, s[0:1]
	; wave barrier
	s_and_saveexec_b64 s[0:1], vcc
; %bb.3:
	ds_write_b32 v0, v3
; %bb.4:
	s_or_b64 exec, exec, s[0:1]
	v_cmp_lt_u32_e32 vcc, 1, v4
	; wave barrier
	s_and_saveexec_b64 s[0:1], vcc
	s_cbranch_execz .LBB7_6
; %bb.5:
	v_add_u32_e32 v5, -8, v0
	ds_read_b32 v5, v5
	s_waitcnt lgkmcnt(0)
	v_add_f32_e32 v3, v3, v5
.LBB7_6:
	s_or_b64 exec, exec, s[0:1]
	; wave barrier
	s_and_saveexec_b64 s[0:1], vcc
; %bb.7:
	ds_write_b32 v0, v3
; %bb.8:
	s_or_b64 exec, exec, s[0:1]
	v_cmp_lt_u32_e32 vcc, 3, v4
	; wave barrier
	s_and_saveexec_b64 s[0:1], vcc
	s_cbranch_execz .LBB7_10
; %bb.9:
	v_add_u32_e32 v4, -16, v0
	ds_read_b32 v4, v4
	s_waitcnt lgkmcnt(0)
	v_add_f32_e32 v3, v3, v4
.LBB7_10:
	s_or_b64 exec, exec, s[0:1]
	; wave barrier
	s_and_saveexec_b64 s[0:1], vcc
; %bb.11:
	ds_write_b32 v0, v3
; %bb.12:
	s_or_b64 exec, exec, s[0:1]
	v_mov_b32_e32 v4, s3
	v_add_co_u32_e32 v0, vcc, s2, v1
	v_addc_co_u32_e32 v1, vcc, v4, v2, vcc
	; wave barrier
	global_store_dword v[0:1], v3, off
	s_endpgm
	.section	.rodata,"a",@progbits
	.p2align	6, 0x0
	.amdhsa_kernel _Z26warp_inclusive_scan_kernelIfLj63ELj7EENSt9enable_ifIXsr10test_utilsE35device_test_enabled_for_warp_size_vIXT1_EEEvE4typeEPT_S4_
		.amdhsa_group_segment_fixed_size 252
		.amdhsa_private_segment_fixed_size 0
		.amdhsa_kernarg_size 272
		.amdhsa_user_sgpr_count 6
		.amdhsa_user_sgpr_private_segment_buffer 1
		.amdhsa_user_sgpr_dispatch_ptr 0
		.amdhsa_user_sgpr_queue_ptr 0
		.amdhsa_user_sgpr_kernarg_segment_ptr 1
		.amdhsa_user_sgpr_dispatch_id 0
		.amdhsa_user_sgpr_flat_scratch_init 0
		.amdhsa_user_sgpr_private_segment_size 0
		.amdhsa_uses_dynamic_stack 0
		.amdhsa_system_sgpr_private_segment_wavefront_offset 0
		.amdhsa_system_sgpr_workgroup_id_x 1
		.amdhsa_system_sgpr_workgroup_id_y 0
		.amdhsa_system_sgpr_workgroup_id_z 0
		.amdhsa_system_sgpr_workgroup_info 0
		.amdhsa_system_vgpr_workitem_id 0
		.amdhsa_next_free_vgpr 6
		.amdhsa_next_free_sgpr 8
		.amdhsa_reserve_vcc 1
		.amdhsa_reserve_flat_scratch 0
		.amdhsa_float_round_mode_32 0
		.amdhsa_float_round_mode_16_64 0
		.amdhsa_float_denorm_mode_32 3
		.amdhsa_float_denorm_mode_16_64 3
		.amdhsa_dx10_clamp 1
		.amdhsa_ieee_mode 1
		.amdhsa_fp16_overflow 0
		.amdhsa_exception_fp_ieee_invalid_op 0
		.amdhsa_exception_fp_denorm_src 0
		.amdhsa_exception_fp_ieee_div_zero 0
		.amdhsa_exception_fp_ieee_overflow 0
		.amdhsa_exception_fp_ieee_underflow 0
		.amdhsa_exception_fp_ieee_inexact 0
		.amdhsa_exception_int_div_zero 0
	.end_amdhsa_kernel
	.section	.text._Z26warp_inclusive_scan_kernelIfLj63ELj7EENSt9enable_ifIXsr10test_utilsE35device_test_enabled_for_warp_size_vIXT1_EEEvE4typeEPT_S4_,"axG",@progbits,_Z26warp_inclusive_scan_kernelIfLj63ELj7EENSt9enable_ifIXsr10test_utilsE35device_test_enabled_for_warp_size_vIXT1_EEEvE4typeEPT_S4_,comdat
.Lfunc_end7:
	.size	_Z26warp_inclusive_scan_kernelIfLj63ELj7EENSt9enable_ifIXsr10test_utilsE35device_test_enabled_for_warp_size_vIXT1_EEEvE4typeEPT_S4_, .Lfunc_end7-_Z26warp_inclusive_scan_kernelIfLj63ELj7EENSt9enable_ifIXsr10test_utilsE35device_test_enabled_for_warp_size_vIXT1_EEEvE4typeEPT_S4_
                                        ; -- End function
	.set _Z26warp_inclusive_scan_kernelIfLj63ELj7EENSt9enable_ifIXsr10test_utilsE35device_test_enabled_for_warp_size_vIXT1_EEEvE4typeEPT_S4_.num_vgpr, 6
	.set _Z26warp_inclusive_scan_kernelIfLj63ELj7EENSt9enable_ifIXsr10test_utilsE35device_test_enabled_for_warp_size_vIXT1_EEEvE4typeEPT_S4_.num_agpr, 0
	.set _Z26warp_inclusive_scan_kernelIfLj63ELj7EENSt9enable_ifIXsr10test_utilsE35device_test_enabled_for_warp_size_vIXT1_EEEvE4typeEPT_S4_.numbered_sgpr, 8
	.set _Z26warp_inclusive_scan_kernelIfLj63ELj7EENSt9enable_ifIXsr10test_utilsE35device_test_enabled_for_warp_size_vIXT1_EEEvE4typeEPT_S4_.num_named_barrier, 0
	.set _Z26warp_inclusive_scan_kernelIfLj63ELj7EENSt9enable_ifIXsr10test_utilsE35device_test_enabled_for_warp_size_vIXT1_EEEvE4typeEPT_S4_.private_seg_size, 0
	.set _Z26warp_inclusive_scan_kernelIfLj63ELj7EENSt9enable_ifIXsr10test_utilsE35device_test_enabled_for_warp_size_vIXT1_EEEvE4typeEPT_S4_.uses_vcc, 1
	.set _Z26warp_inclusive_scan_kernelIfLj63ELj7EENSt9enable_ifIXsr10test_utilsE35device_test_enabled_for_warp_size_vIXT1_EEEvE4typeEPT_S4_.uses_flat_scratch, 0
	.set _Z26warp_inclusive_scan_kernelIfLj63ELj7EENSt9enable_ifIXsr10test_utilsE35device_test_enabled_for_warp_size_vIXT1_EEEvE4typeEPT_S4_.has_dyn_sized_stack, 0
	.set _Z26warp_inclusive_scan_kernelIfLj63ELj7EENSt9enable_ifIXsr10test_utilsE35device_test_enabled_for_warp_size_vIXT1_EEEvE4typeEPT_S4_.has_recursion, 0
	.set _Z26warp_inclusive_scan_kernelIfLj63ELj7EENSt9enable_ifIXsr10test_utilsE35device_test_enabled_for_warp_size_vIXT1_EEEvE4typeEPT_S4_.has_indirect_call, 0
	.section	.AMDGPU.csdata,"",@progbits
; Kernel info:
; codeLenInByte = 324
; TotalNumSgprs: 12
; NumVgprs: 6
; ScratchSize: 0
; MemoryBound: 0
; FloatMode: 240
; IeeeMode: 1
; LDSByteSize: 252 bytes/workgroup (compile time only)
; SGPRBlocks: 1
; VGPRBlocks: 1
; NumSGPRsForWavesPerEU: 12
; NumVGPRsForWavesPerEU: 6
; Occupancy: 10
; WaveLimiterHint : 0
; COMPUTE_PGM_RSRC2:SCRATCH_EN: 0
; COMPUTE_PGM_RSRC2:USER_SGPR: 6
; COMPUTE_PGM_RSRC2:TRAP_HANDLER: 0
; COMPUTE_PGM_RSRC2:TGID_X_EN: 1
; COMPUTE_PGM_RSRC2:TGID_Y_EN: 0
; COMPUTE_PGM_RSRC2:TGID_Z_EN: 0
; COMPUTE_PGM_RSRC2:TIDIG_COMP_CNT: 0
	.section	.text._Z26warp_inclusive_scan_kernelIfLj30ELj3EENSt9enable_ifIXsr10test_utilsE35device_test_enabled_for_warp_size_vIXT1_EEEvE4typeEPT_S4_,"axG",@progbits,_Z26warp_inclusive_scan_kernelIfLj30ELj3EENSt9enable_ifIXsr10test_utilsE35device_test_enabled_for_warp_size_vIXT1_EEEvE4typeEPT_S4_,comdat
	.protected	_Z26warp_inclusive_scan_kernelIfLj30ELj3EENSt9enable_ifIXsr10test_utilsE35device_test_enabled_for_warp_size_vIXT1_EEEvE4typeEPT_S4_ ; -- Begin function _Z26warp_inclusive_scan_kernelIfLj30ELj3EENSt9enable_ifIXsr10test_utilsE35device_test_enabled_for_warp_size_vIXT1_EEEvE4typeEPT_S4_
	.globl	_Z26warp_inclusive_scan_kernelIfLj30ELj3EENSt9enable_ifIXsr10test_utilsE35device_test_enabled_for_warp_size_vIXT1_EEEvE4typeEPT_S4_
	.p2align	8
	.type	_Z26warp_inclusive_scan_kernelIfLj30ELj3EENSt9enable_ifIXsr10test_utilsE35device_test_enabled_for_warp_size_vIXT1_EEEvE4typeEPT_S4_,@function
_Z26warp_inclusive_scan_kernelIfLj30ELj3EENSt9enable_ifIXsr10test_utilsE35device_test_enabled_for_warp_size_vIXT1_EEEvE4typeEPT_S4_: ; @_Z26warp_inclusive_scan_kernelIfLj30ELj3EENSt9enable_ifIXsr10test_utilsE35device_test_enabled_for_warp_size_vIXT1_EEEvE4typeEPT_S4_
; %bb.0:
	s_load_dword s7, s[4:5], 0x1c
	s_load_dwordx4 s[0:3], s[4:5], 0x0
	v_mov_b32_e32 v2, 0
	s_waitcnt lgkmcnt(0)
	s_and_b32 s4, s7, 0xffff
	s_mul_i32 s6, s6, s4
	v_add_u32_e32 v1, s6, v0
	v_lshlrev_b64 v[1:2], 2, v[1:2]
	v_mov_b32_e32 v4, s1
	v_add_co_u32_e32 v3, vcc, s0, v1
	v_addc_co_u32_e32 v4, vcc, v4, v2, vcc
	global_load_dword v3, v[3:4], off
	v_mbcnt_lo_u32_b32 v4, -1, 0
	s_mov_b32 s0, 0x55555556
	v_mbcnt_hi_u32_b32 v4, -1, v4
	v_mul_hi_u32 v6, v4, s0
	v_mul_u32_u24_e32 v0, 0x5556, v0
	v_lshrrev_b32_e32 v5, 16, v0
	v_mul_u32_u24_e32 v0, 3, v6
	v_sub_u32_e32 v4, v4, v0
	v_lshlrev_b32_e32 v0, 2, v4
	v_mad_u32_u24 v0, v5, 12, v0
	v_cmp_ne_u32_e32 vcc, 0, v4
	s_waitcnt vmcnt(0)
	ds_write_b32 v0, v3
	; wave barrier
	s_and_saveexec_b64 s[0:1], vcc
	s_cbranch_execz .LBB8_2
; %bb.1:
	v_add_u32_e32 v6, -4, v0
	ds_read_b32 v6, v6
	s_waitcnt lgkmcnt(0)
	v_add_f32_e32 v3, v3, v6
.LBB8_2:
	s_or_b64 exec, exec, s[0:1]
	v_mul_u32_u24_e32 v5, 12, v5
	; wave barrier
	s_and_saveexec_b64 s[0:1], vcc
; %bb.3:
	ds_write_b32 v0, v3
; %bb.4:
	s_or_b64 exec, exec, s[0:1]
	; wave barrier
	ds_read_b32 v5, v5
	v_cmp_lt_u32_e32 vcc, 1, v4
	; wave barrier
	s_and_saveexec_b64 s[0:1], vcc
	s_cbranch_execz .LBB8_6
; %bb.5:
	s_waitcnt lgkmcnt(0)
	v_add_f32_e32 v3, v3, v5
	ds_write_b32 v0, v3
.LBB8_6:
	s_or_b64 exec, exec, s[0:1]
	v_mov_b32_e32 v4, s3
	v_add_co_u32_e32 v0, vcc, s2, v1
	v_addc_co_u32_e32 v1, vcc, v4, v2, vcc
	; wave barrier
	global_store_dword v[0:1], v3, off
	s_endpgm
	.section	.rodata,"a",@progbits
	.p2align	6, 0x0
	.amdhsa_kernel _Z26warp_inclusive_scan_kernelIfLj30ELj3EENSt9enable_ifIXsr10test_utilsE35device_test_enabled_for_warp_size_vIXT1_EEEvE4typeEPT_S4_
		.amdhsa_group_segment_fixed_size 120
		.amdhsa_private_segment_fixed_size 0
		.amdhsa_kernarg_size 272
		.amdhsa_user_sgpr_count 6
		.amdhsa_user_sgpr_private_segment_buffer 1
		.amdhsa_user_sgpr_dispatch_ptr 0
		.amdhsa_user_sgpr_queue_ptr 0
		.amdhsa_user_sgpr_kernarg_segment_ptr 1
		.amdhsa_user_sgpr_dispatch_id 0
		.amdhsa_user_sgpr_flat_scratch_init 0
		.amdhsa_user_sgpr_private_segment_size 0
		.amdhsa_uses_dynamic_stack 0
		.amdhsa_system_sgpr_private_segment_wavefront_offset 0
		.amdhsa_system_sgpr_workgroup_id_x 1
		.amdhsa_system_sgpr_workgroup_id_y 0
		.amdhsa_system_sgpr_workgroup_id_z 0
		.amdhsa_system_sgpr_workgroup_info 0
		.amdhsa_system_vgpr_workitem_id 0
		.amdhsa_next_free_vgpr 7
		.amdhsa_next_free_sgpr 8
		.amdhsa_reserve_vcc 1
		.amdhsa_reserve_flat_scratch 0
		.amdhsa_float_round_mode_32 0
		.amdhsa_float_round_mode_16_64 0
		.amdhsa_float_denorm_mode_32 3
		.amdhsa_float_denorm_mode_16_64 3
		.amdhsa_dx10_clamp 1
		.amdhsa_ieee_mode 1
		.amdhsa_fp16_overflow 0
		.amdhsa_exception_fp_ieee_invalid_op 0
		.amdhsa_exception_fp_denorm_src 0
		.amdhsa_exception_fp_ieee_div_zero 0
		.amdhsa_exception_fp_ieee_overflow 0
		.amdhsa_exception_fp_ieee_underflow 0
		.amdhsa_exception_fp_ieee_inexact 0
		.amdhsa_exception_int_div_zero 0
	.end_amdhsa_kernel
	.section	.text._Z26warp_inclusive_scan_kernelIfLj30ELj3EENSt9enable_ifIXsr10test_utilsE35device_test_enabled_for_warp_size_vIXT1_EEEvE4typeEPT_S4_,"axG",@progbits,_Z26warp_inclusive_scan_kernelIfLj30ELj3EENSt9enable_ifIXsr10test_utilsE35device_test_enabled_for_warp_size_vIXT1_EEEvE4typeEPT_S4_,comdat
.Lfunc_end8:
	.size	_Z26warp_inclusive_scan_kernelIfLj30ELj3EENSt9enable_ifIXsr10test_utilsE35device_test_enabled_for_warp_size_vIXT1_EEEvE4typeEPT_S4_, .Lfunc_end8-_Z26warp_inclusive_scan_kernelIfLj30ELj3EENSt9enable_ifIXsr10test_utilsE35device_test_enabled_for_warp_size_vIXT1_EEEvE4typeEPT_S4_
                                        ; -- End function
	.set _Z26warp_inclusive_scan_kernelIfLj30ELj3EENSt9enable_ifIXsr10test_utilsE35device_test_enabled_for_warp_size_vIXT1_EEEvE4typeEPT_S4_.num_vgpr, 7
	.set _Z26warp_inclusive_scan_kernelIfLj30ELj3EENSt9enable_ifIXsr10test_utilsE35device_test_enabled_for_warp_size_vIXT1_EEEvE4typeEPT_S4_.num_agpr, 0
	.set _Z26warp_inclusive_scan_kernelIfLj30ELj3EENSt9enable_ifIXsr10test_utilsE35device_test_enabled_for_warp_size_vIXT1_EEEvE4typeEPT_S4_.numbered_sgpr, 8
	.set _Z26warp_inclusive_scan_kernelIfLj30ELj3EENSt9enable_ifIXsr10test_utilsE35device_test_enabled_for_warp_size_vIXT1_EEEvE4typeEPT_S4_.num_named_barrier, 0
	.set _Z26warp_inclusive_scan_kernelIfLj30ELj3EENSt9enable_ifIXsr10test_utilsE35device_test_enabled_for_warp_size_vIXT1_EEEvE4typeEPT_S4_.private_seg_size, 0
	.set _Z26warp_inclusive_scan_kernelIfLj30ELj3EENSt9enable_ifIXsr10test_utilsE35device_test_enabled_for_warp_size_vIXT1_EEEvE4typeEPT_S4_.uses_vcc, 1
	.set _Z26warp_inclusive_scan_kernelIfLj30ELj3EENSt9enable_ifIXsr10test_utilsE35device_test_enabled_for_warp_size_vIXT1_EEEvE4typeEPT_S4_.uses_flat_scratch, 0
	.set _Z26warp_inclusive_scan_kernelIfLj30ELj3EENSt9enable_ifIXsr10test_utilsE35device_test_enabled_for_warp_size_vIXT1_EEEvE4typeEPT_S4_.has_dyn_sized_stack, 0
	.set _Z26warp_inclusive_scan_kernelIfLj30ELj3EENSt9enable_ifIXsr10test_utilsE35device_test_enabled_for_warp_size_vIXT1_EEEvE4typeEPT_S4_.has_recursion, 0
	.set _Z26warp_inclusive_scan_kernelIfLj30ELj3EENSt9enable_ifIXsr10test_utilsE35device_test_enabled_for_warp_size_vIXT1_EEEvE4typeEPT_S4_.has_indirect_call, 0
	.section	.AMDGPU.csdata,"",@progbits
; Kernel info:
; codeLenInByte = 264
; TotalNumSgprs: 12
; NumVgprs: 7
; ScratchSize: 0
; MemoryBound: 0
; FloatMode: 240
; IeeeMode: 1
; LDSByteSize: 120 bytes/workgroup (compile time only)
; SGPRBlocks: 1
; VGPRBlocks: 1
; NumSGPRsForWavesPerEU: 12
; NumVGPRsForWavesPerEU: 7
; Occupancy: 10
; WaveLimiterHint : 0
; COMPUTE_PGM_RSRC2:SCRATCH_EN: 0
; COMPUTE_PGM_RSRC2:USER_SGPR: 6
; COMPUTE_PGM_RSRC2:TRAP_HANDLER: 0
; COMPUTE_PGM_RSRC2:TGID_X_EN: 1
; COMPUTE_PGM_RSRC2:TGID_Y_EN: 0
; COMPUTE_PGM_RSRC2:TGID_Z_EN: 0
; COMPUTE_PGM_RSRC2:TIDIG_COMP_CNT: 0
	.section	.text._Z26warp_inclusive_scan_kernelIfLj63ELj3EENSt9enable_ifIXsr10test_utilsE35device_test_enabled_for_warp_size_vIXT1_EEEvE4typeEPT_S4_,"axG",@progbits,_Z26warp_inclusive_scan_kernelIfLj63ELj3EENSt9enable_ifIXsr10test_utilsE35device_test_enabled_for_warp_size_vIXT1_EEEvE4typeEPT_S4_,comdat
	.protected	_Z26warp_inclusive_scan_kernelIfLj63ELj3EENSt9enable_ifIXsr10test_utilsE35device_test_enabled_for_warp_size_vIXT1_EEEvE4typeEPT_S4_ ; -- Begin function _Z26warp_inclusive_scan_kernelIfLj63ELj3EENSt9enable_ifIXsr10test_utilsE35device_test_enabled_for_warp_size_vIXT1_EEEvE4typeEPT_S4_
	.globl	_Z26warp_inclusive_scan_kernelIfLj63ELj3EENSt9enable_ifIXsr10test_utilsE35device_test_enabled_for_warp_size_vIXT1_EEEvE4typeEPT_S4_
	.p2align	8
	.type	_Z26warp_inclusive_scan_kernelIfLj63ELj3EENSt9enable_ifIXsr10test_utilsE35device_test_enabled_for_warp_size_vIXT1_EEEvE4typeEPT_S4_,@function
_Z26warp_inclusive_scan_kernelIfLj63ELj3EENSt9enable_ifIXsr10test_utilsE35device_test_enabled_for_warp_size_vIXT1_EEEvE4typeEPT_S4_: ; @_Z26warp_inclusive_scan_kernelIfLj63ELj3EENSt9enable_ifIXsr10test_utilsE35device_test_enabled_for_warp_size_vIXT1_EEEvE4typeEPT_S4_
; %bb.0:
	s_load_dword s7, s[4:5], 0x1c
	s_load_dwordx4 s[0:3], s[4:5], 0x0
	v_mov_b32_e32 v2, 0
	s_waitcnt lgkmcnt(0)
	s_and_b32 s4, s7, 0xffff
	s_mul_i32 s6, s6, s4
	v_add_u32_e32 v1, s6, v0
	v_lshlrev_b64 v[1:2], 2, v[1:2]
	v_mov_b32_e32 v4, s1
	v_add_co_u32_e32 v3, vcc, s0, v1
	v_addc_co_u32_e32 v4, vcc, v4, v2, vcc
	global_load_dword v3, v[3:4], off
	v_mbcnt_lo_u32_b32 v4, -1, 0
	s_mov_b32 s0, 0x55555556
	v_mbcnt_hi_u32_b32 v4, -1, v4
	v_mul_hi_u32 v6, v4, s0
	v_mul_u32_u24_e32 v0, 0x5556, v0
	v_lshrrev_b32_e32 v5, 16, v0
	v_mul_u32_u24_e32 v0, 3, v6
	v_sub_u32_e32 v4, v4, v0
	v_lshlrev_b32_e32 v0, 2, v4
	v_mad_u32_u24 v0, v5, 12, v0
	v_cmp_ne_u32_e32 vcc, 0, v4
	s_waitcnt vmcnt(0)
	ds_write_b32 v0, v3
	; wave barrier
	s_and_saveexec_b64 s[0:1], vcc
	s_cbranch_execz .LBB9_2
; %bb.1:
	v_add_u32_e32 v6, -4, v0
	ds_read_b32 v6, v6
	s_waitcnt lgkmcnt(0)
	v_add_f32_e32 v3, v3, v6
.LBB9_2:
	s_or_b64 exec, exec, s[0:1]
	v_mul_u32_u24_e32 v5, 12, v5
	; wave barrier
	s_and_saveexec_b64 s[0:1], vcc
; %bb.3:
	ds_write_b32 v0, v3
; %bb.4:
	s_or_b64 exec, exec, s[0:1]
	; wave barrier
	ds_read_b32 v5, v5
	v_cmp_lt_u32_e32 vcc, 1, v4
	; wave barrier
	s_and_saveexec_b64 s[0:1], vcc
	s_cbranch_execz .LBB9_6
; %bb.5:
	s_waitcnt lgkmcnt(0)
	v_add_f32_e32 v3, v3, v5
	ds_write_b32 v0, v3
.LBB9_6:
	s_or_b64 exec, exec, s[0:1]
	v_mov_b32_e32 v4, s3
	v_add_co_u32_e32 v0, vcc, s2, v1
	v_addc_co_u32_e32 v1, vcc, v4, v2, vcc
	; wave barrier
	global_store_dword v[0:1], v3, off
	s_endpgm
	.section	.rodata,"a",@progbits
	.p2align	6, 0x0
	.amdhsa_kernel _Z26warp_inclusive_scan_kernelIfLj63ELj3EENSt9enable_ifIXsr10test_utilsE35device_test_enabled_for_warp_size_vIXT1_EEEvE4typeEPT_S4_
		.amdhsa_group_segment_fixed_size 252
		.amdhsa_private_segment_fixed_size 0
		.amdhsa_kernarg_size 272
		.amdhsa_user_sgpr_count 6
		.amdhsa_user_sgpr_private_segment_buffer 1
		.amdhsa_user_sgpr_dispatch_ptr 0
		.amdhsa_user_sgpr_queue_ptr 0
		.amdhsa_user_sgpr_kernarg_segment_ptr 1
		.amdhsa_user_sgpr_dispatch_id 0
		.amdhsa_user_sgpr_flat_scratch_init 0
		.amdhsa_user_sgpr_private_segment_size 0
		.amdhsa_uses_dynamic_stack 0
		.amdhsa_system_sgpr_private_segment_wavefront_offset 0
		.amdhsa_system_sgpr_workgroup_id_x 1
		.amdhsa_system_sgpr_workgroup_id_y 0
		.amdhsa_system_sgpr_workgroup_id_z 0
		.amdhsa_system_sgpr_workgroup_info 0
		.amdhsa_system_vgpr_workitem_id 0
		.amdhsa_next_free_vgpr 7
		.amdhsa_next_free_sgpr 8
		.amdhsa_reserve_vcc 1
		.amdhsa_reserve_flat_scratch 0
		.amdhsa_float_round_mode_32 0
		.amdhsa_float_round_mode_16_64 0
		.amdhsa_float_denorm_mode_32 3
		.amdhsa_float_denorm_mode_16_64 3
		.amdhsa_dx10_clamp 1
		.amdhsa_ieee_mode 1
		.amdhsa_fp16_overflow 0
		.amdhsa_exception_fp_ieee_invalid_op 0
		.amdhsa_exception_fp_denorm_src 0
		.amdhsa_exception_fp_ieee_div_zero 0
		.amdhsa_exception_fp_ieee_overflow 0
		.amdhsa_exception_fp_ieee_underflow 0
		.amdhsa_exception_fp_ieee_inexact 0
		.amdhsa_exception_int_div_zero 0
	.end_amdhsa_kernel
	.section	.text._Z26warp_inclusive_scan_kernelIfLj63ELj3EENSt9enable_ifIXsr10test_utilsE35device_test_enabled_for_warp_size_vIXT1_EEEvE4typeEPT_S4_,"axG",@progbits,_Z26warp_inclusive_scan_kernelIfLj63ELj3EENSt9enable_ifIXsr10test_utilsE35device_test_enabled_for_warp_size_vIXT1_EEEvE4typeEPT_S4_,comdat
.Lfunc_end9:
	.size	_Z26warp_inclusive_scan_kernelIfLj63ELj3EENSt9enable_ifIXsr10test_utilsE35device_test_enabled_for_warp_size_vIXT1_EEEvE4typeEPT_S4_, .Lfunc_end9-_Z26warp_inclusive_scan_kernelIfLj63ELj3EENSt9enable_ifIXsr10test_utilsE35device_test_enabled_for_warp_size_vIXT1_EEEvE4typeEPT_S4_
                                        ; -- End function
	.set _Z26warp_inclusive_scan_kernelIfLj63ELj3EENSt9enable_ifIXsr10test_utilsE35device_test_enabled_for_warp_size_vIXT1_EEEvE4typeEPT_S4_.num_vgpr, 7
	.set _Z26warp_inclusive_scan_kernelIfLj63ELj3EENSt9enable_ifIXsr10test_utilsE35device_test_enabled_for_warp_size_vIXT1_EEEvE4typeEPT_S4_.num_agpr, 0
	.set _Z26warp_inclusive_scan_kernelIfLj63ELj3EENSt9enable_ifIXsr10test_utilsE35device_test_enabled_for_warp_size_vIXT1_EEEvE4typeEPT_S4_.numbered_sgpr, 8
	.set _Z26warp_inclusive_scan_kernelIfLj63ELj3EENSt9enable_ifIXsr10test_utilsE35device_test_enabled_for_warp_size_vIXT1_EEEvE4typeEPT_S4_.num_named_barrier, 0
	.set _Z26warp_inclusive_scan_kernelIfLj63ELj3EENSt9enable_ifIXsr10test_utilsE35device_test_enabled_for_warp_size_vIXT1_EEEvE4typeEPT_S4_.private_seg_size, 0
	.set _Z26warp_inclusive_scan_kernelIfLj63ELj3EENSt9enable_ifIXsr10test_utilsE35device_test_enabled_for_warp_size_vIXT1_EEEvE4typeEPT_S4_.uses_vcc, 1
	.set _Z26warp_inclusive_scan_kernelIfLj63ELj3EENSt9enable_ifIXsr10test_utilsE35device_test_enabled_for_warp_size_vIXT1_EEEvE4typeEPT_S4_.uses_flat_scratch, 0
	.set _Z26warp_inclusive_scan_kernelIfLj63ELj3EENSt9enable_ifIXsr10test_utilsE35device_test_enabled_for_warp_size_vIXT1_EEEvE4typeEPT_S4_.has_dyn_sized_stack, 0
	.set _Z26warp_inclusive_scan_kernelIfLj63ELj3EENSt9enable_ifIXsr10test_utilsE35device_test_enabled_for_warp_size_vIXT1_EEEvE4typeEPT_S4_.has_recursion, 0
	.set _Z26warp_inclusive_scan_kernelIfLj63ELj3EENSt9enable_ifIXsr10test_utilsE35device_test_enabled_for_warp_size_vIXT1_EEEvE4typeEPT_S4_.has_indirect_call, 0
	.section	.AMDGPU.csdata,"",@progbits
; Kernel info:
; codeLenInByte = 264
; TotalNumSgprs: 12
; NumVgprs: 7
; ScratchSize: 0
; MemoryBound: 0
; FloatMode: 240
; IeeeMode: 1
; LDSByteSize: 252 bytes/workgroup (compile time only)
; SGPRBlocks: 1
; VGPRBlocks: 1
; NumSGPRsForWavesPerEU: 12
; NumVGPRsForWavesPerEU: 7
; Occupancy: 10
; WaveLimiterHint : 0
; COMPUTE_PGM_RSRC2:SCRATCH_EN: 0
; COMPUTE_PGM_RSRC2:USER_SGPR: 6
; COMPUTE_PGM_RSRC2:TRAP_HANDLER: 0
; COMPUTE_PGM_RSRC2:TGID_X_EN: 1
; COMPUTE_PGM_RSRC2:TGID_Y_EN: 0
; COMPUTE_PGM_RSRC2:TGID_Z_EN: 0
; COMPUTE_PGM_RSRC2:TIDIG_COMP_CNT: 0
	.section	.text._Z26warp_inclusive_scan_kernelIiLj1ELj61EENSt9enable_ifIXsr10test_utilsE35device_test_enabled_for_warp_size_vIXT1_EEEvE4typeEPT_S4_,"axG",@progbits,_Z26warp_inclusive_scan_kernelIiLj1ELj61EENSt9enable_ifIXsr10test_utilsE35device_test_enabled_for_warp_size_vIXT1_EEEvE4typeEPT_S4_,comdat
	.protected	_Z26warp_inclusive_scan_kernelIiLj1ELj61EENSt9enable_ifIXsr10test_utilsE35device_test_enabled_for_warp_size_vIXT1_EEEvE4typeEPT_S4_ ; -- Begin function _Z26warp_inclusive_scan_kernelIiLj1ELj61EENSt9enable_ifIXsr10test_utilsE35device_test_enabled_for_warp_size_vIXT1_EEEvE4typeEPT_S4_
	.globl	_Z26warp_inclusive_scan_kernelIiLj1ELj61EENSt9enable_ifIXsr10test_utilsE35device_test_enabled_for_warp_size_vIXT1_EEEvE4typeEPT_S4_
	.p2align	8
	.type	_Z26warp_inclusive_scan_kernelIiLj1ELj61EENSt9enable_ifIXsr10test_utilsE35device_test_enabled_for_warp_size_vIXT1_EEEvE4typeEPT_S4_,@function
_Z26warp_inclusive_scan_kernelIiLj1ELj61EENSt9enable_ifIXsr10test_utilsE35device_test_enabled_for_warp_size_vIXT1_EEEvE4typeEPT_S4_: ; @_Z26warp_inclusive_scan_kernelIiLj1ELj61EENSt9enable_ifIXsr10test_utilsE35device_test_enabled_for_warp_size_vIXT1_EEEvE4typeEPT_S4_
; %bb.0:
	s_load_dword s7, s[4:5], 0x1c
	s_load_dwordx4 s[0:3], s[4:5], 0x0
	s_mov_b32 s5, 0
	v_mbcnt_lo_u32_b32 v0, -1, 0
	v_mbcnt_hi_u32_b32 v0, -1, v0
	s_waitcnt lgkmcnt(0)
	s_and_b32 s4, s7, 0xffff
	s_mul_i32 s4, s6, s4
	s_lshl_b64 s[4:5], s[4:5], 2
	s_mov_b32 s6, 0x4325c54
	v_mul_hi_u32 v1, v0, s6
	s_add_u32 s0, s0, s4
	s_addc_u32 s1, s1, s5
	s_load_dword s0, s[0:1], 0x0
	v_mul_u32_u24_e32 v1, 61, v1
	v_sub_u32_e32 v1, v0, v1
	v_cmp_eq_u32_e32 vcc, 0, v1
	v_readfirstlane_b32 s6, v1
	v_lshlrev_b32_e32 v0, 2, v1
	s_waitcnt lgkmcnt(0)
	v_mov_b32_e32 v2, s0
	s_and_b64 s[8:9], vcc, exec
	v_cmp_ne_u32_e32 vcc, 0, v1
	ds_write_b32 v0, v2
	; wave barrier
	s_cbranch_scc1 .LBB10_2
; %bb.1:
	v_add_u32_e32 v1, -4, v0
	ds_read_b32 v1, v1
	s_waitcnt lgkmcnt(0)
	v_add_u32_e32 v1, s0, v1
	s_branch .LBB10_3
.LBB10_2:
	v_mov_b32_e32 v1, s0
.LBB10_3:
	s_andn2_b64 vcc, exec, vcc
	; wave barrier
	s_cbranch_vccnz .LBB10_5
; %bb.4:
	ds_write_b32 v0, v1
.LBB10_5:
	s_cmp_gt_u32 s6, 1
	s_cselect_b64 s[0:1], -1, 0
	s_cmp_lt_u32 s6, 2
	; wave barrier
	s_cbranch_scc1 .LBB10_7
; %bb.6:
	v_add_u32_e32 v2, -8, v0
	ds_read_b32 v2, v2
	s_waitcnt lgkmcnt(0)
	v_add_u32_e32 v1, v2, v1
.LBB10_7:
	s_andn2_b64 vcc, exec, s[0:1]
	; wave barrier
	s_cbranch_vccnz .LBB10_9
; %bb.8:
	ds_write_b32 v0, v1
.LBB10_9:
	s_cmp_gt_u32 s6, 3
	s_cselect_b64 s[0:1], -1, 0
	s_cmp_lt_u32 s6, 4
	; wave barrier
	s_cbranch_scc1 .LBB10_11
; %bb.10:
	v_add_u32_e32 v2, -16, v0
	ds_read_b32 v2, v2
	s_waitcnt lgkmcnt(0)
	v_add_u32_e32 v1, v2, v1
.LBB10_11:
	s_andn2_b64 vcc, exec, s[0:1]
	; wave barrier
	s_cbranch_vccnz .LBB10_13
; %bb.12:
	ds_write_b32 v0, v1
.LBB10_13:
	s_cmp_gt_u32 s6, 7
	s_cselect_b64 s[0:1], -1, 0
	s_cmp_lt_u32 s6, 8
	; wave barrier
	s_cbranch_scc1 .LBB10_15
; %bb.14:
	v_subrev_u32_e32 v2, 32, v0
	ds_read_b32 v2, v2
	s_waitcnt lgkmcnt(0)
	v_add_u32_e32 v1, v2, v1
.LBB10_15:
	s_andn2_b64 vcc, exec, s[0:1]
	; wave barrier
	s_cbranch_vccnz .LBB10_17
; %bb.16:
	ds_write_b32 v0, v1
.LBB10_17:
	s_cmp_gt_u32 s6, 15
	s_cselect_b64 s[0:1], -1, 0
	s_cmp_lt_u32 s6, 16
	; wave barrier
	s_cbranch_scc1 .LBB10_19
; %bb.18:
	v_subrev_u32_e32 v2, 64, v0
	ds_read_b32 v2, v2
	s_waitcnt lgkmcnt(0)
	v_add_u32_e32 v1, v2, v1
.LBB10_19:
	s_andn2_b64 vcc, exec, s[0:1]
	; wave barrier
	s_cbranch_vccnz .LBB10_21
; %bb.20:
	ds_write_b32 v0, v1
.LBB10_21:
	s_cmp_gt_u32 s6, 31
	s_cselect_b64 s[0:1], -1, 0
	s_cmp_lt_u32 s6, 32
	; wave barrier
	s_cbranch_scc1 .LBB10_23
; %bb.22:
	v_add_u32_e32 v2, 0xffffff80, v0
	ds_read_b32 v2, v2
	s_waitcnt lgkmcnt(0)
	v_add_u32_e32 v1, v2, v1
.LBB10_23:
	s_andn2_b64 vcc, exec, s[0:1]
	; wave barrier
	s_cbranch_vccnz .LBB10_25
; %bb.24:
	ds_write_b32 v0, v1
.LBB10_25:
	s_add_u32 s0, s2, s4
	s_addc_u32 s1, s3, s5
	v_mov_b32_e32 v0, 0
	; wave barrier
	global_store_dword v0, v1, s[0:1]
	s_endpgm
	.section	.rodata,"a",@progbits
	.p2align	6, 0x0
	.amdhsa_kernel _Z26warp_inclusive_scan_kernelIiLj1ELj61EENSt9enable_ifIXsr10test_utilsE35device_test_enabled_for_warp_size_vIXT1_EEEvE4typeEPT_S4_
		.amdhsa_group_segment_fixed_size 244
		.amdhsa_private_segment_fixed_size 0
		.amdhsa_kernarg_size 272
		.amdhsa_user_sgpr_count 6
		.amdhsa_user_sgpr_private_segment_buffer 1
		.amdhsa_user_sgpr_dispatch_ptr 0
		.amdhsa_user_sgpr_queue_ptr 0
		.amdhsa_user_sgpr_kernarg_segment_ptr 1
		.amdhsa_user_sgpr_dispatch_id 0
		.amdhsa_user_sgpr_flat_scratch_init 0
		.amdhsa_user_sgpr_private_segment_size 0
		.amdhsa_uses_dynamic_stack 0
		.amdhsa_system_sgpr_private_segment_wavefront_offset 0
		.amdhsa_system_sgpr_workgroup_id_x 1
		.amdhsa_system_sgpr_workgroup_id_y 0
		.amdhsa_system_sgpr_workgroup_id_z 0
		.amdhsa_system_sgpr_workgroup_info 0
		.amdhsa_system_vgpr_workitem_id 0
		.amdhsa_next_free_vgpr 3
		.amdhsa_next_free_sgpr 10
		.amdhsa_reserve_vcc 1
		.amdhsa_reserve_flat_scratch 0
		.amdhsa_float_round_mode_32 0
		.amdhsa_float_round_mode_16_64 0
		.amdhsa_float_denorm_mode_32 3
		.amdhsa_float_denorm_mode_16_64 3
		.amdhsa_dx10_clamp 1
		.amdhsa_ieee_mode 1
		.amdhsa_fp16_overflow 0
		.amdhsa_exception_fp_ieee_invalid_op 0
		.amdhsa_exception_fp_denorm_src 0
		.amdhsa_exception_fp_ieee_div_zero 0
		.amdhsa_exception_fp_ieee_overflow 0
		.amdhsa_exception_fp_ieee_underflow 0
		.amdhsa_exception_fp_ieee_inexact 0
		.amdhsa_exception_int_div_zero 0
	.end_amdhsa_kernel
	.section	.text._Z26warp_inclusive_scan_kernelIiLj1ELj61EENSt9enable_ifIXsr10test_utilsE35device_test_enabled_for_warp_size_vIXT1_EEEvE4typeEPT_S4_,"axG",@progbits,_Z26warp_inclusive_scan_kernelIiLj1ELj61EENSt9enable_ifIXsr10test_utilsE35device_test_enabled_for_warp_size_vIXT1_EEEvE4typeEPT_S4_,comdat
.Lfunc_end10:
	.size	_Z26warp_inclusive_scan_kernelIiLj1ELj61EENSt9enable_ifIXsr10test_utilsE35device_test_enabled_for_warp_size_vIXT1_EEEvE4typeEPT_S4_, .Lfunc_end10-_Z26warp_inclusive_scan_kernelIiLj1ELj61EENSt9enable_ifIXsr10test_utilsE35device_test_enabled_for_warp_size_vIXT1_EEEvE4typeEPT_S4_
                                        ; -- End function
	.set _Z26warp_inclusive_scan_kernelIiLj1ELj61EENSt9enable_ifIXsr10test_utilsE35device_test_enabled_for_warp_size_vIXT1_EEEvE4typeEPT_S4_.num_vgpr, 3
	.set _Z26warp_inclusive_scan_kernelIiLj1ELj61EENSt9enable_ifIXsr10test_utilsE35device_test_enabled_for_warp_size_vIXT1_EEEvE4typeEPT_S4_.num_agpr, 0
	.set _Z26warp_inclusive_scan_kernelIiLj1ELj61EENSt9enable_ifIXsr10test_utilsE35device_test_enabled_for_warp_size_vIXT1_EEEvE4typeEPT_S4_.numbered_sgpr, 10
	.set _Z26warp_inclusive_scan_kernelIiLj1ELj61EENSt9enable_ifIXsr10test_utilsE35device_test_enabled_for_warp_size_vIXT1_EEEvE4typeEPT_S4_.num_named_barrier, 0
	.set _Z26warp_inclusive_scan_kernelIiLj1ELj61EENSt9enable_ifIXsr10test_utilsE35device_test_enabled_for_warp_size_vIXT1_EEEvE4typeEPT_S4_.private_seg_size, 0
	.set _Z26warp_inclusive_scan_kernelIiLj1ELj61EENSt9enable_ifIXsr10test_utilsE35device_test_enabled_for_warp_size_vIXT1_EEEvE4typeEPT_S4_.uses_vcc, 1
	.set _Z26warp_inclusive_scan_kernelIiLj1ELj61EENSt9enable_ifIXsr10test_utilsE35device_test_enabled_for_warp_size_vIXT1_EEEvE4typeEPT_S4_.uses_flat_scratch, 0
	.set _Z26warp_inclusive_scan_kernelIiLj1ELj61EENSt9enable_ifIXsr10test_utilsE35device_test_enabled_for_warp_size_vIXT1_EEEvE4typeEPT_S4_.has_dyn_sized_stack, 0
	.set _Z26warp_inclusive_scan_kernelIiLj1ELj61EENSt9enable_ifIXsr10test_utilsE35device_test_enabled_for_warp_size_vIXT1_EEEvE4typeEPT_S4_.has_recursion, 0
	.set _Z26warp_inclusive_scan_kernelIiLj1ELj61EENSt9enable_ifIXsr10test_utilsE35device_test_enabled_for_warp_size_vIXT1_EEEvE4typeEPT_S4_.has_indirect_call, 0
	.section	.AMDGPU.csdata,"",@progbits
; Kernel info:
; codeLenInByte = 468
; TotalNumSgprs: 14
; NumVgprs: 3
; ScratchSize: 0
; MemoryBound: 0
; FloatMode: 240
; IeeeMode: 1
; LDSByteSize: 244 bytes/workgroup (compile time only)
; SGPRBlocks: 1
; VGPRBlocks: 0
; NumSGPRsForWavesPerEU: 14
; NumVGPRsForWavesPerEU: 3
; Occupancy: 10
; WaveLimiterHint : 0
; COMPUTE_PGM_RSRC2:SCRATCH_EN: 0
; COMPUTE_PGM_RSRC2:USER_SGPR: 6
; COMPUTE_PGM_RSRC2:TRAP_HANDLER: 0
; COMPUTE_PGM_RSRC2:TGID_X_EN: 1
; COMPUTE_PGM_RSRC2:TGID_Y_EN: 0
; COMPUTE_PGM_RSRC2:TGID_Z_EN: 0
; COMPUTE_PGM_RSRC2:TIDIG_COMP_CNT: 0
	.section	.text._Z26warp_inclusive_scan_kernelIiLj61ELj61EENSt9enable_ifIXsr10test_utilsE35device_test_enabled_for_warp_size_vIXT1_EEEvE4typeEPT_S4_,"axG",@progbits,_Z26warp_inclusive_scan_kernelIiLj61ELj61EENSt9enable_ifIXsr10test_utilsE35device_test_enabled_for_warp_size_vIXT1_EEEvE4typeEPT_S4_,comdat
	.protected	_Z26warp_inclusive_scan_kernelIiLj61ELj61EENSt9enable_ifIXsr10test_utilsE35device_test_enabled_for_warp_size_vIXT1_EEEvE4typeEPT_S4_ ; -- Begin function _Z26warp_inclusive_scan_kernelIiLj61ELj61EENSt9enable_ifIXsr10test_utilsE35device_test_enabled_for_warp_size_vIXT1_EEEvE4typeEPT_S4_
	.globl	_Z26warp_inclusive_scan_kernelIiLj61ELj61EENSt9enable_ifIXsr10test_utilsE35device_test_enabled_for_warp_size_vIXT1_EEEvE4typeEPT_S4_
	.p2align	8
	.type	_Z26warp_inclusive_scan_kernelIiLj61ELj61EENSt9enable_ifIXsr10test_utilsE35device_test_enabled_for_warp_size_vIXT1_EEEvE4typeEPT_S4_,@function
_Z26warp_inclusive_scan_kernelIiLj61ELj61EENSt9enable_ifIXsr10test_utilsE35device_test_enabled_for_warp_size_vIXT1_EEEvE4typeEPT_S4_: ; @_Z26warp_inclusive_scan_kernelIiLj61ELj61EENSt9enable_ifIXsr10test_utilsE35device_test_enabled_for_warp_size_vIXT1_EEEvE4typeEPT_S4_
; %bb.0:
	s_load_dword s7, s[4:5], 0x1c
	s_load_dwordx4 s[0:3], s[4:5], 0x0
	v_mov_b32_e32 v2, 0
	s_waitcnt lgkmcnt(0)
	s_and_b32 s4, s7, 0xffff
	s_mul_i32 s6, s6, s4
	v_add_u32_e32 v1, s6, v0
	v_lshlrev_b64 v[1:2], 2, v[1:2]
	v_mov_b32_e32 v4, s1
	v_add_co_u32_e32 v3, vcc, s0, v1
	v_addc_co_u32_e32 v4, vcc, v4, v2, vcc
	global_load_dword v3, v[3:4], off
	v_mbcnt_lo_u32_b32 v4, -1, 0
	s_mov_b32 s0, 0x4325c54
	v_mbcnt_hi_u32_b32 v4, -1, v4
	v_mul_hi_u32 v5, v4, s0
	v_mul_u32_u24_e32 v0, 0x433, v0
	s_movk_i32 s0, 0xf4
	v_lshrrev_b32_e32 v0, 16, v0
	v_mul_u32_u24_e32 v5, 61, v5
	v_sub_u32_e32 v4, v4, v5
	v_lshlrev_b32_e32 v5, 2, v4
	v_mad_u32_u24 v0, v0, s0, v5
	v_cmp_ne_u32_e32 vcc, 0, v4
	s_waitcnt vmcnt(0)
	ds_write_b32 v0, v3
	; wave barrier
	s_and_saveexec_b64 s[0:1], vcc
	s_cbranch_execz .LBB11_2
; %bb.1:
	v_add_u32_e32 v5, -4, v0
	ds_read_b32 v5, v5
	s_waitcnt lgkmcnt(0)
	v_add_u32_e32 v3, v5, v3
.LBB11_2:
	s_or_b64 exec, exec, s[0:1]
	; wave barrier
	s_and_saveexec_b64 s[0:1], vcc
; %bb.3:
	ds_write_b32 v0, v3
; %bb.4:
	s_or_b64 exec, exec, s[0:1]
	v_cmp_lt_u32_e32 vcc, 1, v4
	; wave barrier
	s_and_saveexec_b64 s[0:1], vcc
	s_cbranch_execz .LBB11_6
; %bb.5:
	v_add_u32_e32 v5, -8, v0
	ds_read_b32 v5, v5
	s_waitcnt lgkmcnt(0)
	v_add_u32_e32 v3, v5, v3
.LBB11_6:
	s_or_b64 exec, exec, s[0:1]
	; wave barrier
	s_and_saveexec_b64 s[0:1], vcc
; %bb.7:
	ds_write_b32 v0, v3
; %bb.8:
	s_or_b64 exec, exec, s[0:1]
	v_cmp_lt_u32_e32 vcc, 3, v4
	;; [unrolled: 17-line block ×3, first 2 shown]
	; wave barrier
	s_and_saveexec_b64 s[0:1], vcc
	s_cbranch_execz .LBB11_14
; %bb.13:
	v_subrev_u32_e32 v5, 32, v0
	ds_read_b32 v5, v5
	s_waitcnt lgkmcnt(0)
	v_add_u32_e32 v3, v5, v3
.LBB11_14:
	s_or_b64 exec, exec, s[0:1]
	; wave barrier
	s_and_saveexec_b64 s[0:1], vcc
; %bb.15:
	ds_write_b32 v0, v3
; %bb.16:
	s_or_b64 exec, exec, s[0:1]
	v_cmp_lt_u32_e32 vcc, 15, v4
	; wave barrier
	s_and_saveexec_b64 s[0:1], vcc
	s_cbranch_execz .LBB11_18
; %bb.17:
	v_subrev_u32_e32 v5, 64, v0
	ds_read_b32 v5, v5
	s_waitcnt lgkmcnt(0)
	v_add_u32_e32 v3, v5, v3
.LBB11_18:
	s_or_b64 exec, exec, s[0:1]
	; wave barrier
	s_and_saveexec_b64 s[0:1], vcc
; %bb.19:
	ds_write_b32 v0, v3
; %bb.20:
	s_or_b64 exec, exec, s[0:1]
	v_cmp_lt_u32_e32 vcc, 31, v4
	; wave barrier
	s_and_saveexec_b64 s[0:1], vcc
	s_cbranch_execz .LBB11_22
; %bb.21:
	v_add_u32_e32 v4, 0xffffff80, v0
	ds_read_b32 v4, v4
	s_waitcnt lgkmcnt(0)
	v_add_u32_e32 v3, v4, v3
.LBB11_22:
	s_or_b64 exec, exec, s[0:1]
	; wave barrier
	s_and_saveexec_b64 s[0:1], vcc
; %bb.23:
	ds_write_b32 v0, v3
; %bb.24:
	s_or_b64 exec, exec, s[0:1]
	v_mov_b32_e32 v4, s3
	v_add_co_u32_e32 v0, vcc, s2, v1
	v_addc_co_u32_e32 v1, vcc, v4, v2, vcc
	; wave barrier
	global_store_dword v[0:1], v3, off
	s_endpgm
	.section	.rodata,"a",@progbits
	.p2align	6, 0x0
	.amdhsa_kernel _Z26warp_inclusive_scan_kernelIiLj61ELj61EENSt9enable_ifIXsr10test_utilsE35device_test_enabled_for_warp_size_vIXT1_EEEvE4typeEPT_S4_
		.amdhsa_group_segment_fixed_size 244
		.amdhsa_private_segment_fixed_size 0
		.amdhsa_kernarg_size 272
		.amdhsa_user_sgpr_count 6
		.amdhsa_user_sgpr_private_segment_buffer 1
		.amdhsa_user_sgpr_dispatch_ptr 0
		.amdhsa_user_sgpr_queue_ptr 0
		.amdhsa_user_sgpr_kernarg_segment_ptr 1
		.amdhsa_user_sgpr_dispatch_id 0
		.amdhsa_user_sgpr_flat_scratch_init 0
		.amdhsa_user_sgpr_private_segment_size 0
		.amdhsa_uses_dynamic_stack 0
		.amdhsa_system_sgpr_private_segment_wavefront_offset 0
		.amdhsa_system_sgpr_workgroup_id_x 1
		.amdhsa_system_sgpr_workgroup_id_y 0
		.amdhsa_system_sgpr_workgroup_id_z 0
		.amdhsa_system_sgpr_workgroup_info 0
		.amdhsa_system_vgpr_workitem_id 0
		.amdhsa_next_free_vgpr 6
		.amdhsa_next_free_sgpr 8
		.amdhsa_reserve_vcc 1
		.amdhsa_reserve_flat_scratch 0
		.amdhsa_float_round_mode_32 0
		.amdhsa_float_round_mode_16_64 0
		.amdhsa_float_denorm_mode_32 3
		.amdhsa_float_denorm_mode_16_64 3
		.amdhsa_dx10_clamp 1
		.amdhsa_ieee_mode 1
		.amdhsa_fp16_overflow 0
		.amdhsa_exception_fp_ieee_invalid_op 0
		.amdhsa_exception_fp_denorm_src 0
		.amdhsa_exception_fp_ieee_div_zero 0
		.amdhsa_exception_fp_ieee_overflow 0
		.amdhsa_exception_fp_ieee_underflow 0
		.amdhsa_exception_fp_ieee_inexact 0
		.amdhsa_exception_int_div_zero 0
	.end_amdhsa_kernel
	.section	.text._Z26warp_inclusive_scan_kernelIiLj61ELj61EENSt9enable_ifIXsr10test_utilsE35device_test_enabled_for_warp_size_vIXT1_EEEvE4typeEPT_S4_,"axG",@progbits,_Z26warp_inclusive_scan_kernelIiLj61ELj61EENSt9enable_ifIXsr10test_utilsE35device_test_enabled_for_warp_size_vIXT1_EEEvE4typeEPT_S4_,comdat
.Lfunc_end11:
	.size	_Z26warp_inclusive_scan_kernelIiLj61ELj61EENSt9enable_ifIXsr10test_utilsE35device_test_enabled_for_warp_size_vIXT1_EEEvE4typeEPT_S4_, .Lfunc_end11-_Z26warp_inclusive_scan_kernelIiLj61ELj61EENSt9enable_ifIXsr10test_utilsE35device_test_enabled_for_warp_size_vIXT1_EEEvE4typeEPT_S4_
                                        ; -- End function
	.set _Z26warp_inclusive_scan_kernelIiLj61ELj61EENSt9enable_ifIXsr10test_utilsE35device_test_enabled_for_warp_size_vIXT1_EEEvE4typeEPT_S4_.num_vgpr, 6
	.set _Z26warp_inclusive_scan_kernelIiLj61ELj61EENSt9enable_ifIXsr10test_utilsE35device_test_enabled_for_warp_size_vIXT1_EEEvE4typeEPT_S4_.num_agpr, 0
	.set _Z26warp_inclusive_scan_kernelIiLj61ELj61EENSt9enable_ifIXsr10test_utilsE35device_test_enabled_for_warp_size_vIXT1_EEEvE4typeEPT_S4_.numbered_sgpr, 8
	.set _Z26warp_inclusive_scan_kernelIiLj61ELj61EENSt9enable_ifIXsr10test_utilsE35device_test_enabled_for_warp_size_vIXT1_EEEvE4typeEPT_S4_.num_named_barrier, 0
	.set _Z26warp_inclusive_scan_kernelIiLj61ELj61EENSt9enable_ifIXsr10test_utilsE35device_test_enabled_for_warp_size_vIXT1_EEEvE4typeEPT_S4_.private_seg_size, 0
	.set _Z26warp_inclusive_scan_kernelIiLj61ELj61EENSt9enable_ifIXsr10test_utilsE35device_test_enabled_for_warp_size_vIXT1_EEEvE4typeEPT_S4_.uses_vcc, 1
	.set _Z26warp_inclusive_scan_kernelIiLj61ELj61EENSt9enable_ifIXsr10test_utilsE35device_test_enabled_for_warp_size_vIXT1_EEEvE4typeEPT_S4_.uses_flat_scratch, 0
	.set _Z26warp_inclusive_scan_kernelIiLj61ELj61EENSt9enable_ifIXsr10test_utilsE35device_test_enabled_for_warp_size_vIXT1_EEEvE4typeEPT_S4_.has_dyn_sized_stack, 0
	.set _Z26warp_inclusive_scan_kernelIiLj61ELj61EENSt9enable_ifIXsr10test_utilsE35device_test_enabled_for_warp_size_vIXT1_EEEvE4typeEPT_S4_.has_recursion, 0
	.set _Z26warp_inclusive_scan_kernelIiLj61ELj61EENSt9enable_ifIXsr10test_utilsE35device_test_enabled_for_warp_size_vIXT1_EEEvE4typeEPT_S4_.has_indirect_call, 0
	.section	.AMDGPU.csdata,"",@progbits
; Kernel info:
; codeLenInByte = 488
; TotalNumSgprs: 12
; NumVgprs: 6
; ScratchSize: 0
; MemoryBound: 0
; FloatMode: 240
; IeeeMode: 1
; LDSByteSize: 244 bytes/workgroup (compile time only)
; SGPRBlocks: 1
; VGPRBlocks: 1
; NumSGPRsForWavesPerEU: 12
; NumVGPRsForWavesPerEU: 6
; Occupancy: 10
; WaveLimiterHint : 0
; COMPUTE_PGM_RSRC2:SCRATCH_EN: 0
; COMPUTE_PGM_RSRC2:USER_SGPR: 6
; COMPUTE_PGM_RSRC2:TRAP_HANDLER: 0
; COMPUTE_PGM_RSRC2:TGID_X_EN: 1
; COMPUTE_PGM_RSRC2:TGID_Y_EN: 0
; COMPUTE_PGM_RSRC2:TGID_Z_EN: 0
; COMPUTE_PGM_RSRC2:TIDIG_COMP_CNT: 0
	.section	.text._Z26warp_inclusive_scan_kernelIiLj1ELj37EENSt9enable_ifIXsr10test_utilsE35device_test_enabled_for_warp_size_vIXT1_EEEvE4typeEPT_S4_,"axG",@progbits,_Z26warp_inclusive_scan_kernelIiLj1ELj37EENSt9enable_ifIXsr10test_utilsE35device_test_enabled_for_warp_size_vIXT1_EEEvE4typeEPT_S4_,comdat
	.protected	_Z26warp_inclusive_scan_kernelIiLj1ELj37EENSt9enable_ifIXsr10test_utilsE35device_test_enabled_for_warp_size_vIXT1_EEEvE4typeEPT_S4_ ; -- Begin function _Z26warp_inclusive_scan_kernelIiLj1ELj37EENSt9enable_ifIXsr10test_utilsE35device_test_enabled_for_warp_size_vIXT1_EEEvE4typeEPT_S4_
	.globl	_Z26warp_inclusive_scan_kernelIiLj1ELj37EENSt9enable_ifIXsr10test_utilsE35device_test_enabled_for_warp_size_vIXT1_EEEvE4typeEPT_S4_
	.p2align	8
	.type	_Z26warp_inclusive_scan_kernelIiLj1ELj37EENSt9enable_ifIXsr10test_utilsE35device_test_enabled_for_warp_size_vIXT1_EEEvE4typeEPT_S4_,@function
_Z26warp_inclusive_scan_kernelIiLj1ELj37EENSt9enable_ifIXsr10test_utilsE35device_test_enabled_for_warp_size_vIXT1_EEEvE4typeEPT_S4_: ; @_Z26warp_inclusive_scan_kernelIiLj1ELj37EENSt9enable_ifIXsr10test_utilsE35device_test_enabled_for_warp_size_vIXT1_EEEvE4typeEPT_S4_
; %bb.0:
	s_load_dword s7, s[4:5], 0x1c
	s_load_dwordx4 s[0:3], s[4:5], 0x0
	s_mov_b32 s5, 0
	v_mbcnt_lo_u32_b32 v0, -1, 0
	v_mbcnt_hi_u32_b32 v0, -1, v0
	s_waitcnt lgkmcnt(0)
	s_and_b32 s4, s7, 0xffff
	s_mul_i32 s4, s6, s4
	s_lshl_b64 s[4:5], s[4:5], 2
	s_mov_b32 s6, 0x6eb3e46
	v_mul_hi_u32 v1, v0, s6
	s_add_u32 s0, s0, s4
	s_addc_u32 s1, s1, s5
	s_load_dword s0, s[0:1], 0x0
	v_mul_u32_u24_e32 v1, 37, v1
	v_sub_u32_e32 v1, v0, v1
	v_cmp_eq_u32_e32 vcc, 0, v1
	v_readfirstlane_b32 s6, v1
	v_lshlrev_b32_e32 v0, 2, v1
	s_waitcnt lgkmcnt(0)
	v_mov_b32_e32 v2, s0
	s_and_b64 s[8:9], vcc, exec
	v_cmp_ne_u32_e32 vcc, 0, v1
	ds_write_b32 v0, v2
	; wave barrier
	s_cbranch_scc1 .LBB12_2
; %bb.1:
	v_add_u32_e32 v1, -4, v0
	ds_read_b32 v1, v1
	s_waitcnt lgkmcnt(0)
	v_add_u32_e32 v1, s0, v1
	s_branch .LBB12_3
.LBB12_2:
	v_mov_b32_e32 v1, s0
.LBB12_3:
	s_andn2_b64 vcc, exec, vcc
	; wave barrier
	s_cbranch_vccnz .LBB12_5
; %bb.4:
	ds_write_b32 v0, v1
.LBB12_5:
	s_cmp_gt_u32 s6, 1
	s_cselect_b64 s[0:1], -1, 0
	s_cmp_lt_u32 s6, 2
	; wave barrier
	s_cbranch_scc1 .LBB12_7
; %bb.6:
	v_add_u32_e32 v2, -8, v0
	ds_read_b32 v2, v2
	s_waitcnt lgkmcnt(0)
	v_add_u32_e32 v1, v2, v1
.LBB12_7:
	s_andn2_b64 vcc, exec, s[0:1]
	; wave barrier
	s_cbranch_vccnz .LBB12_9
; %bb.8:
	ds_write_b32 v0, v1
.LBB12_9:
	s_cmp_gt_u32 s6, 3
	s_cselect_b64 s[0:1], -1, 0
	s_cmp_lt_u32 s6, 4
	; wave barrier
	s_cbranch_scc1 .LBB12_11
; %bb.10:
	v_add_u32_e32 v2, -16, v0
	ds_read_b32 v2, v2
	s_waitcnt lgkmcnt(0)
	v_add_u32_e32 v1, v2, v1
.LBB12_11:
	s_andn2_b64 vcc, exec, s[0:1]
	; wave barrier
	s_cbranch_vccnz .LBB12_13
; %bb.12:
	ds_write_b32 v0, v1
.LBB12_13:
	s_cmp_gt_u32 s6, 7
	s_cselect_b64 s[0:1], -1, 0
	s_cmp_lt_u32 s6, 8
	; wave barrier
	s_cbranch_scc1 .LBB12_15
; %bb.14:
	v_subrev_u32_e32 v2, 32, v0
	ds_read_b32 v2, v2
	s_waitcnt lgkmcnt(0)
	v_add_u32_e32 v1, v2, v1
.LBB12_15:
	s_andn2_b64 vcc, exec, s[0:1]
	; wave barrier
	s_cbranch_vccnz .LBB12_17
; %bb.16:
	ds_write_b32 v0, v1
.LBB12_17:
	s_cmp_gt_u32 s6, 15
	s_cselect_b64 s[0:1], -1, 0
	s_cmp_lt_u32 s6, 16
	; wave barrier
	s_cbranch_scc1 .LBB12_19
; %bb.18:
	v_subrev_u32_e32 v2, 64, v0
	ds_read_b32 v2, v2
	s_waitcnt lgkmcnt(0)
	v_add_u32_e32 v1, v2, v1
.LBB12_19:
	s_andn2_b64 vcc, exec, s[0:1]
	; wave barrier
	s_cbranch_vccnz .LBB12_21
; %bb.20:
	ds_write_b32 v0, v1
.LBB12_21:
	s_cmp_gt_u32 s6, 31
	s_cselect_b64 s[0:1], -1, 0
	s_cmp_lt_u32 s6, 32
	; wave barrier
	s_cbranch_scc1 .LBB12_23
; %bb.22:
	v_add_u32_e32 v2, 0xffffff80, v0
	ds_read_b32 v2, v2
	s_waitcnt lgkmcnt(0)
	v_add_u32_e32 v1, v2, v1
.LBB12_23:
	s_andn2_b64 vcc, exec, s[0:1]
	; wave barrier
	s_cbranch_vccnz .LBB12_25
; %bb.24:
	ds_write_b32 v0, v1
.LBB12_25:
	s_add_u32 s0, s2, s4
	s_addc_u32 s1, s3, s5
	v_mov_b32_e32 v0, 0
	; wave barrier
	global_store_dword v0, v1, s[0:1]
	s_endpgm
	.section	.rodata,"a",@progbits
	.p2align	6, 0x0
	.amdhsa_kernel _Z26warp_inclusive_scan_kernelIiLj1ELj37EENSt9enable_ifIXsr10test_utilsE35device_test_enabled_for_warp_size_vIXT1_EEEvE4typeEPT_S4_
		.amdhsa_group_segment_fixed_size 148
		.amdhsa_private_segment_fixed_size 0
		.amdhsa_kernarg_size 272
		.amdhsa_user_sgpr_count 6
		.amdhsa_user_sgpr_private_segment_buffer 1
		.amdhsa_user_sgpr_dispatch_ptr 0
		.amdhsa_user_sgpr_queue_ptr 0
		.amdhsa_user_sgpr_kernarg_segment_ptr 1
		.amdhsa_user_sgpr_dispatch_id 0
		.amdhsa_user_sgpr_flat_scratch_init 0
		.amdhsa_user_sgpr_private_segment_size 0
		.amdhsa_uses_dynamic_stack 0
		.amdhsa_system_sgpr_private_segment_wavefront_offset 0
		.amdhsa_system_sgpr_workgroup_id_x 1
		.amdhsa_system_sgpr_workgroup_id_y 0
		.amdhsa_system_sgpr_workgroup_id_z 0
		.amdhsa_system_sgpr_workgroup_info 0
		.amdhsa_system_vgpr_workitem_id 0
		.amdhsa_next_free_vgpr 3
		.amdhsa_next_free_sgpr 10
		.amdhsa_reserve_vcc 1
		.amdhsa_reserve_flat_scratch 0
		.amdhsa_float_round_mode_32 0
		.amdhsa_float_round_mode_16_64 0
		.amdhsa_float_denorm_mode_32 3
		.amdhsa_float_denorm_mode_16_64 3
		.amdhsa_dx10_clamp 1
		.amdhsa_ieee_mode 1
		.amdhsa_fp16_overflow 0
		.amdhsa_exception_fp_ieee_invalid_op 0
		.amdhsa_exception_fp_denorm_src 0
		.amdhsa_exception_fp_ieee_div_zero 0
		.amdhsa_exception_fp_ieee_overflow 0
		.amdhsa_exception_fp_ieee_underflow 0
		.amdhsa_exception_fp_ieee_inexact 0
		.amdhsa_exception_int_div_zero 0
	.end_amdhsa_kernel
	.section	.text._Z26warp_inclusive_scan_kernelIiLj1ELj37EENSt9enable_ifIXsr10test_utilsE35device_test_enabled_for_warp_size_vIXT1_EEEvE4typeEPT_S4_,"axG",@progbits,_Z26warp_inclusive_scan_kernelIiLj1ELj37EENSt9enable_ifIXsr10test_utilsE35device_test_enabled_for_warp_size_vIXT1_EEEvE4typeEPT_S4_,comdat
.Lfunc_end12:
	.size	_Z26warp_inclusive_scan_kernelIiLj1ELj37EENSt9enable_ifIXsr10test_utilsE35device_test_enabled_for_warp_size_vIXT1_EEEvE4typeEPT_S4_, .Lfunc_end12-_Z26warp_inclusive_scan_kernelIiLj1ELj37EENSt9enable_ifIXsr10test_utilsE35device_test_enabled_for_warp_size_vIXT1_EEEvE4typeEPT_S4_
                                        ; -- End function
	.set _Z26warp_inclusive_scan_kernelIiLj1ELj37EENSt9enable_ifIXsr10test_utilsE35device_test_enabled_for_warp_size_vIXT1_EEEvE4typeEPT_S4_.num_vgpr, 3
	.set _Z26warp_inclusive_scan_kernelIiLj1ELj37EENSt9enable_ifIXsr10test_utilsE35device_test_enabled_for_warp_size_vIXT1_EEEvE4typeEPT_S4_.num_agpr, 0
	.set _Z26warp_inclusive_scan_kernelIiLj1ELj37EENSt9enable_ifIXsr10test_utilsE35device_test_enabled_for_warp_size_vIXT1_EEEvE4typeEPT_S4_.numbered_sgpr, 10
	.set _Z26warp_inclusive_scan_kernelIiLj1ELj37EENSt9enable_ifIXsr10test_utilsE35device_test_enabled_for_warp_size_vIXT1_EEEvE4typeEPT_S4_.num_named_barrier, 0
	.set _Z26warp_inclusive_scan_kernelIiLj1ELj37EENSt9enable_ifIXsr10test_utilsE35device_test_enabled_for_warp_size_vIXT1_EEEvE4typeEPT_S4_.private_seg_size, 0
	.set _Z26warp_inclusive_scan_kernelIiLj1ELj37EENSt9enable_ifIXsr10test_utilsE35device_test_enabled_for_warp_size_vIXT1_EEEvE4typeEPT_S4_.uses_vcc, 1
	.set _Z26warp_inclusive_scan_kernelIiLj1ELj37EENSt9enable_ifIXsr10test_utilsE35device_test_enabled_for_warp_size_vIXT1_EEEvE4typeEPT_S4_.uses_flat_scratch, 0
	.set _Z26warp_inclusive_scan_kernelIiLj1ELj37EENSt9enable_ifIXsr10test_utilsE35device_test_enabled_for_warp_size_vIXT1_EEEvE4typeEPT_S4_.has_dyn_sized_stack, 0
	.set _Z26warp_inclusive_scan_kernelIiLj1ELj37EENSt9enable_ifIXsr10test_utilsE35device_test_enabled_for_warp_size_vIXT1_EEEvE4typeEPT_S4_.has_recursion, 0
	.set _Z26warp_inclusive_scan_kernelIiLj1ELj37EENSt9enable_ifIXsr10test_utilsE35device_test_enabled_for_warp_size_vIXT1_EEEvE4typeEPT_S4_.has_indirect_call, 0
	.section	.AMDGPU.csdata,"",@progbits
; Kernel info:
; codeLenInByte = 468
; TotalNumSgprs: 14
; NumVgprs: 3
; ScratchSize: 0
; MemoryBound: 0
; FloatMode: 240
; IeeeMode: 1
; LDSByteSize: 148 bytes/workgroup (compile time only)
; SGPRBlocks: 1
; VGPRBlocks: 0
; NumSGPRsForWavesPerEU: 14
; NumVGPRsForWavesPerEU: 3
; Occupancy: 10
; WaveLimiterHint : 0
; COMPUTE_PGM_RSRC2:SCRATCH_EN: 0
; COMPUTE_PGM_RSRC2:USER_SGPR: 6
; COMPUTE_PGM_RSRC2:TRAP_HANDLER: 0
; COMPUTE_PGM_RSRC2:TGID_X_EN: 1
; COMPUTE_PGM_RSRC2:TGID_Y_EN: 0
; COMPUTE_PGM_RSRC2:TGID_Z_EN: 0
; COMPUTE_PGM_RSRC2:TIDIG_COMP_CNT: 0
	.section	.text._Z26warp_inclusive_scan_kernelIiLj37ELj37EENSt9enable_ifIXsr10test_utilsE35device_test_enabled_for_warp_size_vIXT1_EEEvE4typeEPT_S4_,"axG",@progbits,_Z26warp_inclusive_scan_kernelIiLj37ELj37EENSt9enable_ifIXsr10test_utilsE35device_test_enabled_for_warp_size_vIXT1_EEEvE4typeEPT_S4_,comdat
	.protected	_Z26warp_inclusive_scan_kernelIiLj37ELj37EENSt9enable_ifIXsr10test_utilsE35device_test_enabled_for_warp_size_vIXT1_EEEvE4typeEPT_S4_ ; -- Begin function _Z26warp_inclusive_scan_kernelIiLj37ELj37EENSt9enable_ifIXsr10test_utilsE35device_test_enabled_for_warp_size_vIXT1_EEEvE4typeEPT_S4_
	.globl	_Z26warp_inclusive_scan_kernelIiLj37ELj37EENSt9enable_ifIXsr10test_utilsE35device_test_enabled_for_warp_size_vIXT1_EEEvE4typeEPT_S4_
	.p2align	8
	.type	_Z26warp_inclusive_scan_kernelIiLj37ELj37EENSt9enable_ifIXsr10test_utilsE35device_test_enabled_for_warp_size_vIXT1_EEEvE4typeEPT_S4_,@function
_Z26warp_inclusive_scan_kernelIiLj37ELj37EENSt9enable_ifIXsr10test_utilsE35device_test_enabled_for_warp_size_vIXT1_EEEvE4typeEPT_S4_: ; @_Z26warp_inclusive_scan_kernelIiLj37ELj37EENSt9enable_ifIXsr10test_utilsE35device_test_enabled_for_warp_size_vIXT1_EEEvE4typeEPT_S4_
; %bb.0:
	s_load_dword s7, s[4:5], 0x1c
	s_load_dwordx4 s[0:3], s[4:5], 0x0
	v_mov_b32_e32 v2, 0
	s_waitcnt lgkmcnt(0)
	s_and_b32 s4, s7, 0xffff
	s_mul_i32 s6, s6, s4
	v_add_u32_e32 v1, s6, v0
	v_lshlrev_b64 v[1:2], 2, v[1:2]
	v_mov_b32_e32 v4, s1
	v_add_co_u32_e32 v3, vcc, s0, v1
	v_addc_co_u32_e32 v4, vcc, v4, v2, vcc
	global_load_dword v3, v[3:4], off
	v_mbcnt_lo_u32_b32 v4, -1, 0
	s_mov_b32 s0, 0x6eb3e46
	v_mbcnt_hi_u32_b32 v4, -1, v4
	v_mul_hi_u32 v5, v4, s0
	v_mul_u32_u24_e32 v0, 0x6ec, v0
	s_movk_i32 s0, 0x94
	v_lshrrev_b32_e32 v0, 16, v0
	v_mul_u32_u24_e32 v5, 37, v5
	v_sub_u32_e32 v4, v4, v5
	v_lshlrev_b32_e32 v5, 2, v4
	v_mad_u32_u24 v0, v0, s0, v5
	v_cmp_ne_u32_e32 vcc, 0, v4
	s_waitcnt vmcnt(0)
	ds_write_b32 v0, v3
	; wave barrier
	s_and_saveexec_b64 s[0:1], vcc
	s_cbranch_execz .LBB13_2
; %bb.1:
	v_add_u32_e32 v5, -4, v0
	ds_read_b32 v5, v5
	s_waitcnt lgkmcnt(0)
	v_add_u32_e32 v3, v5, v3
.LBB13_2:
	s_or_b64 exec, exec, s[0:1]
	; wave barrier
	s_and_saveexec_b64 s[0:1], vcc
; %bb.3:
	ds_write_b32 v0, v3
; %bb.4:
	s_or_b64 exec, exec, s[0:1]
	v_cmp_lt_u32_e32 vcc, 1, v4
	; wave barrier
	s_and_saveexec_b64 s[0:1], vcc
	s_cbranch_execz .LBB13_6
; %bb.5:
	v_add_u32_e32 v5, -8, v0
	ds_read_b32 v5, v5
	s_waitcnt lgkmcnt(0)
	v_add_u32_e32 v3, v5, v3
.LBB13_6:
	s_or_b64 exec, exec, s[0:1]
	; wave barrier
	s_and_saveexec_b64 s[0:1], vcc
; %bb.7:
	ds_write_b32 v0, v3
; %bb.8:
	s_or_b64 exec, exec, s[0:1]
	v_cmp_lt_u32_e32 vcc, 3, v4
	;; [unrolled: 17-line block ×3, first 2 shown]
	; wave barrier
	s_and_saveexec_b64 s[0:1], vcc
	s_cbranch_execz .LBB13_14
; %bb.13:
	v_subrev_u32_e32 v5, 32, v0
	ds_read_b32 v5, v5
	s_waitcnt lgkmcnt(0)
	v_add_u32_e32 v3, v5, v3
.LBB13_14:
	s_or_b64 exec, exec, s[0:1]
	; wave barrier
	s_and_saveexec_b64 s[0:1], vcc
; %bb.15:
	ds_write_b32 v0, v3
; %bb.16:
	s_or_b64 exec, exec, s[0:1]
	v_cmp_lt_u32_e32 vcc, 15, v4
	; wave barrier
	s_and_saveexec_b64 s[0:1], vcc
	s_cbranch_execz .LBB13_18
; %bb.17:
	v_subrev_u32_e32 v5, 64, v0
	ds_read_b32 v5, v5
	s_waitcnt lgkmcnt(0)
	v_add_u32_e32 v3, v5, v3
.LBB13_18:
	s_or_b64 exec, exec, s[0:1]
	; wave barrier
	s_and_saveexec_b64 s[0:1], vcc
; %bb.19:
	ds_write_b32 v0, v3
; %bb.20:
	s_or_b64 exec, exec, s[0:1]
	v_cmp_lt_u32_e32 vcc, 31, v4
	; wave barrier
	s_and_saveexec_b64 s[0:1], vcc
	s_cbranch_execz .LBB13_22
; %bb.21:
	v_add_u32_e32 v4, 0xffffff80, v0
	ds_read_b32 v4, v4
	s_waitcnt lgkmcnt(0)
	v_add_u32_e32 v3, v4, v3
.LBB13_22:
	s_or_b64 exec, exec, s[0:1]
	; wave barrier
	s_and_saveexec_b64 s[0:1], vcc
; %bb.23:
	ds_write_b32 v0, v3
; %bb.24:
	s_or_b64 exec, exec, s[0:1]
	v_mov_b32_e32 v4, s3
	v_add_co_u32_e32 v0, vcc, s2, v1
	v_addc_co_u32_e32 v1, vcc, v4, v2, vcc
	; wave barrier
	global_store_dword v[0:1], v3, off
	s_endpgm
	.section	.rodata,"a",@progbits
	.p2align	6, 0x0
	.amdhsa_kernel _Z26warp_inclusive_scan_kernelIiLj37ELj37EENSt9enable_ifIXsr10test_utilsE35device_test_enabled_for_warp_size_vIXT1_EEEvE4typeEPT_S4_
		.amdhsa_group_segment_fixed_size 148
		.amdhsa_private_segment_fixed_size 0
		.amdhsa_kernarg_size 272
		.amdhsa_user_sgpr_count 6
		.amdhsa_user_sgpr_private_segment_buffer 1
		.amdhsa_user_sgpr_dispatch_ptr 0
		.amdhsa_user_sgpr_queue_ptr 0
		.amdhsa_user_sgpr_kernarg_segment_ptr 1
		.amdhsa_user_sgpr_dispatch_id 0
		.amdhsa_user_sgpr_flat_scratch_init 0
		.amdhsa_user_sgpr_private_segment_size 0
		.amdhsa_uses_dynamic_stack 0
		.amdhsa_system_sgpr_private_segment_wavefront_offset 0
		.amdhsa_system_sgpr_workgroup_id_x 1
		.amdhsa_system_sgpr_workgroup_id_y 0
		.amdhsa_system_sgpr_workgroup_id_z 0
		.amdhsa_system_sgpr_workgroup_info 0
		.amdhsa_system_vgpr_workitem_id 0
		.amdhsa_next_free_vgpr 6
		.amdhsa_next_free_sgpr 8
		.amdhsa_reserve_vcc 1
		.amdhsa_reserve_flat_scratch 0
		.amdhsa_float_round_mode_32 0
		.amdhsa_float_round_mode_16_64 0
		.amdhsa_float_denorm_mode_32 3
		.amdhsa_float_denorm_mode_16_64 3
		.amdhsa_dx10_clamp 1
		.amdhsa_ieee_mode 1
		.amdhsa_fp16_overflow 0
		.amdhsa_exception_fp_ieee_invalid_op 0
		.amdhsa_exception_fp_denorm_src 0
		.amdhsa_exception_fp_ieee_div_zero 0
		.amdhsa_exception_fp_ieee_overflow 0
		.amdhsa_exception_fp_ieee_underflow 0
		.amdhsa_exception_fp_ieee_inexact 0
		.amdhsa_exception_int_div_zero 0
	.end_amdhsa_kernel
	.section	.text._Z26warp_inclusive_scan_kernelIiLj37ELj37EENSt9enable_ifIXsr10test_utilsE35device_test_enabled_for_warp_size_vIXT1_EEEvE4typeEPT_S4_,"axG",@progbits,_Z26warp_inclusive_scan_kernelIiLj37ELj37EENSt9enable_ifIXsr10test_utilsE35device_test_enabled_for_warp_size_vIXT1_EEEvE4typeEPT_S4_,comdat
.Lfunc_end13:
	.size	_Z26warp_inclusive_scan_kernelIiLj37ELj37EENSt9enable_ifIXsr10test_utilsE35device_test_enabled_for_warp_size_vIXT1_EEEvE4typeEPT_S4_, .Lfunc_end13-_Z26warp_inclusive_scan_kernelIiLj37ELj37EENSt9enable_ifIXsr10test_utilsE35device_test_enabled_for_warp_size_vIXT1_EEEvE4typeEPT_S4_
                                        ; -- End function
	.set _Z26warp_inclusive_scan_kernelIiLj37ELj37EENSt9enable_ifIXsr10test_utilsE35device_test_enabled_for_warp_size_vIXT1_EEEvE4typeEPT_S4_.num_vgpr, 6
	.set _Z26warp_inclusive_scan_kernelIiLj37ELj37EENSt9enable_ifIXsr10test_utilsE35device_test_enabled_for_warp_size_vIXT1_EEEvE4typeEPT_S4_.num_agpr, 0
	.set _Z26warp_inclusive_scan_kernelIiLj37ELj37EENSt9enable_ifIXsr10test_utilsE35device_test_enabled_for_warp_size_vIXT1_EEEvE4typeEPT_S4_.numbered_sgpr, 8
	.set _Z26warp_inclusive_scan_kernelIiLj37ELj37EENSt9enable_ifIXsr10test_utilsE35device_test_enabled_for_warp_size_vIXT1_EEEvE4typeEPT_S4_.num_named_barrier, 0
	.set _Z26warp_inclusive_scan_kernelIiLj37ELj37EENSt9enable_ifIXsr10test_utilsE35device_test_enabled_for_warp_size_vIXT1_EEEvE4typeEPT_S4_.private_seg_size, 0
	.set _Z26warp_inclusive_scan_kernelIiLj37ELj37EENSt9enable_ifIXsr10test_utilsE35device_test_enabled_for_warp_size_vIXT1_EEEvE4typeEPT_S4_.uses_vcc, 1
	.set _Z26warp_inclusive_scan_kernelIiLj37ELj37EENSt9enable_ifIXsr10test_utilsE35device_test_enabled_for_warp_size_vIXT1_EEEvE4typeEPT_S4_.uses_flat_scratch, 0
	.set _Z26warp_inclusive_scan_kernelIiLj37ELj37EENSt9enable_ifIXsr10test_utilsE35device_test_enabled_for_warp_size_vIXT1_EEEvE4typeEPT_S4_.has_dyn_sized_stack, 0
	.set _Z26warp_inclusive_scan_kernelIiLj37ELj37EENSt9enable_ifIXsr10test_utilsE35device_test_enabled_for_warp_size_vIXT1_EEEvE4typeEPT_S4_.has_recursion, 0
	.set _Z26warp_inclusive_scan_kernelIiLj37ELj37EENSt9enable_ifIXsr10test_utilsE35device_test_enabled_for_warp_size_vIXT1_EEEvE4typeEPT_S4_.has_indirect_call, 0
	.section	.AMDGPU.csdata,"",@progbits
; Kernel info:
; codeLenInByte = 488
; TotalNumSgprs: 12
; NumVgprs: 6
; ScratchSize: 0
; MemoryBound: 0
; FloatMode: 240
; IeeeMode: 1
; LDSByteSize: 148 bytes/workgroup (compile time only)
; SGPRBlocks: 1
; VGPRBlocks: 1
; NumSGPRsForWavesPerEU: 12
; NumVGPRsForWavesPerEU: 6
; Occupancy: 10
; WaveLimiterHint : 0
; COMPUTE_PGM_RSRC2:SCRATCH_EN: 0
; COMPUTE_PGM_RSRC2:USER_SGPR: 6
; COMPUTE_PGM_RSRC2:TRAP_HANDLER: 0
; COMPUTE_PGM_RSRC2:TGID_X_EN: 1
; COMPUTE_PGM_RSRC2:TGID_Y_EN: 0
; COMPUTE_PGM_RSRC2:TGID_Z_EN: 0
; COMPUTE_PGM_RSRC2:TIDIG_COMP_CNT: 0
	.section	.text._Z26warp_inclusive_scan_kernelIiLj30ELj15EENSt9enable_ifIXsr10test_utilsE35device_test_enabled_for_warp_size_vIXT1_EEEvE4typeEPT_S4_,"axG",@progbits,_Z26warp_inclusive_scan_kernelIiLj30ELj15EENSt9enable_ifIXsr10test_utilsE35device_test_enabled_for_warp_size_vIXT1_EEEvE4typeEPT_S4_,comdat
	.protected	_Z26warp_inclusive_scan_kernelIiLj30ELj15EENSt9enable_ifIXsr10test_utilsE35device_test_enabled_for_warp_size_vIXT1_EEEvE4typeEPT_S4_ ; -- Begin function _Z26warp_inclusive_scan_kernelIiLj30ELj15EENSt9enable_ifIXsr10test_utilsE35device_test_enabled_for_warp_size_vIXT1_EEEvE4typeEPT_S4_
	.globl	_Z26warp_inclusive_scan_kernelIiLj30ELj15EENSt9enable_ifIXsr10test_utilsE35device_test_enabled_for_warp_size_vIXT1_EEEvE4typeEPT_S4_
	.p2align	8
	.type	_Z26warp_inclusive_scan_kernelIiLj30ELj15EENSt9enable_ifIXsr10test_utilsE35device_test_enabled_for_warp_size_vIXT1_EEEvE4typeEPT_S4_,@function
_Z26warp_inclusive_scan_kernelIiLj30ELj15EENSt9enable_ifIXsr10test_utilsE35device_test_enabled_for_warp_size_vIXT1_EEEvE4typeEPT_S4_: ; @_Z26warp_inclusive_scan_kernelIiLj30ELj15EENSt9enable_ifIXsr10test_utilsE35device_test_enabled_for_warp_size_vIXT1_EEEvE4typeEPT_S4_
; %bb.0:
	s_load_dword s7, s[4:5], 0x1c
	s_load_dwordx4 s[0:3], s[4:5], 0x0
	v_mov_b32_e32 v2, 0
	s_waitcnt lgkmcnt(0)
	s_and_b32 s4, s7, 0xffff
	s_mul_i32 s6, s6, s4
	v_add_u32_e32 v1, s6, v0
	v_lshlrev_b64 v[1:2], 2, v[1:2]
	v_mov_b32_e32 v4, s1
	v_add_co_u32_e32 v3, vcc, s0, v1
	v_addc_co_u32_e32 v4, vcc, v4, v2, vcc
	global_load_dword v3, v[3:4], off
	v_mbcnt_lo_u32_b32 v4, -1, 0
	s_mov_b32 s0, 0x11111112
	v_mbcnt_hi_u32_b32 v4, -1, v4
	v_mul_hi_u32 v5, v4, s0
	v_mul_u32_u24_e32 v0, 0x1112, v0
	v_lshrrev_b32_e32 v0, 16, v0
	v_mul_u32_u24_e32 v5, 15, v5
	v_sub_u32_e32 v4, v4, v5
	v_lshlrev_b32_e32 v5, 2, v4
	v_mad_u32_u24 v0, v0, 60, v5
	v_cmp_ne_u32_e32 vcc, 0, v4
	s_waitcnt vmcnt(0)
	ds_write_b32 v0, v3
	; wave barrier
	s_and_saveexec_b64 s[0:1], vcc
	s_cbranch_execz .LBB14_2
; %bb.1:
	v_add_u32_e32 v5, -4, v0
	ds_read_b32 v5, v5
	s_waitcnt lgkmcnt(0)
	v_add_u32_e32 v3, v5, v3
.LBB14_2:
	s_or_b64 exec, exec, s[0:1]
	; wave barrier
	s_and_saveexec_b64 s[0:1], vcc
; %bb.3:
	ds_write_b32 v0, v3
; %bb.4:
	s_or_b64 exec, exec, s[0:1]
	v_cmp_lt_u32_e32 vcc, 1, v4
	; wave barrier
	s_and_saveexec_b64 s[0:1], vcc
	s_cbranch_execz .LBB14_6
; %bb.5:
	v_add_u32_e32 v5, -8, v0
	ds_read_b32 v5, v5
	s_waitcnt lgkmcnt(0)
	v_add_u32_e32 v3, v5, v3
.LBB14_6:
	s_or_b64 exec, exec, s[0:1]
	; wave barrier
	s_and_saveexec_b64 s[0:1], vcc
; %bb.7:
	ds_write_b32 v0, v3
; %bb.8:
	s_or_b64 exec, exec, s[0:1]
	v_cmp_lt_u32_e32 vcc, 3, v4
	;; [unrolled: 17-line block ×3, first 2 shown]
	; wave barrier
	s_and_saveexec_b64 s[0:1], vcc
	s_cbranch_execz .LBB14_14
; %bb.13:
	v_subrev_u32_e32 v4, 32, v0
	ds_read_b32 v4, v4
	s_waitcnt lgkmcnt(0)
	v_add_u32_e32 v3, v4, v3
.LBB14_14:
	s_or_b64 exec, exec, s[0:1]
	; wave barrier
	s_and_saveexec_b64 s[0:1], vcc
; %bb.15:
	ds_write_b32 v0, v3
; %bb.16:
	s_or_b64 exec, exec, s[0:1]
	v_mov_b32_e32 v4, s3
	v_add_co_u32_e32 v0, vcc, s2, v1
	v_addc_co_u32_e32 v1, vcc, v4, v2, vcc
	; wave barrier
	global_store_dword v[0:1], v3, off
	s_endpgm
	.section	.rodata,"a",@progbits
	.p2align	6, 0x0
	.amdhsa_kernel _Z26warp_inclusive_scan_kernelIiLj30ELj15EENSt9enable_ifIXsr10test_utilsE35device_test_enabled_for_warp_size_vIXT1_EEEvE4typeEPT_S4_
		.amdhsa_group_segment_fixed_size 120
		.amdhsa_private_segment_fixed_size 0
		.amdhsa_kernarg_size 272
		.amdhsa_user_sgpr_count 6
		.amdhsa_user_sgpr_private_segment_buffer 1
		.amdhsa_user_sgpr_dispatch_ptr 0
		.amdhsa_user_sgpr_queue_ptr 0
		.amdhsa_user_sgpr_kernarg_segment_ptr 1
		.amdhsa_user_sgpr_dispatch_id 0
		.amdhsa_user_sgpr_flat_scratch_init 0
		.amdhsa_user_sgpr_private_segment_size 0
		.amdhsa_uses_dynamic_stack 0
		.amdhsa_system_sgpr_private_segment_wavefront_offset 0
		.amdhsa_system_sgpr_workgroup_id_x 1
		.amdhsa_system_sgpr_workgroup_id_y 0
		.amdhsa_system_sgpr_workgroup_id_z 0
		.amdhsa_system_sgpr_workgroup_info 0
		.amdhsa_system_vgpr_workitem_id 0
		.amdhsa_next_free_vgpr 6
		.amdhsa_next_free_sgpr 8
		.amdhsa_reserve_vcc 1
		.amdhsa_reserve_flat_scratch 0
		.amdhsa_float_round_mode_32 0
		.amdhsa_float_round_mode_16_64 0
		.amdhsa_float_denorm_mode_32 3
		.amdhsa_float_denorm_mode_16_64 3
		.amdhsa_dx10_clamp 1
		.amdhsa_ieee_mode 1
		.amdhsa_fp16_overflow 0
		.amdhsa_exception_fp_ieee_invalid_op 0
		.amdhsa_exception_fp_denorm_src 0
		.amdhsa_exception_fp_ieee_div_zero 0
		.amdhsa_exception_fp_ieee_overflow 0
		.amdhsa_exception_fp_ieee_underflow 0
		.amdhsa_exception_fp_ieee_inexact 0
		.amdhsa_exception_int_div_zero 0
	.end_amdhsa_kernel
	.section	.text._Z26warp_inclusive_scan_kernelIiLj30ELj15EENSt9enable_ifIXsr10test_utilsE35device_test_enabled_for_warp_size_vIXT1_EEEvE4typeEPT_S4_,"axG",@progbits,_Z26warp_inclusive_scan_kernelIiLj30ELj15EENSt9enable_ifIXsr10test_utilsE35device_test_enabled_for_warp_size_vIXT1_EEEvE4typeEPT_S4_,comdat
.Lfunc_end14:
	.size	_Z26warp_inclusive_scan_kernelIiLj30ELj15EENSt9enable_ifIXsr10test_utilsE35device_test_enabled_for_warp_size_vIXT1_EEEvE4typeEPT_S4_, .Lfunc_end14-_Z26warp_inclusive_scan_kernelIiLj30ELj15EENSt9enable_ifIXsr10test_utilsE35device_test_enabled_for_warp_size_vIXT1_EEEvE4typeEPT_S4_
                                        ; -- End function
	.set _Z26warp_inclusive_scan_kernelIiLj30ELj15EENSt9enable_ifIXsr10test_utilsE35device_test_enabled_for_warp_size_vIXT1_EEEvE4typeEPT_S4_.num_vgpr, 6
	.set _Z26warp_inclusive_scan_kernelIiLj30ELj15EENSt9enable_ifIXsr10test_utilsE35device_test_enabled_for_warp_size_vIXT1_EEEvE4typeEPT_S4_.num_agpr, 0
	.set _Z26warp_inclusive_scan_kernelIiLj30ELj15EENSt9enable_ifIXsr10test_utilsE35device_test_enabled_for_warp_size_vIXT1_EEEvE4typeEPT_S4_.numbered_sgpr, 8
	.set _Z26warp_inclusive_scan_kernelIiLj30ELj15EENSt9enable_ifIXsr10test_utilsE35device_test_enabled_for_warp_size_vIXT1_EEEvE4typeEPT_S4_.num_named_barrier, 0
	.set _Z26warp_inclusive_scan_kernelIiLj30ELj15EENSt9enable_ifIXsr10test_utilsE35device_test_enabled_for_warp_size_vIXT1_EEEvE4typeEPT_S4_.private_seg_size, 0
	.set _Z26warp_inclusive_scan_kernelIiLj30ELj15EENSt9enable_ifIXsr10test_utilsE35device_test_enabled_for_warp_size_vIXT1_EEEvE4typeEPT_S4_.uses_vcc, 1
	.set _Z26warp_inclusive_scan_kernelIiLj30ELj15EENSt9enable_ifIXsr10test_utilsE35device_test_enabled_for_warp_size_vIXT1_EEEvE4typeEPT_S4_.uses_flat_scratch, 0
	.set _Z26warp_inclusive_scan_kernelIiLj30ELj15EENSt9enable_ifIXsr10test_utilsE35device_test_enabled_for_warp_size_vIXT1_EEEvE4typeEPT_S4_.has_dyn_sized_stack, 0
	.set _Z26warp_inclusive_scan_kernelIiLj30ELj15EENSt9enable_ifIXsr10test_utilsE35device_test_enabled_for_warp_size_vIXT1_EEEvE4typeEPT_S4_.has_recursion, 0
	.set _Z26warp_inclusive_scan_kernelIiLj30ELj15EENSt9enable_ifIXsr10test_utilsE35device_test_enabled_for_warp_size_vIXT1_EEEvE4typeEPT_S4_.has_indirect_call, 0
	.section	.AMDGPU.csdata,"",@progbits
; Kernel info:
; codeLenInByte = 376
; TotalNumSgprs: 12
; NumVgprs: 6
; ScratchSize: 0
; MemoryBound: 0
; FloatMode: 240
; IeeeMode: 1
; LDSByteSize: 120 bytes/workgroup (compile time only)
; SGPRBlocks: 1
; VGPRBlocks: 1
; NumSGPRsForWavesPerEU: 12
; NumVGPRsForWavesPerEU: 6
; Occupancy: 10
; WaveLimiterHint : 0
; COMPUTE_PGM_RSRC2:SCRATCH_EN: 0
; COMPUTE_PGM_RSRC2:USER_SGPR: 6
; COMPUTE_PGM_RSRC2:TRAP_HANDLER: 0
; COMPUTE_PGM_RSRC2:TGID_X_EN: 1
; COMPUTE_PGM_RSRC2:TGID_Y_EN: 0
; COMPUTE_PGM_RSRC2:TGID_Z_EN: 0
; COMPUTE_PGM_RSRC2:TIDIG_COMP_CNT: 0
	.section	.text._Z26warp_inclusive_scan_kernelIiLj60ELj15EENSt9enable_ifIXsr10test_utilsE35device_test_enabled_for_warp_size_vIXT1_EEEvE4typeEPT_S4_,"axG",@progbits,_Z26warp_inclusive_scan_kernelIiLj60ELj15EENSt9enable_ifIXsr10test_utilsE35device_test_enabled_for_warp_size_vIXT1_EEEvE4typeEPT_S4_,comdat
	.protected	_Z26warp_inclusive_scan_kernelIiLj60ELj15EENSt9enable_ifIXsr10test_utilsE35device_test_enabled_for_warp_size_vIXT1_EEEvE4typeEPT_S4_ ; -- Begin function _Z26warp_inclusive_scan_kernelIiLj60ELj15EENSt9enable_ifIXsr10test_utilsE35device_test_enabled_for_warp_size_vIXT1_EEEvE4typeEPT_S4_
	.globl	_Z26warp_inclusive_scan_kernelIiLj60ELj15EENSt9enable_ifIXsr10test_utilsE35device_test_enabled_for_warp_size_vIXT1_EEEvE4typeEPT_S4_
	.p2align	8
	.type	_Z26warp_inclusive_scan_kernelIiLj60ELj15EENSt9enable_ifIXsr10test_utilsE35device_test_enabled_for_warp_size_vIXT1_EEEvE4typeEPT_S4_,@function
_Z26warp_inclusive_scan_kernelIiLj60ELj15EENSt9enable_ifIXsr10test_utilsE35device_test_enabled_for_warp_size_vIXT1_EEEvE4typeEPT_S4_: ; @_Z26warp_inclusive_scan_kernelIiLj60ELj15EENSt9enable_ifIXsr10test_utilsE35device_test_enabled_for_warp_size_vIXT1_EEEvE4typeEPT_S4_
; %bb.0:
	s_load_dword s7, s[4:5], 0x1c
	s_load_dwordx4 s[0:3], s[4:5], 0x0
	v_mov_b32_e32 v2, 0
	s_waitcnt lgkmcnt(0)
	s_and_b32 s4, s7, 0xffff
	s_mul_i32 s6, s6, s4
	v_add_u32_e32 v1, s6, v0
	v_lshlrev_b64 v[1:2], 2, v[1:2]
	v_mov_b32_e32 v4, s1
	v_add_co_u32_e32 v3, vcc, s0, v1
	v_addc_co_u32_e32 v4, vcc, v4, v2, vcc
	global_load_dword v3, v[3:4], off
	v_mbcnt_lo_u32_b32 v4, -1, 0
	s_mov_b32 s0, 0x11111112
	v_mbcnt_hi_u32_b32 v4, -1, v4
	v_mul_hi_u32 v5, v4, s0
	v_mul_u32_u24_e32 v0, 0x1112, v0
	v_lshrrev_b32_e32 v0, 16, v0
	v_mul_u32_u24_e32 v5, 15, v5
	v_sub_u32_e32 v4, v4, v5
	v_lshlrev_b32_e32 v5, 2, v4
	v_mad_u32_u24 v0, v0, 60, v5
	v_cmp_ne_u32_e32 vcc, 0, v4
	s_waitcnt vmcnt(0)
	ds_write_b32 v0, v3
	; wave barrier
	s_and_saveexec_b64 s[0:1], vcc
	s_cbranch_execz .LBB15_2
; %bb.1:
	v_add_u32_e32 v5, -4, v0
	ds_read_b32 v5, v5
	s_waitcnt lgkmcnt(0)
	v_add_u32_e32 v3, v5, v3
.LBB15_2:
	s_or_b64 exec, exec, s[0:1]
	; wave barrier
	s_and_saveexec_b64 s[0:1], vcc
; %bb.3:
	ds_write_b32 v0, v3
; %bb.4:
	s_or_b64 exec, exec, s[0:1]
	v_cmp_lt_u32_e32 vcc, 1, v4
	; wave barrier
	s_and_saveexec_b64 s[0:1], vcc
	s_cbranch_execz .LBB15_6
; %bb.5:
	v_add_u32_e32 v5, -8, v0
	ds_read_b32 v5, v5
	s_waitcnt lgkmcnt(0)
	v_add_u32_e32 v3, v5, v3
.LBB15_6:
	s_or_b64 exec, exec, s[0:1]
	; wave barrier
	s_and_saveexec_b64 s[0:1], vcc
; %bb.7:
	ds_write_b32 v0, v3
; %bb.8:
	s_or_b64 exec, exec, s[0:1]
	v_cmp_lt_u32_e32 vcc, 3, v4
	;; [unrolled: 17-line block ×3, first 2 shown]
	; wave barrier
	s_and_saveexec_b64 s[0:1], vcc
	s_cbranch_execz .LBB15_14
; %bb.13:
	v_subrev_u32_e32 v4, 32, v0
	ds_read_b32 v4, v4
	s_waitcnt lgkmcnt(0)
	v_add_u32_e32 v3, v4, v3
.LBB15_14:
	s_or_b64 exec, exec, s[0:1]
	; wave barrier
	s_and_saveexec_b64 s[0:1], vcc
; %bb.15:
	ds_write_b32 v0, v3
; %bb.16:
	s_or_b64 exec, exec, s[0:1]
	v_mov_b32_e32 v4, s3
	v_add_co_u32_e32 v0, vcc, s2, v1
	v_addc_co_u32_e32 v1, vcc, v4, v2, vcc
	; wave barrier
	global_store_dword v[0:1], v3, off
	s_endpgm
	.section	.rodata,"a",@progbits
	.p2align	6, 0x0
	.amdhsa_kernel _Z26warp_inclusive_scan_kernelIiLj60ELj15EENSt9enable_ifIXsr10test_utilsE35device_test_enabled_for_warp_size_vIXT1_EEEvE4typeEPT_S4_
		.amdhsa_group_segment_fixed_size 240
		.amdhsa_private_segment_fixed_size 0
		.amdhsa_kernarg_size 272
		.amdhsa_user_sgpr_count 6
		.amdhsa_user_sgpr_private_segment_buffer 1
		.amdhsa_user_sgpr_dispatch_ptr 0
		.amdhsa_user_sgpr_queue_ptr 0
		.amdhsa_user_sgpr_kernarg_segment_ptr 1
		.amdhsa_user_sgpr_dispatch_id 0
		.amdhsa_user_sgpr_flat_scratch_init 0
		.amdhsa_user_sgpr_private_segment_size 0
		.amdhsa_uses_dynamic_stack 0
		.amdhsa_system_sgpr_private_segment_wavefront_offset 0
		.amdhsa_system_sgpr_workgroup_id_x 1
		.amdhsa_system_sgpr_workgroup_id_y 0
		.amdhsa_system_sgpr_workgroup_id_z 0
		.amdhsa_system_sgpr_workgroup_info 0
		.amdhsa_system_vgpr_workitem_id 0
		.amdhsa_next_free_vgpr 6
		.amdhsa_next_free_sgpr 8
		.amdhsa_reserve_vcc 1
		.amdhsa_reserve_flat_scratch 0
		.amdhsa_float_round_mode_32 0
		.amdhsa_float_round_mode_16_64 0
		.amdhsa_float_denorm_mode_32 3
		.amdhsa_float_denorm_mode_16_64 3
		.amdhsa_dx10_clamp 1
		.amdhsa_ieee_mode 1
		.amdhsa_fp16_overflow 0
		.amdhsa_exception_fp_ieee_invalid_op 0
		.amdhsa_exception_fp_denorm_src 0
		.amdhsa_exception_fp_ieee_div_zero 0
		.amdhsa_exception_fp_ieee_overflow 0
		.amdhsa_exception_fp_ieee_underflow 0
		.amdhsa_exception_fp_ieee_inexact 0
		.amdhsa_exception_int_div_zero 0
	.end_amdhsa_kernel
	.section	.text._Z26warp_inclusive_scan_kernelIiLj60ELj15EENSt9enable_ifIXsr10test_utilsE35device_test_enabled_for_warp_size_vIXT1_EEEvE4typeEPT_S4_,"axG",@progbits,_Z26warp_inclusive_scan_kernelIiLj60ELj15EENSt9enable_ifIXsr10test_utilsE35device_test_enabled_for_warp_size_vIXT1_EEEvE4typeEPT_S4_,comdat
.Lfunc_end15:
	.size	_Z26warp_inclusive_scan_kernelIiLj60ELj15EENSt9enable_ifIXsr10test_utilsE35device_test_enabled_for_warp_size_vIXT1_EEEvE4typeEPT_S4_, .Lfunc_end15-_Z26warp_inclusive_scan_kernelIiLj60ELj15EENSt9enable_ifIXsr10test_utilsE35device_test_enabled_for_warp_size_vIXT1_EEEvE4typeEPT_S4_
                                        ; -- End function
	.set _Z26warp_inclusive_scan_kernelIiLj60ELj15EENSt9enable_ifIXsr10test_utilsE35device_test_enabled_for_warp_size_vIXT1_EEEvE4typeEPT_S4_.num_vgpr, 6
	.set _Z26warp_inclusive_scan_kernelIiLj60ELj15EENSt9enable_ifIXsr10test_utilsE35device_test_enabled_for_warp_size_vIXT1_EEEvE4typeEPT_S4_.num_agpr, 0
	.set _Z26warp_inclusive_scan_kernelIiLj60ELj15EENSt9enable_ifIXsr10test_utilsE35device_test_enabled_for_warp_size_vIXT1_EEEvE4typeEPT_S4_.numbered_sgpr, 8
	.set _Z26warp_inclusive_scan_kernelIiLj60ELj15EENSt9enable_ifIXsr10test_utilsE35device_test_enabled_for_warp_size_vIXT1_EEEvE4typeEPT_S4_.num_named_barrier, 0
	.set _Z26warp_inclusive_scan_kernelIiLj60ELj15EENSt9enable_ifIXsr10test_utilsE35device_test_enabled_for_warp_size_vIXT1_EEEvE4typeEPT_S4_.private_seg_size, 0
	.set _Z26warp_inclusive_scan_kernelIiLj60ELj15EENSt9enable_ifIXsr10test_utilsE35device_test_enabled_for_warp_size_vIXT1_EEEvE4typeEPT_S4_.uses_vcc, 1
	.set _Z26warp_inclusive_scan_kernelIiLj60ELj15EENSt9enable_ifIXsr10test_utilsE35device_test_enabled_for_warp_size_vIXT1_EEEvE4typeEPT_S4_.uses_flat_scratch, 0
	.set _Z26warp_inclusive_scan_kernelIiLj60ELj15EENSt9enable_ifIXsr10test_utilsE35device_test_enabled_for_warp_size_vIXT1_EEEvE4typeEPT_S4_.has_dyn_sized_stack, 0
	.set _Z26warp_inclusive_scan_kernelIiLj60ELj15EENSt9enable_ifIXsr10test_utilsE35device_test_enabled_for_warp_size_vIXT1_EEEvE4typeEPT_S4_.has_recursion, 0
	.set _Z26warp_inclusive_scan_kernelIiLj60ELj15EENSt9enable_ifIXsr10test_utilsE35device_test_enabled_for_warp_size_vIXT1_EEEvE4typeEPT_S4_.has_indirect_call, 0
	.section	.AMDGPU.csdata,"",@progbits
; Kernel info:
; codeLenInByte = 376
; TotalNumSgprs: 12
; NumVgprs: 6
; ScratchSize: 0
; MemoryBound: 0
; FloatMode: 240
; IeeeMode: 1
; LDSByteSize: 240 bytes/workgroup (compile time only)
; SGPRBlocks: 1
; VGPRBlocks: 1
; NumSGPRsForWavesPerEU: 12
; NumVGPRsForWavesPerEU: 6
; Occupancy: 10
; WaveLimiterHint : 0
; COMPUTE_PGM_RSRC2:SCRATCH_EN: 0
; COMPUTE_PGM_RSRC2:USER_SGPR: 6
; COMPUTE_PGM_RSRC2:TRAP_HANDLER: 0
; COMPUTE_PGM_RSRC2:TGID_X_EN: 1
; COMPUTE_PGM_RSRC2:TGID_Y_EN: 0
; COMPUTE_PGM_RSRC2:TGID_Z_EN: 0
; COMPUTE_PGM_RSRC2:TIDIG_COMP_CNT: 0
	.section	.text._Z26warp_inclusive_scan_kernelIiLj28ELj7EENSt9enable_ifIXsr10test_utilsE35device_test_enabled_for_warp_size_vIXT1_EEEvE4typeEPT_S4_,"axG",@progbits,_Z26warp_inclusive_scan_kernelIiLj28ELj7EENSt9enable_ifIXsr10test_utilsE35device_test_enabled_for_warp_size_vIXT1_EEEvE4typeEPT_S4_,comdat
	.protected	_Z26warp_inclusive_scan_kernelIiLj28ELj7EENSt9enable_ifIXsr10test_utilsE35device_test_enabled_for_warp_size_vIXT1_EEEvE4typeEPT_S4_ ; -- Begin function _Z26warp_inclusive_scan_kernelIiLj28ELj7EENSt9enable_ifIXsr10test_utilsE35device_test_enabled_for_warp_size_vIXT1_EEEvE4typeEPT_S4_
	.globl	_Z26warp_inclusive_scan_kernelIiLj28ELj7EENSt9enable_ifIXsr10test_utilsE35device_test_enabled_for_warp_size_vIXT1_EEEvE4typeEPT_S4_
	.p2align	8
	.type	_Z26warp_inclusive_scan_kernelIiLj28ELj7EENSt9enable_ifIXsr10test_utilsE35device_test_enabled_for_warp_size_vIXT1_EEEvE4typeEPT_S4_,@function
_Z26warp_inclusive_scan_kernelIiLj28ELj7EENSt9enable_ifIXsr10test_utilsE35device_test_enabled_for_warp_size_vIXT1_EEEvE4typeEPT_S4_: ; @_Z26warp_inclusive_scan_kernelIiLj28ELj7EENSt9enable_ifIXsr10test_utilsE35device_test_enabled_for_warp_size_vIXT1_EEEvE4typeEPT_S4_
; %bb.0:
	s_load_dword s7, s[4:5], 0x1c
	s_load_dwordx4 s[0:3], s[4:5], 0x0
	v_mov_b32_e32 v2, 0
	s_waitcnt lgkmcnt(0)
	s_and_b32 s4, s7, 0xffff
	s_mul_i32 s6, s6, s4
	v_add_u32_e32 v1, s6, v0
	v_lshlrev_b64 v[1:2], 2, v[1:2]
	v_mov_b32_e32 v4, s1
	v_add_co_u32_e32 v3, vcc, s0, v1
	v_addc_co_u32_e32 v4, vcc, v4, v2, vcc
	global_load_dword v3, v[3:4], off
	v_mbcnt_lo_u32_b32 v4, -1, 0
	s_mov_b32 s0, 0x24924925
	v_mbcnt_hi_u32_b32 v4, -1, v4
	v_mul_hi_u32 v5, v4, s0
	v_mul_u32_u24_e32 v0, 0x2493, v0
	v_lshrrev_b32_e32 v0, 16, v0
	v_mul_u32_u24_e32 v5, 7, v5
	v_sub_u32_e32 v4, v4, v5
	v_lshlrev_b32_e32 v5, 2, v4
	v_mad_u32_u24 v0, v0, 28, v5
	v_cmp_ne_u32_e32 vcc, 0, v4
	s_waitcnt vmcnt(0)
	ds_write_b32 v0, v3
	; wave barrier
	s_and_saveexec_b64 s[0:1], vcc
	s_cbranch_execz .LBB16_2
; %bb.1:
	v_add_u32_e32 v5, -4, v0
	ds_read_b32 v5, v5
	s_waitcnt lgkmcnt(0)
	v_add_u32_e32 v3, v5, v3
.LBB16_2:
	s_or_b64 exec, exec, s[0:1]
	; wave barrier
	s_and_saveexec_b64 s[0:1], vcc
; %bb.3:
	ds_write_b32 v0, v3
; %bb.4:
	s_or_b64 exec, exec, s[0:1]
	v_cmp_lt_u32_e32 vcc, 1, v4
	; wave barrier
	s_and_saveexec_b64 s[0:1], vcc
	s_cbranch_execz .LBB16_6
; %bb.5:
	v_add_u32_e32 v5, -8, v0
	ds_read_b32 v5, v5
	s_waitcnt lgkmcnt(0)
	v_add_u32_e32 v3, v5, v3
.LBB16_6:
	s_or_b64 exec, exec, s[0:1]
	; wave barrier
	s_and_saveexec_b64 s[0:1], vcc
; %bb.7:
	ds_write_b32 v0, v3
; %bb.8:
	s_or_b64 exec, exec, s[0:1]
	v_cmp_lt_u32_e32 vcc, 3, v4
	; wave barrier
	s_and_saveexec_b64 s[0:1], vcc
	s_cbranch_execz .LBB16_10
; %bb.9:
	v_add_u32_e32 v4, -16, v0
	ds_read_b32 v4, v4
	s_waitcnt lgkmcnt(0)
	v_add_u32_e32 v3, v4, v3
.LBB16_10:
	s_or_b64 exec, exec, s[0:1]
	; wave barrier
	s_and_saveexec_b64 s[0:1], vcc
; %bb.11:
	ds_write_b32 v0, v3
; %bb.12:
	s_or_b64 exec, exec, s[0:1]
	v_mov_b32_e32 v4, s3
	v_add_co_u32_e32 v0, vcc, s2, v1
	v_addc_co_u32_e32 v1, vcc, v4, v2, vcc
	; wave barrier
	global_store_dword v[0:1], v3, off
	s_endpgm
	.section	.rodata,"a",@progbits
	.p2align	6, 0x0
	.amdhsa_kernel _Z26warp_inclusive_scan_kernelIiLj28ELj7EENSt9enable_ifIXsr10test_utilsE35device_test_enabled_for_warp_size_vIXT1_EEEvE4typeEPT_S4_
		.amdhsa_group_segment_fixed_size 112
		.amdhsa_private_segment_fixed_size 0
		.amdhsa_kernarg_size 272
		.amdhsa_user_sgpr_count 6
		.amdhsa_user_sgpr_private_segment_buffer 1
		.amdhsa_user_sgpr_dispatch_ptr 0
		.amdhsa_user_sgpr_queue_ptr 0
		.amdhsa_user_sgpr_kernarg_segment_ptr 1
		.amdhsa_user_sgpr_dispatch_id 0
		.amdhsa_user_sgpr_flat_scratch_init 0
		.amdhsa_user_sgpr_private_segment_size 0
		.amdhsa_uses_dynamic_stack 0
		.amdhsa_system_sgpr_private_segment_wavefront_offset 0
		.amdhsa_system_sgpr_workgroup_id_x 1
		.amdhsa_system_sgpr_workgroup_id_y 0
		.amdhsa_system_sgpr_workgroup_id_z 0
		.amdhsa_system_sgpr_workgroup_info 0
		.amdhsa_system_vgpr_workitem_id 0
		.amdhsa_next_free_vgpr 6
		.amdhsa_next_free_sgpr 8
		.amdhsa_reserve_vcc 1
		.amdhsa_reserve_flat_scratch 0
		.amdhsa_float_round_mode_32 0
		.amdhsa_float_round_mode_16_64 0
		.amdhsa_float_denorm_mode_32 3
		.amdhsa_float_denorm_mode_16_64 3
		.amdhsa_dx10_clamp 1
		.amdhsa_ieee_mode 1
		.amdhsa_fp16_overflow 0
		.amdhsa_exception_fp_ieee_invalid_op 0
		.amdhsa_exception_fp_denorm_src 0
		.amdhsa_exception_fp_ieee_div_zero 0
		.amdhsa_exception_fp_ieee_overflow 0
		.amdhsa_exception_fp_ieee_underflow 0
		.amdhsa_exception_fp_ieee_inexact 0
		.amdhsa_exception_int_div_zero 0
	.end_amdhsa_kernel
	.section	.text._Z26warp_inclusive_scan_kernelIiLj28ELj7EENSt9enable_ifIXsr10test_utilsE35device_test_enabled_for_warp_size_vIXT1_EEEvE4typeEPT_S4_,"axG",@progbits,_Z26warp_inclusive_scan_kernelIiLj28ELj7EENSt9enable_ifIXsr10test_utilsE35device_test_enabled_for_warp_size_vIXT1_EEEvE4typeEPT_S4_,comdat
.Lfunc_end16:
	.size	_Z26warp_inclusive_scan_kernelIiLj28ELj7EENSt9enable_ifIXsr10test_utilsE35device_test_enabled_for_warp_size_vIXT1_EEEvE4typeEPT_S4_, .Lfunc_end16-_Z26warp_inclusive_scan_kernelIiLj28ELj7EENSt9enable_ifIXsr10test_utilsE35device_test_enabled_for_warp_size_vIXT1_EEEvE4typeEPT_S4_
                                        ; -- End function
	.set _Z26warp_inclusive_scan_kernelIiLj28ELj7EENSt9enable_ifIXsr10test_utilsE35device_test_enabled_for_warp_size_vIXT1_EEEvE4typeEPT_S4_.num_vgpr, 6
	.set _Z26warp_inclusive_scan_kernelIiLj28ELj7EENSt9enable_ifIXsr10test_utilsE35device_test_enabled_for_warp_size_vIXT1_EEEvE4typeEPT_S4_.num_agpr, 0
	.set _Z26warp_inclusive_scan_kernelIiLj28ELj7EENSt9enable_ifIXsr10test_utilsE35device_test_enabled_for_warp_size_vIXT1_EEEvE4typeEPT_S4_.numbered_sgpr, 8
	.set _Z26warp_inclusive_scan_kernelIiLj28ELj7EENSt9enable_ifIXsr10test_utilsE35device_test_enabled_for_warp_size_vIXT1_EEEvE4typeEPT_S4_.num_named_barrier, 0
	.set _Z26warp_inclusive_scan_kernelIiLj28ELj7EENSt9enable_ifIXsr10test_utilsE35device_test_enabled_for_warp_size_vIXT1_EEEvE4typeEPT_S4_.private_seg_size, 0
	.set _Z26warp_inclusive_scan_kernelIiLj28ELj7EENSt9enable_ifIXsr10test_utilsE35device_test_enabled_for_warp_size_vIXT1_EEEvE4typeEPT_S4_.uses_vcc, 1
	.set _Z26warp_inclusive_scan_kernelIiLj28ELj7EENSt9enable_ifIXsr10test_utilsE35device_test_enabled_for_warp_size_vIXT1_EEEvE4typeEPT_S4_.uses_flat_scratch, 0
	.set _Z26warp_inclusive_scan_kernelIiLj28ELj7EENSt9enable_ifIXsr10test_utilsE35device_test_enabled_for_warp_size_vIXT1_EEEvE4typeEPT_S4_.has_dyn_sized_stack, 0
	.set _Z26warp_inclusive_scan_kernelIiLj28ELj7EENSt9enable_ifIXsr10test_utilsE35device_test_enabled_for_warp_size_vIXT1_EEEvE4typeEPT_S4_.has_recursion, 0
	.set _Z26warp_inclusive_scan_kernelIiLj28ELj7EENSt9enable_ifIXsr10test_utilsE35device_test_enabled_for_warp_size_vIXT1_EEEvE4typeEPT_S4_.has_indirect_call, 0
	.section	.AMDGPU.csdata,"",@progbits
; Kernel info:
; codeLenInByte = 324
; TotalNumSgprs: 12
; NumVgprs: 6
; ScratchSize: 0
; MemoryBound: 0
; FloatMode: 240
; IeeeMode: 1
; LDSByteSize: 112 bytes/workgroup (compile time only)
; SGPRBlocks: 1
; VGPRBlocks: 1
; NumSGPRsForWavesPerEU: 12
; NumVGPRsForWavesPerEU: 6
; Occupancy: 10
; WaveLimiterHint : 0
; COMPUTE_PGM_RSRC2:SCRATCH_EN: 0
; COMPUTE_PGM_RSRC2:USER_SGPR: 6
; COMPUTE_PGM_RSRC2:TRAP_HANDLER: 0
; COMPUTE_PGM_RSRC2:TGID_X_EN: 1
; COMPUTE_PGM_RSRC2:TGID_Y_EN: 0
; COMPUTE_PGM_RSRC2:TGID_Z_EN: 0
; COMPUTE_PGM_RSRC2:TIDIG_COMP_CNT: 0
	.section	.text._Z26warp_inclusive_scan_kernelIiLj63ELj7EENSt9enable_ifIXsr10test_utilsE35device_test_enabled_for_warp_size_vIXT1_EEEvE4typeEPT_S4_,"axG",@progbits,_Z26warp_inclusive_scan_kernelIiLj63ELj7EENSt9enable_ifIXsr10test_utilsE35device_test_enabled_for_warp_size_vIXT1_EEEvE4typeEPT_S4_,comdat
	.protected	_Z26warp_inclusive_scan_kernelIiLj63ELj7EENSt9enable_ifIXsr10test_utilsE35device_test_enabled_for_warp_size_vIXT1_EEEvE4typeEPT_S4_ ; -- Begin function _Z26warp_inclusive_scan_kernelIiLj63ELj7EENSt9enable_ifIXsr10test_utilsE35device_test_enabled_for_warp_size_vIXT1_EEEvE4typeEPT_S4_
	.globl	_Z26warp_inclusive_scan_kernelIiLj63ELj7EENSt9enable_ifIXsr10test_utilsE35device_test_enabled_for_warp_size_vIXT1_EEEvE4typeEPT_S4_
	.p2align	8
	.type	_Z26warp_inclusive_scan_kernelIiLj63ELj7EENSt9enable_ifIXsr10test_utilsE35device_test_enabled_for_warp_size_vIXT1_EEEvE4typeEPT_S4_,@function
_Z26warp_inclusive_scan_kernelIiLj63ELj7EENSt9enable_ifIXsr10test_utilsE35device_test_enabled_for_warp_size_vIXT1_EEEvE4typeEPT_S4_: ; @_Z26warp_inclusive_scan_kernelIiLj63ELj7EENSt9enable_ifIXsr10test_utilsE35device_test_enabled_for_warp_size_vIXT1_EEEvE4typeEPT_S4_
; %bb.0:
	s_load_dword s7, s[4:5], 0x1c
	s_load_dwordx4 s[0:3], s[4:5], 0x0
	v_mov_b32_e32 v2, 0
	s_waitcnt lgkmcnt(0)
	s_and_b32 s4, s7, 0xffff
	s_mul_i32 s6, s6, s4
	v_add_u32_e32 v1, s6, v0
	v_lshlrev_b64 v[1:2], 2, v[1:2]
	v_mov_b32_e32 v4, s1
	v_add_co_u32_e32 v3, vcc, s0, v1
	v_addc_co_u32_e32 v4, vcc, v4, v2, vcc
	global_load_dword v3, v[3:4], off
	v_mbcnt_lo_u32_b32 v4, -1, 0
	s_mov_b32 s0, 0x24924925
	v_mbcnt_hi_u32_b32 v4, -1, v4
	v_mul_hi_u32 v5, v4, s0
	v_mul_u32_u24_e32 v0, 0x2493, v0
	v_lshrrev_b32_e32 v0, 16, v0
	v_mul_u32_u24_e32 v5, 7, v5
	v_sub_u32_e32 v4, v4, v5
	v_lshlrev_b32_e32 v5, 2, v4
	v_mad_u32_u24 v0, v0, 28, v5
	v_cmp_ne_u32_e32 vcc, 0, v4
	s_waitcnt vmcnt(0)
	ds_write_b32 v0, v3
	; wave barrier
	s_and_saveexec_b64 s[0:1], vcc
	s_cbranch_execz .LBB17_2
; %bb.1:
	v_add_u32_e32 v5, -4, v0
	ds_read_b32 v5, v5
	s_waitcnt lgkmcnt(0)
	v_add_u32_e32 v3, v5, v3
.LBB17_2:
	s_or_b64 exec, exec, s[0:1]
	; wave barrier
	s_and_saveexec_b64 s[0:1], vcc
; %bb.3:
	ds_write_b32 v0, v3
; %bb.4:
	s_or_b64 exec, exec, s[0:1]
	v_cmp_lt_u32_e32 vcc, 1, v4
	; wave barrier
	s_and_saveexec_b64 s[0:1], vcc
	s_cbranch_execz .LBB17_6
; %bb.5:
	v_add_u32_e32 v5, -8, v0
	ds_read_b32 v5, v5
	s_waitcnt lgkmcnt(0)
	v_add_u32_e32 v3, v5, v3
.LBB17_6:
	s_or_b64 exec, exec, s[0:1]
	; wave barrier
	s_and_saveexec_b64 s[0:1], vcc
; %bb.7:
	ds_write_b32 v0, v3
; %bb.8:
	s_or_b64 exec, exec, s[0:1]
	v_cmp_lt_u32_e32 vcc, 3, v4
	; wave barrier
	s_and_saveexec_b64 s[0:1], vcc
	s_cbranch_execz .LBB17_10
; %bb.9:
	v_add_u32_e32 v4, -16, v0
	ds_read_b32 v4, v4
	s_waitcnt lgkmcnt(0)
	v_add_u32_e32 v3, v4, v3
.LBB17_10:
	s_or_b64 exec, exec, s[0:1]
	; wave barrier
	s_and_saveexec_b64 s[0:1], vcc
; %bb.11:
	ds_write_b32 v0, v3
; %bb.12:
	s_or_b64 exec, exec, s[0:1]
	v_mov_b32_e32 v4, s3
	v_add_co_u32_e32 v0, vcc, s2, v1
	v_addc_co_u32_e32 v1, vcc, v4, v2, vcc
	; wave barrier
	global_store_dword v[0:1], v3, off
	s_endpgm
	.section	.rodata,"a",@progbits
	.p2align	6, 0x0
	.amdhsa_kernel _Z26warp_inclusive_scan_kernelIiLj63ELj7EENSt9enable_ifIXsr10test_utilsE35device_test_enabled_for_warp_size_vIXT1_EEEvE4typeEPT_S4_
		.amdhsa_group_segment_fixed_size 252
		.amdhsa_private_segment_fixed_size 0
		.amdhsa_kernarg_size 272
		.amdhsa_user_sgpr_count 6
		.amdhsa_user_sgpr_private_segment_buffer 1
		.amdhsa_user_sgpr_dispatch_ptr 0
		.amdhsa_user_sgpr_queue_ptr 0
		.amdhsa_user_sgpr_kernarg_segment_ptr 1
		.amdhsa_user_sgpr_dispatch_id 0
		.amdhsa_user_sgpr_flat_scratch_init 0
		.amdhsa_user_sgpr_private_segment_size 0
		.amdhsa_uses_dynamic_stack 0
		.amdhsa_system_sgpr_private_segment_wavefront_offset 0
		.amdhsa_system_sgpr_workgroup_id_x 1
		.amdhsa_system_sgpr_workgroup_id_y 0
		.amdhsa_system_sgpr_workgroup_id_z 0
		.amdhsa_system_sgpr_workgroup_info 0
		.amdhsa_system_vgpr_workitem_id 0
		.amdhsa_next_free_vgpr 6
		.amdhsa_next_free_sgpr 8
		.amdhsa_reserve_vcc 1
		.amdhsa_reserve_flat_scratch 0
		.amdhsa_float_round_mode_32 0
		.amdhsa_float_round_mode_16_64 0
		.amdhsa_float_denorm_mode_32 3
		.amdhsa_float_denorm_mode_16_64 3
		.amdhsa_dx10_clamp 1
		.amdhsa_ieee_mode 1
		.amdhsa_fp16_overflow 0
		.amdhsa_exception_fp_ieee_invalid_op 0
		.amdhsa_exception_fp_denorm_src 0
		.amdhsa_exception_fp_ieee_div_zero 0
		.amdhsa_exception_fp_ieee_overflow 0
		.amdhsa_exception_fp_ieee_underflow 0
		.amdhsa_exception_fp_ieee_inexact 0
		.amdhsa_exception_int_div_zero 0
	.end_amdhsa_kernel
	.section	.text._Z26warp_inclusive_scan_kernelIiLj63ELj7EENSt9enable_ifIXsr10test_utilsE35device_test_enabled_for_warp_size_vIXT1_EEEvE4typeEPT_S4_,"axG",@progbits,_Z26warp_inclusive_scan_kernelIiLj63ELj7EENSt9enable_ifIXsr10test_utilsE35device_test_enabled_for_warp_size_vIXT1_EEEvE4typeEPT_S4_,comdat
.Lfunc_end17:
	.size	_Z26warp_inclusive_scan_kernelIiLj63ELj7EENSt9enable_ifIXsr10test_utilsE35device_test_enabled_for_warp_size_vIXT1_EEEvE4typeEPT_S4_, .Lfunc_end17-_Z26warp_inclusive_scan_kernelIiLj63ELj7EENSt9enable_ifIXsr10test_utilsE35device_test_enabled_for_warp_size_vIXT1_EEEvE4typeEPT_S4_
                                        ; -- End function
	.set _Z26warp_inclusive_scan_kernelIiLj63ELj7EENSt9enable_ifIXsr10test_utilsE35device_test_enabled_for_warp_size_vIXT1_EEEvE4typeEPT_S4_.num_vgpr, 6
	.set _Z26warp_inclusive_scan_kernelIiLj63ELj7EENSt9enable_ifIXsr10test_utilsE35device_test_enabled_for_warp_size_vIXT1_EEEvE4typeEPT_S4_.num_agpr, 0
	.set _Z26warp_inclusive_scan_kernelIiLj63ELj7EENSt9enable_ifIXsr10test_utilsE35device_test_enabled_for_warp_size_vIXT1_EEEvE4typeEPT_S4_.numbered_sgpr, 8
	.set _Z26warp_inclusive_scan_kernelIiLj63ELj7EENSt9enable_ifIXsr10test_utilsE35device_test_enabled_for_warp_size_vIXT1_EEEvE4typeEPT_S4_.num_named_barrier, 0
	.set _Z26warp_inclusive_scan_kernelIiLj63ELj7EENSt9enable_ifIXsr10test_utilsE35device_test_enabled_for_warp_size_vIXT1_EEEvE4typeEPT_S4_.private_seg_size, 0
	.set _Z26warp_inclusive_scan_kernelIiLj63ELj7EENSt9enable_ifIXsr10test_utilsE35device_test_enabled_for_warp_size_vIXT1_EEEvE4typeEPT_S4_.uses_vcc, 1
	.set _Z26warp_inclusive_scan_kernelIiLj63ELj7EENSt9enable_ifIXsr10test_utilsE35device_test_enabled_for_warp_size_vIXT1_EEEvE4typeEPT_S4_.uses_flat_scratch, 0
	.set _Z26warp_inclusive_scan_kernelIiLj63ELj7EENSt9enable_ifIXsr10test_utilsE35device_test_enabled_for_warp_size_vIXT1_EEEvE4typeEPT_S4_.has_dyn_sized_stack, 0
	.set _Z26warp_inclusive_scan_kernelIiLj63ELj7EENSt9enable_ifIXsr10test_utilsE35device_test_enabled_for_warp_size_vIXT1_EEEvE4typeEPT_S4_.has_recursion, 0
	.set _Z26warp_inclusive_scan_kernelIiLj63ELj7EENSt9enable_ifIXsr10test_utilsE35device_test_enabled_for_warp_size_vIXT1_EEEvE4typeEPT_S4_.has_indirect_call, 0
	.section	.AMDGPU.csdata,"",@progbits
; Kernel info:
; codeLenInByte = 324
; TotalNumSgprs: 12
; NumVgprs: 6
; ScratchSize: 0
; MemoryBound: 0
; FloatMode: 240
; IeeeMode: 1
; LDSByteSize: 252 bytes/workgroup (compile time only)
; SGPRBlocks: 1
; VGPRBlocks: 1
; NumSGPRsForWavesPerEU: 12
; NumVGPRsForWavesPerEU: 6
; Occupancy: 10
; WaveLimiterHint : 0
; COMPUTE_PGM_RSRC2:SCRATCH_EN: 0
; COMPUTE_PGM_RSRC2:USER_SGPR: 6
; COMPUTE_PGM_RSRC2:TRAP_HANDLER: 0
; COMPUTE_PGM_RSRC2:TGID_X_EN: 1
; COMPUTE_PGM_RSRC2:TGID_Y_EN: 0
; COMPUTE_PGM_RSRC2:TGID_Z_EN: 0
; COMPUTE_PGM_RSRC2:TIDIG_COMP_CNT: 0
	.section	.text._Z26warp_inclusive_scan_kernelIiLj30ELj3EENSt9enable_ifIXsr10test_utilsE35device_test_enabled_for_warp_size_vIXT1_EEEvE4typeEPT_S4_,"axG",@progbits,_Z26warp_inclusive_scan_kernelIiLj30ELj3EENSt9enable_ifIXsr10test_utilsE35device_test_enabled_for_warp_size_vIXT1_EEEvE4typeEPT_S4_,comdat
	.protected	_Z26warp_inclusive_scan_kernelIiLj30ELj3EENSt9enable_ifIXsr10test_utilsE35device_test_enabled_for_warp_size_vIXT1_EEEvE4typeEPT_S4_ ; -- Begin function _Z26warp_inclusive_scan_kernelIiLj30ELj3EENSt9enable_ifIXsr10test_utilsE35device_test_enabled_for_warp_size_vIXT1_EEEvE4typeEPT_S4_
	.globl	_Z26warp_inclusive_scan_kernelIiLj30ELj3EENSt9enable_ifIXsr10test_utilsE35device_test_enabled_for_warp_size_vIXT1_EEEvE4typeEPT_S4_
	.p2align	8
	.type	_Z26warp_inclusive_scan_kernelIiLj30ELj3EENSt9enable_ifIXsr10test_utilsE35device_test_enabled_for_warp_size_vIXT1_EEEvE4typeEPT_S4_,@function
_Z26warp_inclusive_scan_kernelIiLj30ELj3EENSt9enable_ifIXsr10test_utilsE35device_test_enabled_for_warp_size_vIXT1_EEEvE4typeEPT_S4_: ; @_Z26warp_inclusive_scan_kernelIiLj30ELj3EENSt9enable_ifIXsr10test_utilsE35device_test_enabled_for_warp_size_vIXT1_EEEvE4typeEPT_S4_
; %bb.0:
	s_load_dword s7, s[4:5], 0x1c
	s_load_dwordx4 s[0:3], s[4:5], 0x0
	v_mov_b32_e32 v2, 0
	s_waitcnt lgkmcnt(0)
	s_and_b32 s4, s7, 0xffff
	s_mul_i32 s6, s6, s4
	v_add_u32_e32 v1, s6, v0
	v_lshlrev_b64 v[1:2], 2, v[1:2]
	v_mov_b32_e32 v4, s1
	v_add_co_u32_e32 v3, vcc, s0, v1
	v_addc_co_u32_e32 v4, vcc, v4, v2, vcc
	global_load_dword v3, v[3:4], off
	v_mbcnt_lo_u32_b32 v4, -1, 0
	s_mov_b32 s0, 0x55555556
	v_mbcnt_hi_u32_b32 v4, -1, v4
	v_mul_hi_u32 v6, v4, s0
	v_mul_u32_u24_e32 v0, 0x5556, v0
	v_lshrrev_b32_e32 v5, 16, v0
	v_mul_u32_u24_e32 v0, 3, v6
	v_sub_u32_e32 v4, v4, v0
	v_lshlrev_b32_e32 v0, 2, v4
	v_mad_u32_u24 v0, v5, 12, v0
	v_cmp_ne_u32_e32 vcc, 0, v4
	s_waitcnt vmcnt(0)
	ds_write_b32 v0, v3
	; wave barrier
	s_and_saveexec_b64 s[0:1], vcc
	s_cbranch_execz .LBB18_2
; %bb.1:
	v_add_u32_e32 v6, -4, v0
	ds_read_b32 v6, v6
	s_waitcnt lgkmcnt(0)
	v_add_u32_e32 v3, v6, v3
.LBB18_2:
	s_or_b64 exec, exec, s[0:1]
	v_mul_u32_u24_e32 v5, 12, v5
	; wave barrier
	s_and_saveexec_b64 s[0:1], vcc
; %bb.3:
	ds_write_b32 v0, v3
; %bb.4:
	s_or_b64 exec, exec, s[0:1]
	; wave barrier
	ds_read_b32 v5, v5
	v_cmp_lt_u32_e32 vcc, 1, v4
	; wave barrier
	s_waitcnt lgkmcnt(0)
	v_cndmask_b32_e32 v4, 0, v5, vcc
	v_add_u32_e32 v3, v4, v3
	s_and_saveexec_b64 s[0:1], vcc
; %bb.5:
	ds_write_b32 v0, v3
; %bb.6:
	s_or_b64 exec, exec, s[0:1]
	v_mov_b32_e32 v4, s3
	v_add_co_u32_e32 v0, vcc, s2, v1
	v_addc_co_u32_e32 v1, vcc, v4, v2, vcc
	; wave barrier
	global_store_dword v[0:1], v3, off
	s_endpgm
	.section	.rodata,"a",@progbits
	.p2align	6, 0x0
	.amdhsa_kernel _Z26warp_inclusive_scan_kernelIiLj30ELj3EENSt9enable_ifIXsr10test_utilsE35device_test_enabled_for_warp_size_vIXT1_EEEvE4typeEPT_S4_
		.amdhsa_group_segment_fixed_size 120
		.amdhsa_private_segment_fixed_size 0
		.amdhsa_kernarg_size 272
		.amdhsa_user_sgpr_count 6
		.amdhsa_user_sgpr_private_segment_buffer 1
		.amdhsa_user_sgpr_dispatch_ptr 0
		.amdhsa_user_sgpr_queue_ptr 0
		.amdhsa_user_sgpr_kernarg_segment_ptr 1
		.amdhsa_user_sgpr_dispatch_id 0
		.amdhsa_user_sgpr_flat_scratch_init 0
		.amdhsa_user_sgpr_private_segment_size 0
		.amdhsa_uses_dynamic_stack 0
		.amdhsa_system_sgpr_private_segment_wavefront_offset 0
		.amdhsa_system_sgpr_workgroup_id_x 1
		.amdhsa_system_sgpr_workgroup_id_y 0
		.amdhsa_system_sgpr_workgroup_id_z 0
		.amdhsa_system_sgpr_workgroup_info 0
		.amdhsa_system_vgpr_workitem_id 0
		.amdhsa_next_free_vgpr 7
		.amdhsa_next_free_sgpr 8
		.amdhsa_reserve_vcc 1
		.amdhsa_reserve_flat_scratch 0
		.amdhsa_float_round_mode_32 0
		.amdhsa_float_round_mode_16_64 0
		.amdhsa_float_denorm_mode_32 3
		.amdhsa_float_denorm_mode_16_64 3
		.amdhsa_dx10_clamp 1
		.amdhsa_ieee_mode 1
		.amdhsa_fp16_overflow 0
		.amdhsa_exception_fp_ieee_invalid_op 0
		.amdhsa_exception_fp_denorm_src 0
		.amdhsa_exception_fp_ieee_div_zero 0
		.amdhsa_exception_fp_ieee_overflow 0
		.amdhsa_exception_fp_ieee_underflow 0
		.amdhsa_exception_fp_ieee_inexact 0
		.amdhsa_exception_int_div_zero 0
	.end_amdhsa_kernel
	.section	.text._Z26warp_inclusive_scan_kernelIiLj30ELj3EENSt9enable_ifIXsr10test_utilsE35device_test_enabled_for_warp_size_vIXT1_EEEvE4typeEPT_S4_,"axG",@progbits,_Z26warp_inclusive_scan_kernelIiLj30ELj3EENSt9enable_ifIXsr10test_utilsE35device_test_enabled_for_warp_size_vIXT1_EEEvE4typeEPT_S4_,comdat
.Lfunc_end18:
	.size	_Z26warp_inclusive_scan_kernelIiLj30ELj3EENSt9enable_ifIXsr10test_utilsE35device_test_enabled_for_warp_size_vIXT1_EEEvE4typeEPT_S4_, .Lfunc_end18-_Z26warp_inclusive_scan_kernelIiLj30ELj3EENSt9enable_ifIXsr10test_utilsE35device_test_enabled_for_warp_size_vIXT1_EEEvE4typeEPT_S4_
                                        ; -- End function
	.set _Z26warp_inclusive_scan_kernelIiLj30ELj3EENSt9enable_ifIXsr10test_utilsE35device_test_enabled_for_warp_size_vIXT1_EEEvE4typeEPT_S4_.num_vgpr, 7
	.set _Z26warp_inclusive_scan_kernelIiLj30ELj3EENSt9enable_ifIXsr10test_utilsE35device_test_enabled_for_warp_size_vIXT1_EEEvE4typeEPT_S4_.num_agpr, 0
	.set _Z26warp_inclusive_scan_kernelIiLj30ELj3EENSt9enable_ifIXsr10test_utilsE35device_test_enabled_for_warp_size_vIXT1_EEEvE4typeEPT_S4_.numbered_sgpr, 8
	.set _Z26warp_inclusive_scan_kernelIiLj30ELj3EENSt9enable_ifIXsr10test_utilsE35device_test_enabled_for_warp_size_vIXT1_EEEvE4typeEPT_S4_.num_named_barrier, 0
	.set _Z26warp_inclusive_scan_kernelIiLj30ELj3EENSt9enable_ifIXsr10test_utilsE35device_test_enabled_for_warp_size_vIXT1_EEEvE4typeEPT_S4_.private_seg_size, 0
	.set _Z26warp_inclusive_scan_kernelIiLj30ELj3EENSt9enable_ifIXsr10test_utilsE35device_test_enabled_for_warp_size_vIXT1_EEEvE4typeEPT_S4_.uses_vcc, 1
	.set _Z26warp_inclusive_scan_kernelIiLj30ELj3EENSt9enable_ifIXsr10test_utilsE35device_test_enabled_for_warp_size_vIXT1_EEEvE4typeEPT_S4_.uses_flat_scratch, 0
	.set _Z26warp_inclusive_scan_kernelIiLj30ELj3EENSt9enable_ifIXsr10test_utilsE35device_test_enabled_for_warp_size_vIXT1_EEEvE4typeEPT_S4_.has_dyn_sized_stack, 0
	.set _Z26warp_inclusive_scan_kernelIiLj30ELj3EENSt9enable_ifIXsr10test_utilsE35device_test_enabled_for_warp_size_vIXT1_EEEvE4typeEPT_S4_.has_recursion, 0
	.set _Z26warp_inclusive_scan_kernelIiLj30ELj3EENSt9enable_ifIXsr10test_utilsE35device_test_enabled_for_warp_size_vIXT1_EEEvE4typeEPT_S4_.has_indirect_call, 0
	.section	.AMDGPU.csdata,"",@progbits
; Kernel info:
; codeLenInByte = 264
; TotalNumSgprs: 12
; NumVgprs: 7
; ScratchSize: 0
; MemoryBound: 0
; FloatMode: 240
; IeeeMode: 1
; LDSByteSize: 120 bytes/workgroup (compile time only)
; SGPRBlocks: 1
; VGPRBlocks: 1
; NumSGPRsForWavesPerEU: 12
; NumVGPRsForWavesPerEU: 7
; Occupancy: 10
; WaveLimiterHint : 0
; COMPUTE_PGM_RSRC2:SCRATCH_EN: 0
; COMPUTE_PGM_RSRC2:USER_SGPR: 6
; COMPUTE_PGM_RSRC2:TRAP_HANDLER: 0
; COMPUTE_PGM_RSRC2:TGID_X_EN: 1
; COMPUTE_PGM_RSRC2:TGID_Y_EN: 0
; COMPUTE_PGM_RSRC2:TGID_Z_EN: 0
; COMPUTE_PGM_RSRC2:TIDIG_COMP_CNT: 0
	.section	.text._Z26warp_inclusive_scan_kernelIiLj63ELj3EENSt9enable_ifIXsr10test_utilsE35device_test_enabled_for_warp_size_vIXT1_EEEvE4typeEPT_S4_,"axG",@progbits,_Z26warp_inclusive_scan_kernelIiLj63ELj3EENSt9enable_ifIXsr10test_utilsE35device_test_enabled_for_warp_size_vIXT1_EEEvE4typeEPT_S4_,comdat
	.protected	_Z26warp_inclusive_scan_kernelIiLj63ELj3EENSt9enable_ifIXsr10test_utilsE35device_test_enabled_for_warp_size_vIXT1_EEEvE4typeEPT_S4_ ; -- Begin function _Z26warp_inclusive_scan_kernelIiLj63ELj3EENSt9enable_ifIXsr10test_utilsE35device_test_enabled_for_warp_size_vIXT1_EEEvE4typeEPT_S4_
	.globl	_Z26warp_inclusive_scan_kernelIiLj63ELj3EENSt9enable_ifIXsr10test_utilsE35device_test_enabled_for_warp_size_vIXT1_EEEvE4typeEPT_S4_
	.p2align	8
	.type	_Z26warp_inclusive_scan_kernelIiLj63ELj3EENSt9enable_ifIXsr10test_utilsE35device_test_enabled_for_warp_size_vIXT1_EEEvE4typeEPT_S4_,@function
_Z26warp_inclusive_scan_kernelIiLj63ELj3EENSt9enable_ifIXsr10test_utilsE35device_test_enabled_for_warp_size_vIXT1_EEEvE4typeEPT_S4_: ; @_Z26warp_inclusive_scan_kernelIiLj63ELj3EENSt9enable_ifIXsr10test_utilsE35device_test_enabled_for_warp_size_vIXT1_EEEvE4typeEPT_S4_
; %bb.0:
	s_load_dword s7, s[4:5], 0x1c
	s_load_dwordx4 s[0:3], s[4:5], 0x0
	v_mov_b32_e32 v2, 0
	s_waitcnt lgkmcnt(0)
	s_and_b32 s4, s7, 0xffff
	s_mul_i32 s6, s6, s4
	v_add_u32_e32 v1, s6, v0
	v_lshlrev_b64 v[1:2], 2, v[1:2]
	v_mov_b32_e32 v4, s1
	v_add_co_u32_e32 v3, vcc, s0, v1
	v_addc_co_u32_e32 v4, vcc, v4, v2, vcc
	global_load_dword v3, v[3:4], off
	v_mbcnt_lo_u32_b32 v4, -1, 0
	s_mov_b32 s0, 0x55555556
	v_mbcnt_hi_u32_b32 v4, -1, v4
	v_mul_hi_u32 v6, v4, s0
	v_mul_u32_u24_e32 v0, 0x5556, v0
	v_lshrrev_b32_e32 v5, 16, v0
	v_mul_u32_u24_e32 v0, 3, v6
	v_sub_u32_e32 v4, v4, v0
	v_lshlrev_b32_e32 v0, 2, v4
	v_mad_u32_u24 v0, v5, 12, v0
	v_cmp_ne_u32_e32 vcc, 0, v4
	s_waitcnt vmcnt(0)
	ds_write_b32 v0, v3
	; wave barrier
	s_and_saveexec_b64 s[0:1], vcc
	s_cbranch_execz .LBB19_2
; %bb.1:
	v_add_u32_e32 v6, -4, v0
	ds_read_b32 v6, v6
	s_waitcnt lgkmcnt(0)
	v_add_u32_e32 v3, v6, v3
.LBB19_2:
	s_or_b64 exec, exec, s[0:1]
	v_mul_u32_u24_e32 v5, 12, v5
	; wave barrier
	s_and_saveexec_b64 s[0:1], vcc
; %bb.3:
	ds_write_b32 v0, v3
; %bb.4:
	s_or_b64 exec, exec, s[0:1]
	; wave barrier
	ds_read_b32 v5, v5
	v_cmp_lt_u32_e32 vcc, 1, v4
	; wave barrier
	s_waitcnt lgkmcnt(0)
	v_cndmask_b32_e32 v4, 0, v5, vcc
	v_add_u32_e32 v3, v4, v3
	s_and_saveexec_b64 s[0:1], vcc
; %bb.5:
	ds_write_b32 v0, v3
; %bb.6:
	s_or_b64 exec, exec, s[0:1]
	v_mov_b32_e32 v4, s3
	v_add_co_u32_e32 v0, vcc, s2, v1
	v_addc_co_u32_e32 v1, vcc, v4, v2, vcc
	; wave barrier
	global_store_dword v[0:1], v3, off
	s_endpgm
	.section	.rodata,"a",@progbits
	.p2align	6, 0x0
	.amdhsa_kernel _Z26warp_inclusive_scan_kernelIiLj63ELj3EENSt9enable_ifIXsr10test_utilsE35device_test_enabled_for_warp_size_vIXT1_EEEvE4typeEPT_S4_
		.amdhsa_group_segment_fixed_size 252
		.amdhsa_private_segment_fixed_size 0
		.amdhsa_kernarg_size 272
		.amdhsa_user_sgpr_count 6
		.amdhsa_user_sgpr_private_segment_buffer 1
		.amdhsa_user_sgpr_dispatch_ptr 0
		.amdhsa_user_sgpr_queue_ptr 0
		.amdhsa_user_sgpr_kernarg_segment_ptr 1
		.amdhsa_user_sgpr_dispatch_id 0
		.amdhsa_user_sgpr_flat_scratch_init 0
		.amdhsa_user_sgpr_private_segment_size 0
		.amdhsa_uses_dynamic_stack 0
		.amdhsa_system_sgpr_private_segment_wavefront_offset 0
		.amdhsa_system_sgpr_workgroup_id_x 1
		.amdhsa_system_sgpr_workgroup_id_y 0
		.amdhsa_system_sgpr_workgroup_id_z 0
		.amdhsa_system_sgpr_workgroup_info 0
		.amdhsa_system_vgpr_workitem_id 0
		.amdhsa_next_free_vgpr 7
		.amdhsa_next_free_sgpr 8
		.amdhsa_reserve_vcc 1
		.amdhsa_reserve_flat_scratch 0
		.amdhsa_float_round_mode_32 0
		.amdhsa_float_round_mode_16_64 0
		.amdhsa_float_denorm_mode_32 3
		.amdhsa_float_denorm_mode_16_64 3
		.amdhsa_dx10_clamp 1
		.amdhsa_ieee_mode 1
		.amdhsa_fp16_overflow 0
		.amdhsa_exception_fp_ieee_invalid_op 0
		.amdhsa_exception_fp_denorm_src 0
		.amdhsa_exception_fp_ieee_div_zero 0
		.amdhsa_exception_fp_ieee_overflow 0
		.amdhsa_exception_fp_ieee_underflow 0
		.amdhsa_exception_fp_ieee_inexact 0
		.amdhsa_exception_int_div_zero 0
	.end_amdhsa_kernel
	.section	.text._Z26warp_inclusive_scan_kernelIiLj63ELj3EENSt9enable_ifIXsr10test_utilsE35device_test_enabled_for_warp_size_vIXT1_EEEvE4typeEPT_S4_,"axG",@progbits,_Z26warp_inclusive_scan_kernelIiLj63ELj3EENSt9enable_ifIXsr10test_utilsE35device_test_enabled_for_warp_size_vIXT1_EEEvE4typeEPT_S4_,comdat
.Lfunc_end19:
	.size	_Z26warp_inclusive_scan_kernelIiLj63ELj3EENSt9enable_ifIXsr10test_utilsE35device_test_enabled_for_warp_size_vIXT1_EEEvE4typeEPT_S4_, .Lfunc_end19-_Z26warp_inclusive_scan_kernelIiLj63ELj3EENSt9enable_ifIXsr10test_utilsE35device_test_enabled_for_warp_size_vIXT1_EEEvE4typeEPT_S4_
                                        ; -- End function
	.set _Z26warp_inclusive_scan_kernelIiLj63ELj3EENSt9enable_ifIXsr10test_utilsE35device_test_enabled_for_warp_size_vIXT1_EEEvE4typeEPT_S4_.num_vgpr, 7
	.set _Z26warp_inclusive_scan_kernelIiLj63ELj3EENSt9enable_ifIXsr10test_utilsE35device_test_enabled_for_warp_size_vIXT1_EEEvE4typeEPT_S4_.num_agpr, 0
	.set _Z26warp_inclusive_scan_kernelIiLj63ELj3EENSt9enable_ifIXsr10test_utilsE35device_test_enabled_for_warp_size_vIXT1_EEEvE4typeEPT_S4_.numbered_sgpr, 8
	.set _Z26warp_inclusive_scan_kernelIiLj63ELj3EENSt9enable_ifIXsr10test_utilsE35device_test_enabled_for_warp_size_vIXT1_EEEvE4typeEPT_S4_.num_named_barrier, 0
	.set _Z26warp_inclusive_scan_kernelIiLj63ELj3EENSt9enable_ifIXsr10test_utilsE35device_test_enabled_for_warp_size_vIXT1_EEEvE4typeEPT_S4_.private_seg_size, 0
	.set _Z26warp_inclusive_scan_kernelIiLj63ELj3EENSt9enable_ifIXsr10test_utilsE35device_test_enabled_for_warp_size_vIXT1_EEEvE4typeEPT_S4_.uses_vcc, 1
	.set _Z26warp_inclusive_scan_kernelIiLj63ELj3EENSt9enable_ifIXsr10test_utilsE35device_test_enabled_for_warp_size_vIXT1_EEEvE4typeEPT_S4_.uses_flat_scratch, 0
	.set _Z26warp_inclusive_scan_kernelIiLj63ELj3EENSt9enable_ifIXsr10test_utilsE35device_test_enabled_for_warp_size_vIXT1_EEEvE4typeEPT_S4_.has_dyn_sized_stack, 0
	.set _Z26warp_inclusive_scan_kernelIiLj63ELj3EENSt9enable_ifIXsr10test_utilsE35device_test_enabled_for_warp_size_vIXT1_EEEvE4typeEPT_S4_.has_recursion, 0
	.set _Z26warp_inclusive_scan_kernelIiLj63ELj3EENSt9enable_ifIXsr10test_utilsE35device_test_enabled_for_warp_size_vIXT1_EEEvE4typeEPT_S4_.has_indirect_call, 0
	.section	.AMDGPU.csdata,"",@progbits
; Kernel info:
; codeLenInByte = 264
; TotalNumSgprs: 12
; NumVgprs: 7
; ScratchSize: 0
; MemoryBound: 0
; FloatMode: 240
; IeeeMode: 1
; LDSByteSize: 252 bytes/workgroup (compile time only)
; SGPRBlocks: 1
; VGPRBlocks: 1
; NumSGPRsForWavesPerEU: 12
; NumVGPRsForWavesPerEU: 7
; Occupancy: 10
; WaveLimiterHint : 0
; COMPUTE_PGM_RSRC2:SCRATCH_EN: 0
; COMPUTE_PGM_RSRC2:USER_SGPR: 6
; COMPUTE_PGM_RSRC2:TRAP_HANDLER: 0
; COMPUTE_PGM_RSRC2:TGID_X_EN: 1
; COMPUTE_PGM_RSRC2:TGID_Y_EN: 0
; COMPUTE_PGM_RSRC2:TGID_Z_EN: 0
; COMPUTE_PGM_RSRC2:TIDIG_COMP_CNT: 0
	.section	.text._Z26warp_inclusive_scan_kernelI12hip_bfloat16Lj256ELj64EENSt9enable_ifIXsr10test_utilsE35device_test_enabled_for_warp_size_vIXT1_EEEvE4typeEPT_S5_,"axG",@progbits,_Z26warp_inclusive_scan_kernelI12hip_bfloat16Lj256ELj64EENSt9enable_ifIXsr10test_utilsE35device_test_enabled_for_warp_size_vIXT1_EEEvE4typeEPT_S5_,comdat
	.protected	_Z26warp_inclusive_scan_kernelI12hip_bfloat16Lj256ELj64EENSt9enable_ifIXsr10test_utilsE35device_test_enabled_for_warp_size_vIXT1_EEEvE4typeEPT_S5_ ; -- Begin function _Z26warp_inclusive_scan_kernelI12hip_bfloat16Lj256ELj64EENSt9enable_ifIXsr10test_utilsE35device_test_enabled_for_warp_size_vIXT1_EEEvE4typeEPT_S5_
	.globl	_Z26warp_inclusive_scan_kernelI12hip_bfloat16Lj256ELj64EENSt9enable_ifIXsr10test_utilsE35device_test_enabled_for_warp_size_vIXT1_EEEvE4typeEPT_S5_
	.p2align	8
	.type	_Z26warp_inclusive_scan_kernelI12hip_bfloat16Lj256ELj64EENSt9enable_ifIXsr10test_utilsE35device_test_enabled_for_warp_size_vIXT1_EEEvE4typeEPT_S5_,@function
_Z26warp_inclusive_scan_kernelI12hip_bfloat16Lj256ELj64EENSt9enable_ifIXsr10test_utilsE35device_test_enabled_for_warp_size_vIXT1_EEEvE4typeEPT_S5_: ; @_Z26warp_inclusive_scan_kernelI12hip_bfloat16Lj256ELj64EENSt9enable_ifIXsr10test_utilsE35device_test_enabled_for_warp_size_vIXT1_EEEvE4typeEPT_S5_
; %bb.0:
	s_load_dword s0, s[4:5], 0x1c
	s_load_dwordx4 s[8:11], s[4:5], 0x0
	v_mov_b32_e32 v1, 0
	s_waitcnt lgkmcnt(0)
	s_and_b32 s0, s0, 0xffff
	s_mul_i32 s6, s6, s0
	v_add_u32_e32 v0, s6, v0
	v_lshlrev_b64 v[0:1], 1, v[0:1]
	v_mov_b32_e32 v3, s9
	v_add_co_u32_e32 v2, vcc, s8, v0
	v_addc_co_u32_e32 v3, vcc, v3, v1, vcc
	global_load_ushort v2, v[2:3], off
	s_mov_b32 s0, 0x7f800000
	s_waitcnt vmcnt(0)
	v_lshlrev_b32_e32 v5, 16, v2
	v_mov_b32_dpp v3, v2 row_shr:1 row_mask:0xf bank_mask:0xf
	v_lshlrev_b32_e32 v3, 16, v3
	v_add_f32_e32 v4, v5, v3
	v_and_b32_e32 v3, 0x7f800000, v4
	v_cmp_ne_u32_e32 vcc, s0, v3
                                        ; implicit-def: $vgpr3
	s_and_saveexec_b64 s[0:1], vcc
	s_xor_b64 s[0:1], exec, s[0:1]
; %bb.1:
	v_bfe_u32 v3, v4, 16, 1
	s_movk_i32 s2, 0x7fff
	v_add3_u32 v3, v4, v3, s2
                                        ; implicit-def: $vgpr4
; %bb.2:
	s_andn2_saveexec_b64 s[0:1], s[0:1]
; %bb.3:
	v_mov_b32_e32 v3, 0
	v_or_b32_e32 v6, 0x10000, v4
	v_cmp_eq_u32_sdwa vcc, v4, v3 src0_sel:WORD_0 src1_sel:DWORD
	v_cndmask_b32_e32 v3, v6, v4, vcc
; %bb.4:
	s_or_b64 exec, exec, s[0:1]
	v_mbcnt_lo_u32_b32 v4, -1, 0
	v_mbcnt_hi_u32_b32 v4, -1, v4
	v_and_b32_e32 v7, 15, v4
	v_cmp_eq_u32_e64 s[0:1], 0, v7
	s_mov_b64 vcc, s[0:1]
	v_and_b32_e32 v6, 0xffff0000, v3
	v_cndmask_b32_sdwa v8, v3, v2, vcc dst_sel:DWORD dst_unused:UNUSED_PAD src0_sel:WORD_1 src1_sel:DWORD
	v_cndmask_b32_e64 v6, v6, v5, s[0:1]
	s_mov_b32 s2, 0x7f800000
	v_mov_b32_dpp v5, v8 row_shr:2 row_mask:0xf bank_mask:0xf
	v_lshlrev_b32_e32 v5, 16, v5
	v_add_f32_e32 v9, v6, v5
	v_and_b32_e32 v5, 0x7f800000, v9
	v_cmp_ne_u32_e32 vcc, s2, v5
                                        ; implicit-def: $vgpr5
	s_and_saveexec_b64 s[2:3], vcc
	s_xor_b64 s[2:3], exec, s[2:3]
; %bb.5:
	v_bfe_u32 v5, v9, 16, 1
	s_movk_i32 s4, 0x7fff
	v_add3_u32 v5, v9, v5, s4
                                        ; implicit-def: $vgpr9
; %bb.6:
	s_andn2_saveexec_b64 s[2:3], s[2:3]
; %bb.7:
	v_mov_b32_e32 v5, 0
	v_or_b32_e32 v10, 0x10000, v9
	v_cmp_eq_u32_sdwa vcc, v9, v5 src0_sel:WORD_0 src1_sel:DWORD
	v_cndmask_b32_e32 v5, v10, v9, vcc
; %bb.8:
	s_or_b64 exec, exec, s[2:3]
	v_cmp_lt_u32_e64 s[2:3], 1, v7
	s_mov_b64 vcc, s[2:3]
	v_and_b32_e32 v9, 0xffff0000, v5
	v_cndmask_b32_sdwa v8, v8, v5, vcc dst_sel:DWORD dst_unused:UNUSED_PAD src0_sel:DWORD src1_sel:WORD_1
	v_cndmask_b32_e64 v9, v6, v9, s[2:3]
	s_mov_b32 s4, 0x7f800000
	v_mov_b32_dpp v6, v8 row_shr:4 row_mask:0xf bank_mask:0xf
	v_lshlrev_b32_e32 v6, 16, v6
	v_add_f32_e32 v10, v9, v6
	v_and_b32_e32 v6, 0x7f800000, v10
	v_cmp_ne_u32_e32 vcc, s4, v6
                                        ; implicit-def: $vgpr6
	s_and_saveexec_b64 s[4:5], vcc
	s_xor_b64 s[4:5], exec, s[4:5]
; %bb.9:
	v_bfe_u32 v6, v10, 16, 1
	s_movk_i32 s6, 0x7fff
	v_add3_u32 v6, v10, v6, s6
                                        ; implicit-def: $vgpr10
; %bb.10:
	s_andn2_saveexec_b64 s[4:5], s[4:5]
; %bb.11:
	v_mov_b32_e32 v6, 0
	v_or_b32_e32 v11, 0x10000, v10
	v_cmp_eq_u32_sdwa vcc, v10, v6 src0_sel:WORD_0 src1_sel:DWORD
	v_cndmask_b32_e32 v6, v11, v10, vcc
; %bb.12:
	s_or_b64 exec, exec, s[4:5]
	v_cmp_lt_u32_e64 s[4:5], 3, v7
	v_and_b32_e32 v10, 0xffff0000, v6
	s_mov_b64 vcc, s[4:5]
	v_cndmask_b32_e64 v9, v9, v10, s[4:5]
	v_cndmask_b32_sdwa v10, v8, v6, vcc dst_sel:DWORD dst_unused:UNUSED_PAD src0_sel:DWORD src1_sel:WORD_1
	s_mov_b32 s6, 0x7f800000
	s_nop 0
	v_mov_b32_dpp v8, v10 row_shr:8 row_mask:0xf bank_mask:0xf
	v_lshlrev_b32_e32 v8, 16, v8
	v_add_f32_e32 v11, v9, v8
	v_and_b32_e32 v8, 0x7f800000, v11
	v_cmp_ne_u32_e32 vcc, s6, v8
                                        ; implicit-def: $vgpr8
	s_and_saveexec_b64 s[6:7], vcc
	s_xor_b64 s[6:7], exec, s[6:7]
; %bb.13:
	v_bfe_u32 v8, v11, 16, 1
	s_movk_i32 s8, 0x7fff
	v_add3_u32 v8, v11, v8, s8
                                        ; implicit-def: $vgpr11
; %bb.14:
	s_andn2_saveexec_b64 s[6:7], s[6:7]
; %bb.15:
	v_mov_b32_e32 v8, 0
	v_or_b32_e32 v12, 0x10000, v11
	v_cmp_eq_u32_sdwa vcc, v11, v8 src0_sel:WORD_0 src1_sel:DWORD
	v_cndmask_b32_e32 v8, v12, v11, vcc
; %bb.16:
	s_or_b64 exec, exec, s[6:7]
	v_cmp_lt_u32_e64 s[6:7], 7, v7
	s_mov_b64 vcc, s[6:7]
	v_cndmask_b32_sdwa v10, v10, v8, vcc dst_sel:DWORD dst_unused:UNUSED_PAD src0_sel:DWORD src1_sel:WORD_1
	v_and_b32_e32 v11, 0xffff0000, v8
	v_cndmask_b32_e64 v9, v9, v11, s[6:7]
	v_mov_b32_dpp v7, v10 row_bcast:15 row_mask:0xf bank_mask:0xf
	v_lshlrev_b32_e32 v7, 16, v7
	v_add_f32_e32 v11, v9, v7
	s_mov_b32 s8, 0x7f800000
	v_and_b32_e32 v7, 0x7f800000, v11
	v_cmp_ne_u32_e32 vcc, s8, v7
                                        ; implicit-def: $vgpr7
	s_and_saveexec_b64 s[8:9], vcc
	s_xor_b64 s[8:9], exec, s[8:9]
; %bb.17:
	v_bfe_u32 v7, v11, 16, 1
	s_movk_i32 s12, 0x7fff
	v_add3_u32 v7, v11, v7, s12
                                        ; implicit-def: $vgpr11
; %bb.18:
	s_andn2_saveexec_b64 s[8:9], s[8:9]
; %bb.19:
	v_mov_b32_e32 v7, 0
	v_or_b32_e32 v12, 0x10000, v11
	v_cmp_eq_u32_sdwa vcc, v11, v7 src0_sel:WORD_0 src1_sel:DWORD
	v_cndmask_b32_e32 v7, v12, v11, vcc
; %bb.20:
	s_or_b64 exec, exec, s[8:9]
	v_and_b32_e32 v11, 16, v4
	v_cmp_eq_u32_e64 s[8:9], 0, v11
	s_mov_b64 vcc, s[8:9]
	v_cndmask_b32_sdwa v10, v7, v10, vcc dst_sel:DWORD dst_unused:UNUSED_PAD src0_sel:WORD_1 src1_sel:DWORD
	v_and_b32_e32 v12, 0xffff0000, v7
	v_cndmask_b32_e64 v9, v12, v9, s[8:9]
	v_mov_b32_dpp v10, v10 row_bcast:31 row_mask:0xf bank_mask:0xf
	v_lshlrev_b32_e32 v10, 16, v10
	v_add_f32_e32 v10, v9, v10
	s_mov_b32 s12, 0x7f800000
	v_and_b32_e32 v9, 0x7f800000, v10
	v_cmp_ne_u32_e32 vcc, s12, v9
                                        ; implicit-def: $vgpr9
	s_and_saveexec_b64 s[12:13], vcc
	s_xor_b64 s[12:13], exec, s[12:13]
; %bb.21:
	v_bfe_u32 v9, v10, 16, 1
	s_movk_i32 s14, 0x7fff
	v_add3_u32 v9, v10, v9, s14
                                        ; implicit-def: $vgpr10
; %bb.22:
	s_andn2_saveexec_b64 s[12:13], s[12:13]
; %bb.23:
	v_mov_b32_e32 v9, 0
	v_or_b32_e32 v11, 0x10000, v10
	v_cmp_eq_u32_sdwa vcc, v10, v9 src0_sel:WORD_0 src1_sel:DWORD
	v_cndmask_b32_e32 v9, v11, v10, vcc
; %bb.24:
	s_or_b64 exec, exec, s[12:13]
	s_mov_b64 vcc, s[0:1]
	v_cndmask_b32_sdwa v2, v3, v2, vcc dst_sel:DWORD dst_unused:UNUSED_PAD src0_sel:WORD_1 src1_sel:DWORD
	s_mov_b64 vcc, s[2:3]
	v_cndmask_b32_sdwa v2, v2, v5, vcc dst_sel:DWORD dst_unused:UNUSED_PAD src0_sel:DWORD src1_sel:WORD_1
	s_mov_b64 vcc, s[4:5]
	v_cndmask_b32_sdwa v2, v2, v6, vcc dst_sel:DWORD dst_unused:UNUSED_PAD src0_sel:DWORD src1_sel:WORD_1
	;; [unrolled: 2-line block ×3, first 2 shown]
	s_mov_b64 vcc, s[8:9]
	v_cndmask_b32_sdwa v2, v7, v2, vcc dst_sel:DWORD dst_unused:UNUSED_PAD src0_sel:WORD_1 src1_sel:DWORD
	v_cmp_lt_u32_e32 vcc, 31, v4
	v_cndmask_b32_sdwa v2, v2, v9, vcc dst_sel:DWORD dst_unused:UNUSED_PAD src0_sel:DWORD src1_sel:WORD_1
	v_mov_b32_e32 v3, s11
	v_add_co_u32_e32 v0, vcc, s10, v0
	v_addc_co_u32_e32 v1, vcc, v3, v1, vcc
	global_store_short v[0:1], v2, off
	s_endpgm
	.section	.rodata,"a",@progbits
	.p2align	6, 0x0
	.amdhsa_kernel _Z26warp_inclusive_scan_kernelI12hip_bfloat16Lj256ELj64EENSt9enable_ifIXsr10test_utilsE35device_test_enabled_for_warp_size_vIXT1_EEEvE4typeEPT_S5_
		.amdhsa_group_segment_fixed_size 0
		.amdhsa_private_segment_fixed_size 0
		.amdhsa_kernarg_size 272
		.amdhsa_user_sgpr_count 6
		.amdhsa_user_sgpr_private_segment_buffer 1
		.amdhsa_user_sgpr_dispatch_ptr 0
		.amdhsa_user_sgpr_queue_ptr 0
		.amdhsa_user_sgpr_kernarg_segment_ptr 1
		.amdhsa_user_sgpr_dispatch_id 0
		.amdhsa_user_sgpr_flat_scratch_init 0
		.amdhsa_user_sgpr_private_segment_size 0
		.amdhsa_uses_dynamic_stack 0
		.amdhsa_system_sgpr_private_segment_wavefront_offset 0
		.amdhsa_system_sgpr_workgroup_id_x 1
		.amdhsa_system_sgpr_workgroup_id_y 0
		.amdhsa_system_sgpr_workgroup_id_z 0
		.amdhsa_system_sgpr_workgroup_info 0
		.amdhsa_system_vgpr_workitem_id 0
		.amdhsa_next_free_vgpr 13
		.amdhsa_next_free_sgpr 15
		.amdhsa_reserve_vcc 1
		.amdhsa_reserve_flat_scratch 0
		.amdhsa_float_round_mode_32 0
		.amdhsa_float_round_mode_16_64 0
		.amdhsa_float_denorm_mode_32 3
		.amdhsa_float_denorm_mode_16_64 3
		.amdhsa_dx10_clamp 1
		.amdhsa_ieee_mode 1
		.amdhsa_fp16_overflow 0
		.amdhsa_exception_fp_ieee_invalid_op 0
		.amdhsa_exception_fp_denorm_src 0
		.amdhsa_exception_fp_ieee_div_zero 0
		.amdhsa_exception_fp_ieee_overflow 0
		.amdhsa_exception_fp_ieee_underflow 0
		.amdhsa_exception_fp_ieee_inexact 0
		.amdhsa_exception_int_div_zero 0
	.end_amdhsa_kernel
	.section	.text._Z26warp_inclusive_scan_kernelI12hip_bfloat16Lj256ELj64EENSt9enable_ifIXsr10test_utilsE35device_test_enabled_for_warp_size_vIXT1_EEEvE4typeEPT_S5_,"axG",@progbits,_Z26warp_inclusive_scan_kernelI12hip_bfloat16Lj256ELj64EENSt9enable_ifIXsr10test_utilsE35device_test_enabled_for_warp_size_vIXT1_EEEvE4typeEPT_S5_,comdat
.Lfunc_end20:
	.size	_Z26warp_inclusive_scan_kernelI12hip_bfloat16Lj256ELj64EENSt9enable_ifIXsr10test_utilsE35device_test_enabled_for_warp_size_vIXT1_EEEvE4typeEPT_S5_, .Lfunc_end20-_Z26warp_inclusive_scan_kernelI12hip_bfloat16Lj256ELj64EENSt9enable_ifIXsr10test_utilsE35device_test_enabled_for_warp_size_vIXT1_EEEvE4typeEPT_S5_
                                        ; -- End function
	.set _Z26warp_inclusive_scan_kernelI12hip_bfloat16Lj256ELj64EENSt9enable_ifIXsr10test_utilsE35device_test_enabled_for_warp_size_vIXT1_EEEvE4typeEPT_S5_.num_vgpr, 13
	.set _Z26warp_inclusive_scan_kernelI12hip_bfloat16Lj256ELj64EENSt9enable_ifIXsr10test_utilsE35device_test_enabled_for_warp_size_vIXT1_EEEvE4typeEPT_S5_.num_agpr, 0
	.set _Z26warp_inclusive_scan_kernelI12hip_bfloat16Lj256ELj64EENSt9enable_ifIXsr10test_utilsE35device_test_enabled_for_warp_size_vIXT1_EEEvE4typeEPT_S5_.numbered_sgpr, 15
	.set _Z26warp_inclusive_scan_kernelI12hip_bfloat16Lj256ELj64EENSt9enable_ifIXsr10test_utilsE35device_test_enabled_for_warp_size_vIXT1_EEEvE4typeEPT_S5_.num_named_barrier, 0
	.set _Z26warp_inclusive_scan_kernelI12hip_bfloat16Lj256ELj64EENSt9enable_ifIXsr10test_utilsE35device_test_enabled_for_warp_size_vIXT1_EEEvE4typeEPT_S5_.private_seg_size, 0
	.set _Z26warp_inclusive_scan_kernelI12hip_bfloat16Lj256ELj64EENSt9enable_ifIXsr10test_utilsE35device_test_enabled_for_warp_size_vIXT1_EEEvE4typeEPT_S5_.uses_vcc, 1
	.set _Z26warp_inclusive_scan_kernelI12hip_bfloat16Lj256ELj64EENSt9enable_ifIXsr10test_utilsE35device_test_enabled_for_warp_size_vIXT1_EEEvE4typeEPT_S5_.uses_flat_scratch, 0
	.set _Z26warp_inclusive_scan_kernelI12hip_bfloat16Lj256ELj64EENSt9enable_ifIXsr10test_utilsE35device_test_enabled_for_warp_size_vIXT1_EEEvE4typeEPT_S5_.has_dyn_sized_stack, 0
	.set _Z26warp_inclusive_scan_kernelI12hip_bfloat16Lj256ELj64EENSt9enable_ifIXsr10test_utilsE35device_test_enabled_for_warp_size_vIXT1_EEEvE4typeEPT_S5_.has_recursion, 0
	.set _Z26warp_inclusive_scan_kernelI12hip_bfloat16Lj256ELj64EENSt9enable_ifIXsr10test_utilsE35device_test_enabled_for_warp_size_vIXT1_EEEvE4typeEPT_S5_.has_indirect_call, 0
	.section	.AMDGPU.csdata,"",@progbits
; Kernel info:
; codeLenInByte = 956
; TotalNumSgprs: 19
; NumVgprs: 13
; ScratchSize: 0
; MemoryBound: 0
; FloatMode: 240
; IeeeMode: 1
; LDSByteSize: 0 bytes/workgroup (compile time only)
; SGPRBlocks: 2
; VGPRBlocks: 3
; NumSGPRsForWavesPerEU: 19
; NumVGPRsForWavesPerEU: 13
; Occupancy: 10
; WaveLimiterHint : 0
; COMPUTE_PGM_RSRC2:SCRATCH_EN: 0
; COMPUTE_PGM_RSRC2:USER_SGPR: 6
; COMPUTE_PGM_RSRC2:TRAP_HANDLER: 0
; COMPUTE_PGM_RSRC2:TGID_X_EN: 1
; COMPUTE_PGM_RSRC2:TGID_Y_EN: 0
; COMPUTE_PGM_RSRC2:TGID_Z_EN: 0
; COMPUTE_PGM_RSRC2:TIDIG_COMP_CNT: 0
	.section	.text._Z26warp_inclusive_scan_kernelI12hip_bfloat16Lj128ELj32EENSt9enable_ifIXsr10test_utilsE35device_test_enabled_for_warp_size_vIXT1_EEEvE4typeEPT_S5_,"axG",@progbits,_Z26warp_inclusive_scan_kernelI12hip_bfloat16Lj128ELj32EENSt9enable_ifIXsr10test_utilsE35device_test_enabled_for_warp_size_vIXT1_EEEvE4typeEPT_S5_,comdat
	.protected	_Z26warp_inclusive_scan_kernelI12hip_bfloat16Lj128ELj32EENSt9enable_ifIXsr10test_utilsE35device_test_enabled_for_warp_size_vIXT1_EEEvE4typeEPT_S5_ ; -- Begin function _Z26warp_inclusive_scan_kernelI12hip_bfloat16Lj128ELj32EENSt9enable_ifIXsr10test_utilsE35device_test_enabled_for_warp_size_vIXT1_EEEvE4typeEPT_S5_
	.globl	_Z26warp_inclusive_scan_kernelI12hip_bfloat16Lj128ELj32EENSt9enable_ifIXsr10test_utilsE35device_test_enabled_for_warp_size_vIXT1_EEEvE4typeEPT_S5_
	.p2align	8
	.type	_Z26warp_inclusive_scan_kernelI12hip_bfloat16Lj128ELj32EENSt9enable_ifIXsr10test_utilsE35device_test_enabled_for_warp_size_vIXT1_EEEvE4typeEPT_S5_,@function
_Z26warp_inclusive_scan_kernelI12hip_bfloat16Lj128ELj32EENSt9enable_ifIXsr10test_utilsE35device_test_enabled_for_warp_size_vIXT1_EEEvE4typeEPT_S5_: ; @_Z26warp_inclusive_scan_kernelI12hip_bfloat16Lj128ELj32EENSt9enable_ifIXsr10test_utilsE35device_test_enabled_for_warp_size_vIXT1_EEEvE4typeEPT_S5_
; %bb.0:
	s_load_dword s0, s[4:5], 0x1c
	s_load_dwordx4 s[8:11], s[4:5], 0x0
	v_mov_b32_e32 v1, 0
	s_waitcnt lgkmcnt(0)
	s_and_b32 s0, s0, 0xffff
	s_mul_i32 s6, s6, s0
	v_add_u32_e32 v0, s6, v0
	v_lshlrev_b64 v[0:1], 1, v[0:1]
	v_mov_b32_e32 v3, s9
	v_add_co_u32_e32 v2, vcc, s8, v0
	v_addc_co_u32_e32 v3, vcc, v3, v1, vcc
	global_load_ushort v2, v[2:3], off
	s_mov_b32 s0, 0x7f800000
	s_waitcnt vmcnt(0)
	v_lshlrev_b32_e32 v5, 16, v2
	v_mov_b32_dpp v3, v2 row_shr:1 row_mask:0xf bank_mask:0xf
	v_lshlrev_b32_e32 v3, 16, v3
	v_add_f32_e32 v4, v5, v3
	v_and_b32_e32 v3, 0x7f800000, v4
	v_cmp_ne_u32_e32 vcc, s0, v3
                                        ; implicit-def: $vgpr3
	s_and_saveexec_b64 s[0:1], vcc
	s_xor_b64 s[0:1], exec, s[0:1]
; %bb.1:
	v_bfe_u32 v3, v4, 16, 1
	s_movk_i32 s2, 0x7fff
	v_add3_u32 v3, v4, v3, s2
                                        ; implicit-def: $vgpr4
; %bb.2:
	s_andn2_saveexec_b64 s[0:1], s[0:1]
; %bb.3:
	v_mov_b32_e32 v3, 0
	v_or_b32_e32 v6, 0x10000, v4
	v_cmp_eq_u32_sdwa vcc, v4, v3 src0_sel:WORD_0 src1_sel:DWORD
	v_cndmask_b32_e32 v3, v6, v4, vcc
; %bb.4:
	s_or_b64 exec, exec, s[0:1]
	v_mbcnt_lo_u32_b32 v4, -1, 0
	v_mbcnt_hi_u32_b32 v4, -1, v4
	v_and_b32_e32 v6, 15, v4
	v_cmp_eq_u32_e64 s[0:1], 0, v6
	s_mov_b64 vcc, s[0:1]
	v_and_b32_e32 v7, 0xffff0000, v3
	v_cndmask_b32_sdwa v8, v3, v2, vcc dst_sel:DWORD dst_unused:UNUSED_PAD src0_sel:WORD_1 src1_sel:DWORD
	v_cndmask_b32_e64 v7, v7, v5, s[0:1]
	s_mov_b32 s2, 0x7f800000
	v_mov_b32_dpp v5, v8 row_shr:2 row_mask:0xf bank_mask:0xf
	v_lshlrev_b32_e32 v5, 16, v5
	v_add_f32_e32 v9, v7, v5
	v_and_b32_e32 v5, 0x7f800000, v9
	v_cmp_ne_u32_e32 vcc, s2, v5
                                        ; implicit-def: $vgpr5
	s_and_saveexec_b64 s[2:3], vcc
	s_xor_b64 s[2:3], exec, s[2:3]
; %bb.5:
	v_bfe_u32 v5, v9, 16, 1
	s_movk_i32 s4, 0x7fff
	v_add3_u32 v5, v9, v5, s4
                                        ; implicit-def: $vgpr9
; %bb.6:
	s_andn2_saveexec_b64 s[2:3], s[2:3]
; %bb.7:
	v_mov_b32_e32 v5, 0
	v_or_b32_e32 v10, 0x10000, v9
	v_cmp_eq_u32_sdwa vcc, v9, v5 src0_sel:WORD_0 src1_sel:DWORD
	v_cndmask_b32_e32 v5, v10, v9, vcc
; %bb.8:
	s_or_b64 exec, exec, s[2:3]
	v_cmp_lt_u32_e64 s[2:3], 1, v6
	s_mov_b64 vcc, s[2:3]
	v_and_b32_e32 v9, 0xffff0000, v5
	v_cndmask_b32_sdwa v8, v8, v5, vcc dst_sel:DWORD dst_unused:UNUSED_PAD src0_sel:DWORD src1_sel:WORD_1
	v_cndmask_b32_e64 v9, v7, v9, s[2:3]
	s_mov_b32 s4, 0x7f800000
	v_mov_b32_dpp v7, v8 row_shr:4 row_mask:0xf bank_mask:0xf
	v_lshlrev_b32_e32 v7, 16, v7
	v_add_f32_e32 v10, v9, v7
	v_and_b32_e32 v7, 0x7f800000, v10
	v_cmp_ne_u32_e32 vcc, s4, v7
                                        ; implicit-def: $vgpr7
	s_and_saveexec_b64 s[4:5], vcc
	s_xor_b64 s[4:5], exec, s[4:5]
; %bb.9:
	v_bfe_u32 v7, v10, 16, 1
	s_movk_i32 s6, 0x7fff
	v_add3_u32 v7, v10, v7, s6
                                        ; implicit-def: $vgpr10
; %bb.10:
	s_andn2_saveexec_b64 s[4:5], s[4:5]
; %bb.11:
	v_mov_b32_e32 v7, 0
	v_or_b32_e32 v11, 0x10000, v10
	v_cmp_eq_u32_sdwa vcc, v10, v7 src0_sel:WORD_0 src1_sel:DWORD
	v_cndmask_b32_e32 v7, v11, v10, vcc
; %bb.12:
	s_or_b64 exec, exec, s[4:5]
	v_cmp_lt_u32_e64 s[4:5], 3, v6
	v_and_b32_e32 v10, 0xffff0000, v7
	s_mov_b64 vcc, s[4:5]
	v_cndmask_b32_e64 v9, v9, v10, s[4:5]
	v_cndmask_b32_sdwa v10, v8, v7, vcc dst_sel:DWORD dst_unused:UNUSED_PAD src0_sel:DWORD src1_sel:WORD_1
	s_mov_b32 s6, 0x7f800000
	s_nop 0
	v_mov_b32_dpp v8, v10 row_shr:8 row_mask:0xf bank_mask:0xf
	v_lshlrev_b32_e32 v8, 16, v8
	v_add_f32_e32 v11, v9, v8
	v_and_b32_e32 v8, 0x7f800000, v11
	v_cmp_ne_u32_e32 vcc, s6, v8
                                        ; implicit-def: $vgpr8
	s_and_saveexec_b64 s[6:7], vcc
	s_xor_b64 s[6:7], exec, s[6:7]
; %bb.13:
	v_bfe_u32 v8, v11, 16, 1
	s_movk_i32 s8, 0x7fff
	v_add3_u32 v8, v11, v8, s8
                                        ; implicit-def: $vgpr11
; %bb.14:
	s_andn2_saveexec_b64 s[6:7], s[6:7]
; %bb.15:
	v_mov_b32_e32 v8, 0
	v_or_b32_e32 v12, 0x10000, v11
	v_cmp_eq_u32_sdwa vcc, v11, v8 src0_sel:WORD_0 src1_sel:DWORD
	v_cndmask_b32_e32 v8, v12, v11, vcc
; %bb.16:
	s_or_b64 exec, exec, s[6:7]
	v_cmp_lt_u32_e64 s[6:7], 7, v6
	v_and_b32_e32 v11, 0xffff0000, v8
	s_mov_b64 vcc, s[6:7]
	v_cndmask_b32_e64 v6, v9, v11, s[6:7]
	v_cndmask_b32_sdwa v9, v10, v8, vcc dst_sel:DWORD dst_unused:UNUSED_PAD src0_sel:DWORD src1_sel:WORD_1
	s_mov_b32 s8, 0x7f800000
	s_nop 0
	v_mov_b32_dpp v9, v9 row_bcast:15 row_mask:0xf bank_mask:0xf
	v_lshlrev_b32_e32 v9, 16, v9
	v_add_f32_e32 v9, v6, v9
	v_and_b32_e32 v6, 0x7f800000, v9
	v_cmp_ne_u32_e32 vcc, s8, v6
                                        ; implicit-def: $vgpr6
	s_and_saveexec_b64 s[8:9], vcc
	s_xor_b64 s[8:9], exec, s[8:9]
; %bb.17:
	v_bfe_u32 v6, v9, 16, 1
	s_movk_i32 s12, 0x7fff
	v_add3_u32 v6, v9, v6, s12
                                        ; implicit-def: $vgpr9
; %bb.18:
	s_andn2_saveexec_b64 s[8:9], s[8:9]
; %bb.19:
	v_mov_b32_e32 v6, 0
	v_or_b32_e32 v10, 0x10000, v9
	v_cmp_eq_u32_sdwa vcc, v9, v6 src0_sel:WORD_0 src1_sel:DWORD
	v_cndmask_b32_e32 v6, v10, v9, vcc
; %bb.20:
	s_or_b64 exec, exec, s[8:9]
	s_mov_b64 vcc, s[0:1]
	v_cndmask_b32_sdwa v2, v3, v2, vcc dst_sel:DWORD dst_unused:UNUSED_PAD src0_sel:WORD_1 src1_sel:DWORD
	s_mov_b64 vcc, s[2:3]
	v_cndmask_b32_sdwa v2, v2, v5, vcc dst_sel:DWORD dst_unused:UNUSED_PAD src0_sel:DWORD src1_sel:WORD_1
	s_mov_b64 vcc, s[4:5]
	v_cndmask_b32_sdwa v2, v2, v7, vcc dst_sel:DWORD dst_unused:UNUSED_PAD src0_sel:DWORD src1_sel:WORD_1
	s_mov_b64 vcc, s[6:7]
	v_and_b32_e32 v3, 16, v4
	v_cndmask_b32_sdwa v2, v2, v8, vcc dst_sel:DWORD dst_unused:UNUSED_PAD src0_sel:DWORD src1_sel:WORD_1
	v_cmp_eq_u32_e32 vcc, 0, v3
	v_cndmask_b32_sdwa v2, v6, v2, vcc dst_sel:DWORD dst_unused:UNUSED_PAD src0_sel:WORD_1 src1_sel:DWORD
	v_mov_b32_e32 v3, s11
	v_add_co_u32_e32 v0, vcc, s10, v0
	v_addc_co_u32_e32 v1, vcc, v3, v1, vcc
	global_store_short v[0:1], v2, off
	s_endpgm
	.section	.rodata,"a",@progbits
	.p2align	6, 0x0
	.amdhsa_kernel _Z26warp_inclusive_scan_kernelI12hip_bfloat16Lj128ELj32EENSt9enable_ifIXsr10test_utilsE35device_test_enabled_for_warp_size_vIXT1_EEEvE4typeEPT_S5_
		.amdhsa_group_segment_fixed_size 0
		.amdhsa_private_segment_fixed_size 0
		.amdhsa_kernarg_size 272
		.amdhsa_user_sgpr_count 6
		.amdhsa_user_sgpr_private_segment_buffer 1
		.amdhsa_user_sgpr_dispatch_ptr 0
		.amdhsa_user_sgpr_queue_ptr 0
		.amdhsa_user_sgpr_kernarg_segment_ptr 1
		.amdhsa_user_sgpr_dispatch_id 0
		.amdhsa_user_sgpr_flat_scratch_init 0
		.amdhsa_user_sgpr_private_segment_size 0
		.amdhsa_uses_dynamic_stack 0
		.amdhsa_system_sgpr_private_segment_wavefront_offset 0
		.amdhsa_system_sgpr_workgroup_id_x 1
		.amdhsa_system_sgpr_workgroup_id_y 0
		.amdhsa_system_sgpr_workgroup_id_z 0
		.amdhsa_system_sgpr_workgroup_info 0
		.amdhsa_system_vgpr_workitem_id 0
		.amdhsa_next_free_vgpr 13
		.amdhsa_next_free_sgpr 13
		.amdhsa_reserve_vcc 1
		.amdhsa_reserve_flat_scratch 0
		.amdhsa_float_round_mode_32 0
		.amdhsa_float_round_mode_16_64 0
		.amdhsa_float_denorm_mode_32 3
		.amdhsa_float_denorm_mode_16_64 3
		.amdhsa_dx10_clamp 1
		.amdhsa_ieee_mode 1
		.amdhsa_fp16_overflow 0
		.amdhsa_exception_fp_ieee_invalid_op 0
		.amdhsa_exception_fp_denorm_src 0
		.amdhsa_exception_fp_ieee_div_zero 0
		.amdhsa_exception_fp_ieee_overflow 0
		.amdhsa_exception_fp_ieee_underflow 0
		.amdhsa_exception_fp_ieee_inexact 0
		.amdhsa_exception_int_div_zero 0
	.end_amdhsa_kernel
	.section	.text._Z26warp_inclusive_scan_kernelI12hip_bfloat16Lj128ELj32EENSt9enable_ifIXsr10test_utilsE35device_test_enabled_for_warp_size_vIXT1_EEEvE4typeEPT_S5_,"axG",@progbits,_Z26warp_inclusive_scan_kernelI12hip_bfloat16Lj128ELj32EENSt9enable_ifIXsr10test_utilsE35device_test_enabled_for_warp_size_vIXT1_EEEvE4typeEPT_S5_,comdat
.Lfunc_end21:
	.size	_Z26warp_inclusive_scan_kernelI12hip_bfloat16Lj128ELj32EENSt9enable_ifIXsr10test_utilsE35device_test_enabled_for_warp_size_vIXT1_EEEvE4typeEPT_S5_, .Lfunc_end21-_Z26warp_inclusive_scan_kernelI12hip_bfloat16Lj128ELj32EENSt9enable_ifIXsr10test_utilsE35device_test_enabled_for_warp_size_vIXT1_EEEvE4typeEPT_S5_
                                        ; -- End function
	.set _Z26warp_inclusive_scan_kernelI12hip_bfloat16Lj128ELj32EENSt9enable_ifIXsr10test_utilsE35device_test_enabled_for_warp_size_vIXT1_EEEvE4typeEPT_S5_.num_vgpr, 13
	.set _Z26warp_inclusive_scan_kernelI12hip_bfloat16Lj128ELj32EENSt9enable_ifIXsr10test_utilsE35device_test_enabled_for_warp_size_vIXT1_EEEvE4typeEPT_S5_.num_agpr, 0
	.set _Z26warp_inclusive_scan_kernelI12hip_bfloat16Lj128ELj32EENSt9enable_ifIXsr10test_utilsE35device_test_enabled_for_warp_size_vIXT1_EEEvE4typeEPT_S5_.numbered_sgpr, 13
	.set _Z26warp_inclusive_scan_kernelI12hip_bfloat16Lj128ELj32EENSt9enable_ifIXsr10test_utilsE35device_test_enabled_for_warp_size_vIXT1_EEEvE4typeEPT_S5_.num_named_barrier, 0
	.set _Z26warp_inclusive_scan_kernelI12hip_bfloat16Lj128ELj32EENSt9enable_ifIXsr10test_utilsE35device_test_enabled_for_warp_size_vIXT1_EEEvE4typeEPT_S5_.private_seg_size, 0
	.set _Z26warp_inclusive_scan_kernelI12hip_bfloat16Lj128ELj32EENSt9enable_ifIXsr10test_utilsE35device_test_enabled_for_warp_size_vIXT1_EEEvE4typeEPT_S5_.uses_vcc, 1
	.set _Z26warp_inclusive_scan_kernelI12hip_bfloat16Lj128ELj32EENSt9enable_ifIXsr10test_utilsE35device_test_enabled_for_warp_size_vIXT1_EEEvE4typeEPT_S5_.uses_flat_scratch, 0
	.set _Z26warp_inclusive_scan_kernelI12hip_bfloat16Lj128ELj32EENSt9enable_ifIXsr10test_utilsE35device_test_enabled_for_warp_size_vIXT1_EEEvE4typeEPT_S5_.has_dyn_sized_stack, 0
	.set _Z26warp_inclusive_scan_kernelI12hip_bfloat16Lj128ELj32EENSt9enable_ifIXsr10test_utilsE35device_test_enabled_for_warp_size_vIXT1_EEEvE4typeEPT_S5_.has_recursion, 0
	.set _Z26warp_inclusive_scan_kernelI12hip_bfloat16Lj128ELj32EENSt9enable_ifIXsr10test_utilsE35device_test_enabled_for_warp_size_vIXT1_EEEvE4typeEPT_S5_.has_indirect_call, 0
	.section	.AMDGPU.csdata,"",@progbits
; Kernel info:
; codeLenInByte = 816
; TotalNumSgprs: 17
; NumVgprs: 13
; ScratchSize: 0
; MemoryBound: 0
; FloatMode: 240
; IeeeMode: 1
; LDSByteSize: 0 bytes/workgroup (compile time only)
; SGPRBlocks: 2
; VGPRBlocks: 3
; NumSGPRsForWavesPerEU: 17
; NumVGPRsForWavesPerEU: 13
; Occupancy: 10
; WaveLimiterHint : 0
; COMPUTE_PGM_RSRC2:SCRATCH_EN: 0
; COMPUTE_PGM_RSRC2:USER_SGPR: 6
; COMPUTE_PGM_RSRC2:TRAP_HANDLER: 0
; COMPUTE_PGM_RSRC2:TGID_X_EN: 1
; COMPUTE_PGM_RSRC2:TGID_Y_EN: 0
; COMPUTE_PGM_RSRC2:TGID_Z_EN: 0
; COMPUTE_PGM_RSRC2:TIDIG_COMP_CNT: 0
	.section	.text._Z26warp_inclusive_scan_kernelI12hip_bfloat16Lj64ELj16EENSt9enable_ifIXsr10test_utilsE35device_test_enabled_for_warp_size_vIXT1_EEEvE4typeEPT_S5_,"axG",@progbits,_Z26warp_inclusive_scan_kernelI12hip_bfloat16Lj64ELj16EENSt9enable_ifIXsr10test_utilsE35device_test_enabled_for_warp_size_vIXT1_EEEvE4typeEPT_S5_,comdat
	.protected	_Z26warp_inclusive_scan_kernelI12hip_bfloat16Lj64ELj16EENSt9enable_ifIXsr10test_utilsE35device_test_enabled_for_warp_size_vIXT1_EEEvE4typeEPT_S5_ ; -- Begin function _Z26warp_inclusive_scan_kernelI12hip_bfloat16Lj64ELj16EENSt9enable_ifIXsr10test_utilsE35device_test_enabled_for_warp_size_vIXT1_EEEvE4typeEPT_S5_
	.globl	_Z26warp_inclusive_scan_kernelI12hip_bfloat16Lj64ELj16EENSt9enable_ifIXsr10test_utilsE35device_test_enabled_for_warp_size_vIXT1_EEEvE4typeEPT_S5_
	.p2align	8
	.type	_Z26warp_inclusive_scan_kernelI12hip_bfloat16Lj64ELj16EENSt9enable_ifIXsr10test_utilsE35device_test_enabled_for_warp_size_vIXT1_EEEvE4typeEPT_S5_,@function
_Z26warp_inclusive_scan_kernelI12hip_bfloat16Lj64ELj16EENSt9enable_ifIXsr10test_utilsE35device_test_enabled_for_warp_size_vIXT1_EEEvE4typeEPT_S5_: ; @_Z26warp_inclusive_scan_kernelI12hip_bfloat16Lj64ELj16EENSt9enable_ifIXsr10test_utilsE35device_test_enabled_for_warp_size_vIXT1_EEEvE4typeEPT_S5_
; %bb.0:
	s_load_dword s0, s[4:5], 0x1c
	s_load_dwordx4 s[8:11], s[4:5], 0x0
	v_mov_b32_e32 v1, 0
	s_waitcnt lgkmcnt(0)
	s_and_b32 s0, s0, 0xffff
	s_mul_i32 s6, s6, s0
	v_add_u32_e32 v0, s6, v0
	v_lshlrev_b64 v[0:1], 1, v[0:1]
	v_mov_b32_e32 v3, s9
	v_add_co_u32_e32 v2, vcc, s8, v0
	v_addc_co_u32_e32 v3, vcc, v3, v1, vcc
	global_load_ushort v2, v[2:3], off
	s_mov_b32 s0, 0x7f800000
	s_waitcnt vmcnt(0)
	v_lshlrev_b32_e32 v5, 16, v2
	v_mov_b32_dpp v3, v2 row_shr:1 row_mask:0xf bank_mask:0xf
	v_lshlrev_b32_e32 v3, 16, v3
	v_add_f32_e32 v4, v5, v3
	v_and_b32_e32 v3, 0x7f800000, v4
	v_cmp_ne_u32_e32 vcc, s0, v3
                                        ; implicit-def: $vgpr3
	s_and_saveexec_b64 s[0:1], vcc
	s_xor_b64 s[0:1], exec, s[0:1]
; %bb.1:
	v_bfe_u32 v3, v4, 16, 1
	s_movk_i32 s2, 0x7fff
	v_add3_u32 v3, v4, v3, s2
                                        ; implicit-def: $vgpr4
; %bb.2:
	s_andn2_saveexec_b64 s[0:1], s[0:1]
; %bb.3:
	v_mov_b32_e32 v3, 0
	v_or_b32_e32 v6, 0x10000, v4
	v_cmp_eq_u32_sdwa vcc, v4, v3 src0_sel:WORD_0 src1_sel:DWORD
	v_cndmask_b32_e32 v3, v6, v4, vcc
; %bb.4:
	s_or_b64 exec, exec, s[0:1]
	v_mbcnt_lo_u32_b32 v4, -1, 0
	v_mbcnt_hi_u32_b32 v4, -1, v4
	v_and_b32_e32 v4, 15, v4
	v_cmp_eq_u32_e64 s[0:1], 0, v4
	s_mov_b64 vcc, s[0:1]
	v_and_b32_e32 v6, 0xffff0000, v3
	v_cndmask_b32_sdwa v7, v3, v2, vcc dst_sel:DWORD dst_unused:UNUSED_PAD src0_sel:WORD_1 src1_sel:DWORD
	v_cndmask_b32_e64 v6, v6, v5, s[0:1]
	s_mov_b32 s2, 0x7f800000
	v_mov_b32_dpp v5, v7 row_shr:2 row_mask:0xf bank_mask:0xf
	v_lshlrev_b32_e32 v5, 16, v5
	v_add_f32_e32 v8, v6, v5
	v_and_b32_e32 v5, 0x7f800000, v8
	v_cmp_ne_u32_e32 vcc, s2, v5
                                        ; implicit-def: $vgpr5
	s_and_saveexec_b64 s[2:3], vcc
	s_xor_b64 s[2:3], exec, s[2:3]
; %bb.5:
	v_bfe_u32 v5, v8, 16, 1
	s_movk_i32 s4, 0x7fff
	v_add3_u32 v5, v8, v5, s4
                                        ; implicit-def: $vgpr8
; %bb.6:
	s_andn2_saveexec_b64 s[2:3], s[2:3]
; %bb.7:
	v_mov_b32_e32 v5, 0
	v_or_b32_e32 v9, 0x10000, v8
	v_cmp_eq_u32_sdwa vcc, v8, v5 src0_sel:WORD_0 src1_sel:DWORD
	v_cndmask_b32_e32 v5, v9, v8, vcc
; %bb.8:
	s_or_b64 exec, exec, s[2:3]
	v_cmp_lt_u32_e64 s[2:3], 1, v4
	s_mov_b64 vcc, s[2:3]
	v_and_b32_e32 v8, 0xffff0000, v5
	v_cndmask_b32_sdwa v7, v7, v5, vcc dst_sel:DWORD dst_unused:UNUSED_PAD src0_sel:DWORD src1_sel:WORD_1
	v_cndmask_b32_e64 v8, v6, v8, s[2:3]
	s_mov_b32 s4, 0x7f800000
	v_mov_b32_dpp v6, v7 row_shr:4 row_mask:0xf bank_mask:0xf
	v_lshlrev_b32_e32 v6, 16, v6
	v_add_f32_e32 v9, v8, v6
	v_and_b32_e32 v6, 0x7f800000, v9
	v_cmp_ne_u32_e32 vcc, s4, v6
                                        ; implicit-def: $vgpr6
	s_and_saveexec_b64 s[4:5], vcc
	s_xor_b64 s[4:5], exec, s[4:5]
; %bb.9:
	v_bfe_u32 v6, v9, 16, 1
	s_movk_i32 s6, 0x7fff
	v_add3_u32 v6, v9, v6, s6
                                        ; implicit-def: $vgpr9
; %bb.10:
	s_andn2_saveexec_b64 s[4:5], s[4:5]
; %bb.11:
	v_mov_b32_e32 v6, 0
	v_or_b32_e32 v10, 0x10000, v9
	v_cmp_eq_u32_sdwa vcc, v9, v6 src0_sel:WORD_0 src1_sel:DWORD
	v_cndmask_b32_e32 v6, v10, v9, vcc
; %bb.12:
	s_or_b64 exec, exec, s[4:5]
	v_cmp_lt_u32_e64 s[4:5], 3, v4
	s_mov_b64 vcc, s[4:5]
	v_cndmask_b32_sdwa v7, v7, v6, vcc dst_sel:DWORD dst_unused:UNUSED_PAD src0_sel:DWORD src1_sel:WORD_1
	v_and_b32_e32 v9, 0xffff0000, v6
	v_cndmask_b32_e64 v8, v8, v9, s[4:5]
	v_mov_b32_dpp v7, v7 row_shr:8 row_mask:0xf bank_mask:0xf
	v_lshlrev_b32_e32 v7, 16, v7
	v_add_f32_e32 v8, v8, v7
	s_mov_b32 s6, 0x7f800000
	v_and_b32_e32 v7, 0x7f800000, v8
	v_cmp_ne_u32_e32 vcc, s6, v7
                                        ; implicit-def: $vgpr7
	s_and_saveexec_b64 s[6:7], vcc
	s_xor_b64 s[6:7], exec, s[6:7]
; %bb.13:
	v_bfe_u32 v7, v8, 16, 1
	s_movk_i32 s8, 0x7fff
	v_add3_u32 v7, v8, v7, s8
                                        ; implicit-def: $vgpr8
; %bb.14:
	s_andn2_saveexec_b64 s[6:7], s[6:7]
; %bb.15:
	v_mov_b32_e32 v7, 0
	v_or_b32_e32 v9, 0x10000, v8
	v_cmp_eq_u32_sdwa vcc, v8, v7 src0_sel:WORD_0 src1_sel:DWORD
	v_cndmask_b32_e32 v7, v9, v8, vcc
; %bb.16:
	s_or_b64 exec, exec, s[6:7]
	s_mov_b64 vcc, s[0:1]
	v_cndmask_b32_sdwa v2, v3, v2, vcc dst_sel:DWORD dst_unused:UNUSED_PAD src0_sel:WORD_1 src1_sel:DWORD
	s_mov_b64 vcc, s[2:3]
	v_cndmask_b32_sdwa v2, v2, v5, vcc dst_sel:DWORD dst_unused:UNUSED_PAD src0_sel:DWORD src1_sel:WORD_1
	s_mov_b64 vcc, s[4:5]
	v_cndmask_b32_sdwa v2, v2, v6, vcc dst_sel:DWORD dst_unused:UNUSED_PAD src0_sel:DWORD src1_sel:WORD_1
	v_cmp_lt_u32_e32 vcc, 7, v4
	v_cndmask_b32_sdwa v2, v2, v7, vcc dst_sel:DWORD dst_unused:UNUSED_PAD src0_sel:DWORD src1_sel:WORD_1
	v_mov_b32_e32 v3, s11
	v_add_co_u32_e32 v0, vcc, s10, v0
	v_addc_co_u32_e32 v1, vcc, v3, v1, vcc
	global_store_short v[0:1], v2, off
	s_endpgm
	.section	.rodata,"a",@progbits
	.p2align	6, 0x0
	.amdhsa_kernel _Z26warp_inclusive_scan_kernelI12hip_bfloat16Lj64ELj16EENSt9enable_ifIXsr10test_utilsE35device_test_enabled_for_warp_size_vIXT1_EEEvE4typeEPT_S5_
		.amdhsa_group_segment_fixed_size 0
		.amdhsa_private_segment_fixed_size 0
		.amdhsa_kernarg_size 272
		.amdhsa_user_sgpr_count 6
		.amdhsa_user_sgpr_private_segment_buffer 1
		.amdhsa_user_sgpr_dispatch_ptr 0
		.amdhsa_user_sgpr_queue_ptr 0
		.amdhsa_user_sgpr_kernarg_segment_ptr 1
		.amdhsa_user_sgpr_dispatch_id 0
		.amdhsa_user_sgpr_flat_scratch_init 0
		.amdhsa_user_sgpr_private_segment_size 0
		.amdhsa_uses_dynamic_stack 0
		.amdhsa_system_sgpr_private_segment_wavefront_offset 0
		.amdhsa_system_sgpr_workgroup_id_x 1
		.amdhsa_system_sgpr_workgroup_id_y 0
		.amdhsa_system_sgpr_workgroup_id_z 0
		.amdhsa_system_sgpr_workgroup_info 0
		.amdhsa_system_vgpr_workitem_id 0
		.amdhsa_next_free_vgpr 11
		.amdhsa_next_free_sgpr 12
		.amdhsa_reserve_vcc 1
		.amdhsa_reserve_flat_scratch 0
		.amdhsa_float_round_mode_32 0
		.amdhsa_float_round_mode_16_64 0
		.amdhsa_float_denorm_mode_32 3
		.amdhsa_float_denorm_mode_16_64 3
		.amdhsa_dx10_clamp 1
		.amdhsa_ieee_mode 1
		.amdhsa_fp16_overflow 0
		.amdhsa_exception_fp_ieee_invalid_op 0
		.amdhsa_exception_fp_denorm_src 0
		.amdhsa_exception_fp_ieee_div_zero 0
		.amdhsa_exception_fp_ieee_overflow 0
		.amdhsa_exception_fp_ieee_underflow 0
		.amdhsa_exception_fp_ieee_inexact 0
		.amdhsa_exception_int_div_zero 0
	.end_amdhsa_kernel
	.section	.text._Z26warp_inclusive_scan_kernelI12hip_bfloat16Lj64ELj16EENSt9enable_ifIXsr10test_utilsE35device_test_enabled_for_warp_size_vIXT1_EEEvE4typeEPT_S5_,"axG",@progbits,_Z26warp_inclusive_scan_kernelI12hip_bfloat16Lj64ELj16EENSt9enable_ifIXsr10test_utilsE35device_test_enabled_for_warp_size_vIXT1_EEEvE4typeEPT_S5_,comdat
.Lfunc_end22:
	.size	_Z26warp_inclusive_scan_kernelI12hip_bfloat16Lj64ELj16EENSt9enable_ifIXsr10test_utilsE35device_test_enabled_for_warp_size_vIXT1_EEEvE4typeEPT_S5_, .Lfunc_end22-_Z26warp_inclusive_scan_kernelI12hip_bfloat16Lj64ELj16EENSt9enable_ifIXsr10test_utilsE35device_test_enabled_for_warp_size_vIXT1_EEEvE4typeEPT_S5_
                                        ; -- End function
	.set _Z26warp_inclusive_scan_kernelI12hip_bfloat16Lj64ELj16EENSt9enable_ifIXsr10test_utilsE35device_test_enabled_for_warp_size_vIXT1_EEEvE4typeEPT_S5_.num_vgpr, 11
	.set _Z26warp_inclusive_scan_kernelI12hip_bfloat16Lj64ELj16EENSt9enable_ifIXsr10test_utilsE35device_test_enabled_for_warp_size_vIXT1_EEEvE4typeEPT_S5_.num_agpr, 0
	.set _Z26warp_inclusive_scan_kernelI12hip_bfloat16Lj64ELj16EENSt9enable_ifIXsr10test_utilsE35device_test_enabled_for_warp_size_vIXT1_EEEvE4typeEPT_S5_.numbered_sgpr, 12
	.set _Z26warp_inclusive_scan_kernelI12hip_bfloat16Lj64ELj16EENSt9enable_ifIXsr10test_utilsE35device_test_enabled_for_warp_size_vIXT1_EEEvE4typeEPT_S5_.num_named_barrier, 0
	.set _Z26warp_inclusive_scan_kernelI12hip_bfloat16Lj64ELj16EENSt9enable_ifIXsr10test_utilsE35device_test_enabled_for_warp_size_vIXT1_EEEvE4typeEPT_S5_.private_seg_size, 0
	.set _Z26warp_inclusive_scan_kernelI12hip_bfloat16Lj64ELj16EENSt9enable_ifIXsr10test_utilsE35device_test_enabled_for_warp_size_vIXT1_EEEvE4typeEPT_S5_.uses_vcc, 1
	.set _Z26warp_inclusive_scan_kernelI12hip_bfloat16Lj64ELj16EENSt9enable_ifIXsr10test_utilsE35device_test_enabled_for_warp_size_vIXT1_EEEvE4typeEPT_S5_.uses_flat_scratch, 0
	.set _Z26warp_inclusive_scan_kernelI12hip_bfloat16Lj64ELj16EENSt9enable_ifIXsr10test_utilsE35device_test_enabled_for_warp_size_vIXT1_EEEvE4typeEPT_S5_.has_dyn_sized_stack, 0
	.set _Z26warp_inclusive_scan_kernelI12hip_bfloat16Lj64ELj16EENSt9enable_ifIXsr10test_utilsE35device_test_enabled_for_warp_size_vIXT1_EEEvE4typeEPT_S5_.has_recursion, 0
	.set _Z26warp_inclusive_scan_kernelI12hip_bfloat16Lj64ELj16EENSt9enable_ifIXsr10test_utilsE35device_test_enabled_for_warp_size_vIXT1_EEEvE4typeEPT_S5_.has_indirect_call, 0
	.section	.AMDGPU.csdata,"",@progbits
; Kernel info:
; codeLenInByte = 660
; TotalNumSgprs: 16
; NumVgprs: 11
; ScratchSize: 0
; MemoryBound: 0
; FloatMode: 240
; IeeeMode: 1
; LDSByteSize: 0 bytes/workgroup (compile time only)
; SGPRBlocks: 1
; VGPRBlocks: 2
; NumSGPRsForWavesPerEU: 16
; NumVGPRsForWavesPerEU: 11
; Occupancy: 10
; WaveLimiterHint : 0
; COMPUTE_PGM_RSRC2:SCRATCH_EN: 0
; COMPUTE_PGM_RSRC2:USER_SGPR: 6
; COMPUTE_PGM_RSRC2:TRAP_HANDLER: 0
; COMPUTE_PGM_RSRC2:TGID_X_EN: 1
; COMPUTE_PGM_RSRC2:TGID_Y_EN: 0
; COMPUTE_PGM_RSRC2:TGID_Z_EN: 0
; COMPUTE_PGM_RSRC2:TIDIG_COMP_CNT: 0
	.section	.text._Z26warp_inclusive_scan_kernelI12hip_bfloat16Lj32ELj8EENSt9enable_ifIXsr10test_utilsE35device_test_enabled_for_warp_size_vIXT1_EEEvE4typeEPT_S5_,"axG",@progbits,_Z26warp_inclusive_scan_kernelI12hip_bfloat16Lj32ELj8EENSt9enable_ifIXsr10test_utilsE35device_test_enabled_for_warp_size_vIXT1_EEEvE4typeEPT_S5_,comdat
	.protected	_Z26warp_inclusive_scan_kernelI12hip_bfloat16Lj32ELj8EENSt9enable_ifIXsr10test_utilsE35device_test_enabled_for_warp_size_vIXT1_EEEvE4typeEPT_S5_ ; -- Begin function _Z26warp_inclusive_scan_kernelI12hip_bfloat16Lj32ELj8EENSt9enable_ifIXsr10test_utilsE35device_test_enabled_for_warp_size_vIXT1_EEEvE4typeEPT_S5_
	.globl	_Z26warp_inclusive_scan_kernelI12hip_bfloat16Lj32ELj8EENSt9enable_ifIXsr10test_utilsE35device_test_enabled_for_warp_size_vIXT1_EEEvE4typeEPT_S5_
	.p2align	8
	.type	_Z26warp_inclusive_scan_kernelI12hip_bfloat16Lj32ELj8EENSt9enable_ifIXsr10test_utilsE35device_test_enabled_for_warp_size_vIXT1_EEEvE4typeEPT_S5_,@function
_Z26warp_inclusive_scan_kernelI12hip_bfloat16Lj32ELj8EENSt9enable_ifIXsr10test_utilsE35device_test_enabled_for_warp_size_vIXT1_EEEvE4typeEPT_S5_: ; @_Z26warp_inclusive_scan_kernelI12hip_bfloat16Lj32ELj8EENSt9enable_ifIXsr10test_utilsE35device_test_enabled_for_warp_size_vIXT1_EEEvE4typeEPT_S5_
; %bb.0:
	s_load_dword s0, s[4:5], 0x1c
	s_load_dwordx4 s[8:11], s[4:5], 0x0
	v_mov_b32_e32 v1, 0
	s_waitcnt lgkmcnt(0)
	s_and_b32 s0, s0, 0xffff
	s_mul_i32 s6, s6, s0
	v_add_u32_e32 v0, s6, v0
	v_lshlrev_b64 v[0:1], 1, v[0:1]
	v_mov_b32_e32 v3, s9
	v_add_co_u32_e32 v2, vcc, s8, v0
	v_addc_co_u32_e32 v3, vcc, v3, v1, vcc
	global_load_ushort v2, v[2:3], off
	s_mov_b32 s0, 0x7f800000
	s_waitcnt vmcnt(0)
	v_lshlrev_b32_e32 v5, 16, v2
	v_mov_b32_dpp v3, v2 row_shr:1 row_mask:0xf bank_mask:0xf
	v_lshlrev_b32_e32 v3, 16, v3
	v_add_f32_e32 v4, v5, v3
	v_and_b32_e32 v3, 0x7f800000, v4
	v_cmp_ne_u32_e32 vcc, s0, v3
                                        ; implicit-def: $vgpr3
	s_and_saveexec_b64 s[0:1], vcc
	s_xor_b64 s[0:1], exec, s[0:1]
; %bb.1:
	v_bfe_u32 v3, v4, 16, 1
	s_movk_i32 s2, 0x7fff
	v_add3_u32 v3, v4, v3, s2
                                        ; implicit-def: $vgpr4
; %bb.2:
	s_andn2_saveexec_b64 s[0:1], s[0:1]
; %bb.3:
	v_mov_b32_e32 v3, 0
	v_or_b32_e32 v6, 0x10000, v4
	v_cmp_eq_u32_sdwa vcc, v4, v3 src0_sel:WORD_0 src1_sel:DWORD
	v_cndmask_b32_e32 v3, v6, v4, vcc
; %bb.4:
	s_or_b64 exec, exec, s[0:1]
	v_mbcnt_lo_u32_b32 v4, -1, 0
	v_mbcnt_hi_u32_b32 v4, -1, v4
	v_and_b32_e32 v4, 7, v4
	v_cmp_eq_u32_e64 s[0:1], 0, v4
	s_mov_b64 vcc, s[0:1]
	v_and_b32_e32 v6, 0xffff0000, v3
	v_cndmask_b32_sdwa v7, v3, v2, vcc dst_sel:DWORD dst_unused:UNUSED_PAD src0_sel:WORD_1 src1_sel:DWORD
	v_cndmask_b32_e64 v6, v6, v5, s[0:1]
	s_mov_b32 s2, 0x7f800000
	v_mov_b32_dpp v5, v7 row_shr:2 row_mask:0xf bank_mask:0xf
	v_lshlrev_b32_e32 v5, 16, v5
	v_add_f32_e32 v8, v6, v5
	v_and_b32_e32 v5, 0x7f800000, v8
	v_cmp_ne_u32_e32 vcc, s2, v5
                                        ; implicit-def: $vgpr5
	s_and_saveexec_b64 s[2:3], vcc
	s_xor_b64 s[2:3], exec, s[2:3]
; %bb.5:
	v_bfe_u32 v5, v8, 16, 1
	s_movk_i32 s4, 0x7fff
	v_add3_u32 v5, v8, v5, s4
                                        ; implicit-def: $vgpr8
; %bb.6:
	s_andn2_saveexec_b64 s[2:3], s[2:3]
; %bb.7:
	v_mov_b32_e32 v5, 0
	v_or_b32_e32 v9, 0x10000, v8
	v_cmp_eq_u32_sdwa vcc, v8, v5 src0_sel:WORD_0 src1_sel:DWORD
	v_cndmask_b32_e32 v5, v9, v8, vcc
; %bb.8:
	s_or_b64 exec, exec, s[2:3]
	v_cmp_lt_u32_e64 s[2:3], 1, v4
	s_mov_b64 vcc, s[2:3]
	v_cndmask_b32_sdwa v7, v7, v5, vcc dst_sel:DWORD dst_unused:UNUSED_PAD src0_sel:DWORD src1_sel:WORD_1
	v_and_b32_e32 v8, 0xffff0000, v5
	v_cndmask_b32_e64 v6, v6, v8, s[2:3]
	v_mov_b32_dpp v7, v7 row_shr:4 row_mask:0xf bank_mask:0xf
	v_lshlrev_b32_e32 v7, 16, v7
	v_add_f32_e32 v7, v6, v7
	s_mov_b32 s4, 0x7f800000
	v_and_b32_e32 v6, 0x7f800000, v7
	v_cmp_ne_u32_e32 vcc, s4, v6
                                        ; implicit-def: $vgpr6
	s_and_saveexec_b64 s[4:5], vcc
	s_xor_b64 s[4:5], exec, s[4:5]
; %bb.9:
	v_bfe_u32 v6, v7, 16, 1
	s_movk_i32 s6, 0x7fff
	v_add3_u32 v6, v7, v6, s6
                                        ; implicit-def: $vgpr7
; %bb.10:
	s_andn2_saveexec_b64 s[4:5], s[4:5]
; %bb.11:
	v_mov_b32_e32 v6, 0
	v_or_b32_e32 v8, 0x10000, v7
	v_cmp_eq_u32_sdwa vcc, v7, v6 src0_sel:WORD_0 src1_sel:DWORD
	v_cndmask_b32_e32 v6, v8, v7, vcc
; %bb.12:
	s_or_b64 exec, exec, s[4:5]
	s_mov_b64 vcc, s[0:1]
	v_cndmask_b32_sdwa v2, v3, v2, vcc dst_sel:DWORD dst_unused:UNUSED_PAD src0_sel:WORD_1 src1_sel:DWORD
	s_mov_b64 vcc, s[2:3]
	v_cndmask_b32_sdwa v2, v2, v5, vcc dst_sel:DWORD dst_unused:UNUSED_PAD src0_sel:DWORD src1_sel:WORD_1
	v_cmp_lt_u32_e32 vcc, 3, v4
	v_cndmask_b32_sdwa v2, v2, v6, vcc dst_sel:DWORD dst_unused:UNUSED_PAD src0_sel:DWORD src1_sel:WORD_1
	v_mov_b32_e32 v3, s11
	v_add_co_u32_e32 v0, vcc, s10, v0
	v_addc_co_u32_e32 v1, vcc, v3, v1, vcc
	global_store_short v[0:1], v2, off
	s_endpgm
	.section	.rodata,"a",@progbits
	.p2align	6, 0x0
	.amdhsa_kernel _Z26warp_inclusive_scan_kernelI12hip_bfloat16Lj32ELj8EENSt9enable_ifIXsr10test_utilsE35device_test_enabled_for_warp_size_vIXT1_EEEvE4typeEPT_S5_
		.amdhsa_group_segment_fixed_size 0
		.amdhsa_private_segment_fixed_size 0
		.amdhsa_kernarg_size 272
		.amdhsa_user_sgpr_count 6
		.amdhsa_user_sgpr_private_segment_buffer 1
		.amdhsa_user_sgpr_dispatch_ptr 0
		.amdhsa_user_sgpr_queue_ptr 0
		.amdhsa_user_sgpr_kernarg_segment_ptr 1
		.amdhsa_user_sgpr_dispatch_id 0
		.amdhsa_user_sgpr_flat_scratch_init 0
		.amdhsa_user_sgpr_private_segment_size 0
		.amdhsa_uses_dynamic_stack 0
		.amdhsa_system_sgpr_private_segment_wavefront_offset 0
		.amdhsa_system_sgpr_workgroup_id_x 1
		.amdhsa_system_sgpr_workgroup_id_y 0
		.amdhsa_system_sgpr_workgroup_id_z 0
		.amdhsa_system_sgpr_workgroup_info 0
		.amdhsa_system_vgpr_workitem_id 0
		.amdhsa_next_free_vgpr 10
		.amdhsa_next_free_sgpr 12
		.amdhsa_reserve_vcc 1
		.amdhsa_reserve_flat_scratch 0
		.amdhsa_float_round_mode_32 0
		.amdhsa_float_round_mode_16_64 0
		.amdhsa_float_denorm_mode_32 3
		.amdhsa_float_denorm_mode_16_64 3
		.amdhsa_dx10_clamp 1
		.amdhsa_ieee_mode 1
		.amdhsa_fp16_overflow 0
		.amdhsa_exception_fp_ieee_invalid_op 0
		.amdhsa_exception_fp_denorm_src 0
		.amdhsa_exception_fp_ieee_div_zero 0
		.amdhsa_exception_fp_ieee_overflow 0
		.amdhsa_exception_fp_ieee_underflow 0
		.amdhsa_exception_fp_ieee_inexact 0
		.amdhsa_exception_int_div_zero 0
	.end_amdhsa_kernel
	.section	.text._Z26warp_inclusive_scan_kernelI12hip_bfloat16Lj32ELj8EENSt9enable_ifIXsr10test_utilsE35device_test_enabled_for_warp_size_vIXT1_EEEvE4typeEPT_S5_,"axG",@progbits,_Z26warp_inclusive_scan_kernelI12hip_bfloat16Lj32ELj8EENSt9enable_ifIXsr10test_utilsE35device_test_enabled_for_warp_size_vIXT1_EEEvE4typeEPT_S5_,comdat
.Lfunc_end23:
	.size	_Z26warp_inclusive_scan_kernelI12hip_bfloat16Lj32ELj8EENSt9enable_ifIXsr10test_utilsE35device_test_enabled_for_warp_size_vIXT1_EEEvE4typeEPT_S5_, .Lfunc_end23-_Z26warp_inclusive_scan_kernelI12hip_bfloat16Lj32ELj8EENSt9enable_ifIXsr10test_utilsE35device_test_enabled_for_warp_size_vIXT1_EEEvE4typeEPT_S5_
                                        ; -- End function
	.set _Z26warp_inclusive_scan_kernelI12hip_bfloat16Lj32ELj8EENSt9enable_ifIXsr10test_utilsE35device_test_enabled_for_warp_size_vIXT1_EEEvE4typeEPT_S5_.num_vgpr, 10
	.set _Z26warp_inclusive_scan_kernelI12hip_bfloat16Lj32ELj8EENSt9enable_ifIXsr10test_utilsE35device_test_enabled_for_warp_size_vIXT1_EEEvE4typeEPT_S5_.num_agpr, 0
	.set _Z26warp_inclusive_scan_kernelI12hip_bfloat16Lj32ELj8EENSt9enable_ifIXsr10test_utilsE35device_test_enabled_for_warp_size_vIXT1_EEEvE4typeEPT_S5_.numbered_sgpr, 12
	.set _Z26warp_inclusive_scan_kernelI12hip_bfloat16Lj32ELj8EENSt9enable_ifIXsr10test_utilsE35device_test_enabled_for_warp_size_vIXT1_EEEvE4typeEPT_S5_.num_named_barrier, 0
	.set _Z26warp_inclusive_scan_kernelI12hip_bfloat16Lj32ELj8EENSt9enable_ifIXsr10test_utilsE35device_test_enabled_for_warp_size_vIXT1_EEEvE4typeEPT_S5_.private_seg_size, 0
	.set _Z26warp_inclusive_scan_kernelI12hip_bfloat16Lj32ELj8EENSt9enable_ifIXsr10test_utilsE35device_test_enabled_for_warp_size_vIXT1_EEEvE4typeEPT_S5_.uses_vcc, 1
	.set _Z26warp_inclusive_scan_kernelI12hip_bfloat16Lj32ELj8EENSt9enable_ifIXsr10test_utilsE35device_test_enabled_for_warp_size_vIXT1_EEEvE4typeEPT_S5_.uses_flat_scratch, 0
	.set _Z26warp_inclusive_scan_kernelI12hip_bfloat16Lj32ELj8EENSt9enable_ifIXsr10test_utilsE35device_test_enabled_for_warp_size_vIXT1_EEEvE4typeEPT_S5_.has_dyn_sized_stack, 0
	.set _Z26warp_inclusive_scan_kernelI12hip_bfloat16Lj32ELj8EENSt9enable_ifIXsr10test_utilsE35device_test_enabled_for_warp_size_vIXT1_EEEvE4typeEPT_S5_.has_recursion, 0
	.set _Z26warp_inclusive_scan_kernelI12hip_bfloat16Lj32ELj8EENSt9enable_ifIXsr10test_utilsE35device_test_enabled_for_warp_size_vIXT1_EEEvE4typeEPT_S5_.has_indirect_call, 0
	.section	.AMDGPU.csdata,"",@progbits
; Kernel info:
; codeLenInByte = 516
; TotalNumSgprs: 16
; NumVgprs: 10
; ScratchSize: 0
; MemoryBound: 0
; FloatMode: 240
; IeeeMode: 1
; LDSByteSize: 0 bytes/workgroup (compile time only)
; SGPRBlocks: 1
; VGPRBlocks: 2
; NumSGPRsForWavesPerEU: 16
; NumVGPRsForWavesPerEU: 10
; Occupancy: 10
; WaveLimiterHint : 0
; COMPUTE_PGM_RSRC2:SCRATCH_EN: 0
; COMPUTE_PGM_RSRC2:USER_SGPR: 6
; COMPUTE_PGM_RSRC2:TRAP_HANDLER: 0
; COMPUTE_PGM_RSRC2:TGID_X_EN: 1
; COMPUTE_PGM_RSRC2:TGID_Y_EN: 0
; COMPUTE_PGM_RSRC2:TGID_Z_EN: 0
; COMPUTE_PGM_RSRC2:TIDIG_COMP_CNT: 0
	.section	.text._Z26warp_inclusive_scan_kernelI12hip_bfloat16Lj64ELj8EENSt9enable_ifIXsr10test_utilsE35device_test_enabled_for_warp_size_vIXT1_EEEvE4typeEPT_S5_,"axG",@progbits,_Z26warp_inclusive_scan_kernelI12hip_bfloat16Lj64ELj8EENSt9enable_ifIXsr10test_utilsE35device_test_enabled_for_warp_size_vIXT1_EEEvE4typeEPT_S5_,comdat
	.protected	_Z26warp_inclusive_scan_kernelI12hip_bfloat16Lj64ELj8EENSt9enable_ifIXsr10test_utilsE35device_test_enabled_for_warp_size_vIXT1_EEEvE4typeEPT_S5_ ; -- Begin function _Z26warp_inclusive_scan_kernelI12hip_bfloat16Lj64ELj8EENSt9enable_ifIXsr10test_utilsE35device_test_enabled_for_warp_size_vIXT1_EEEvE4typeEPT_S5_
	.globl	_Z26warp_inclusive_scan_kernelI12hip_bfloat16Lj64ELj8EENSt9enable_ifIXsr10test_utilsE35device_test_enabled_for_warp_size_vIXT1_EEEvE4typeEPT_S5_
	.p2align	8
	.type	_Z26warp_inclusive_scan_kernelI12hip_bfloat16Lj64ELj8EENSt9enable_ifIXsr10test_utilsE35device_test_enabled_for_warp_size_vIXT1_EEEvE4typeEPT_S5_,@function
_Z26warp_inclusive_scan_kernelI12hip_bfloat16Lj64ELj8EENSt9enable_ifIXsr10test_utilsE35device_test_enabled_for_warp_size_vIXT1_EEEvE4typeEPT_S5_: ; @_Z26warp_inclusive_scan_kernelI12hip_bfloat16Lj64ELj8EENSt9enable_ifIXsr10test_utilsE35device_test_enabled_for_warp_size_vIXT1_EEEvE4typeEPT_S5_
; %bb.0:
	s_load_dword s0, s[4:5], 0x1c
	s_load_dwordx4 s[8:11], s[4:5], 0x0
	v_mov_b32_e32 v1, 0
	s_waitcnt lgkmcnt(0)
	s_and_b32 s0, s0, 0xffff
	s_mul_i32 s6, s6, s0
	v_add_u32_e32 v0, s6, v0
	v_lshlrev_b64 v[0:1], 1, v[0:1]
	v_mov_b32_e32 v3, s9
	v_add_co_u32_e32 v2, vcc, s8, v0
	v_addc_co_u32_e32 v3, vcc, v3, v1, vcc
	global_load_ushort v2, v[2:3], off
	s_mov_b32 s0, 0x7f800000
	s_waitcnt vmcnt(0)
	v_lshlrev_b32_e32 v5, 16, v2
	v_mov_b32_dpp v3, v2 row_shr:1 row_mask:0xf bank_mask:0xf
	v_lshlrev_b32_e32 v3, 16, v3
	v_add_f32_e32 v4, v5, v3
	v_and_b32_e32 v3, 0x7f800000, v4
	v_cmp_ne_u32_e32 vcc, s0, v3
                                        ; implicit-def: $vgpr3
	s_and_saveexec_b64 s[0:1], vcc
	s_xor_b64 s[0:1], exec, s[0:1]
; %bb.1:
	v_bfe_u32 v3, v4, 16, 1
	s_movk_i32 s2, 0x7fff
	v_add3_u32 v3, v4, v3, s2
                                        ; implicit-def: $vgpr4
; %bb.2:
	s_andn2_saveexec_b64 s[0:1], s[0:1]
; %bb.3:
	v_mov_b32_e32 v3, 0
	v_or_b32_e32 v6, 0x10000, v4
	v_cmp_eq_u32_sdwa vcc, v4, v3 src0_sel:WORD_0 src1_sel:DWORD
	v_cndmask_b32_e32 v3, v6, v4, vcc
; %bb.4:
	s_or_b64 exec, exec, s[0:1]
	v_mbcnt_lo_u32_b32 v4, -1, 0
	v_mbcnt_hi_u32_b32 v4, -1, v4
	v_and_b32_e32 v4, 7, v4
	v_cmp_eq_u32_e64 s[0:1], 0, v4
	s_mov_b64 vcc, s[0:1]
	v_and_b32_e32 v6, 0xffff0000, v3
	v_cndmask_b32_sdwa v7, v3, v2, vcc dst_sel:DWORD dst_unused:UNUSED_PAD src0_sel:WORD_1 src1_sel:DWORD
	v_cndmask_b32_e64 v6, v6, v5, s[0:1]
	s_mov_b32 s2, 0x7f800000
	v_mov_b32_dpp v5, v7 row_shr:2 row_mask:0xf bank_mask:0xf
	v_lshlrev_b32_e32 v5, 16, v5
	v_add_f32_e32 v8, v6, v5
	v_and_b32_e32 v5, 0x7f800000, v8
	v_cmp_ne_u32_e32 vcc, s2, v5
                                        ; implicit-def: $vgpr5
	s_and_saveexec_b64 s[2:3], vcc
	s_xor_b64 s[2:3], exec, s[2:3]
; %bb.5:
	v_bfe_u32 v5, v8, 16, 1
	s_movk_i32 s4, 0x7fff
	v_add3_u32 v5, v8, v5, s4
                                        ; implicit-def: $vgpr8
; %bb.6:
	s_andn2_saveexec_b64 s[2:3], s[2:3]
; %bb.7:
	v_mov_b32_e32 v5, 0
	v_or_b32_e32 v9, 0x10000, v8
	v_cmp_eq_u32_sdwa vcc, v8, v5 src0_sel:WORD_0 src1_sel:DWORD
	v_cndmask_b32_e32 v5, v9, v8, vcc
; %bb.8:
	s_or_b64 exec, exec, s[2:3]
	v_cmp_lt_u32_e64 s[2:3], 1, v4
	s_mov_b64 vcc, s[2:3]
	v_cndmask_b32_sdwa v7, v7, v5, vcc dst_sel:DWORD dst_unused:UNUSED_PAD src0_sel:DWORD src1_sel:WORD_1
	v_and_b32_e32 v8, 0xffff0000, v5
	v_cndmask_b32_e64 v6, v6, v8, s[2:3]
	v_mov_b32_dpp v7, v7 row_shr:4 row_mask:0xf bank_mask:0xf
	v_lshlrev_b32_e32 v7, 16, v7
	v_add_f32_e32 v7, v6, v7
	s_mov_b32 s4, 0x7f800000
	v_and_b32_e32 v6, 0x7f800000, v7
	v_cmp_ne_u32_e32 vcc, s4, v6
                                        ; implicit-def: $vgpr6
	s_and_saveexec_b64 s[4:5], vcc
	s_xor_b64 s[4:5], exec, s[4:5]
; %bb.9:
	v_bfe_u32 v6, v7, 16, 1
	s_movk_i32 s6, 0x7fff
	v_add3_u32 v6, v7, v6, s6
                                        ; implicit-def: $vgpr7
; %bb.10:
	s_andn2_saveexec_b64 s[4:5], s[4:5]
; %bb.11:
	v_mov_b32_e32 v6, 0
	v_or_b32_e32 v8, 0x10000, v7
	v_cmp_eq_u32_sdwa vcc, v7, v6 src0_sel:WORD_0 src1_sel:DWORD
	v_cndmask_b32_e32 v6, v8, v7, vcc
; %bb.12:
	s_or_b64 exec, exec, s[4:5]
	s_mov_b64 vcc, s[0:1]
	v_cndmask_b32_sdwa v2, v3, v2, vcc dst_sel:DWORD dst_unused:UNUSED_PAD src0_sel:WORD_1 src1_sel:DWORD
	s_mov_b64 vcc, s[2:3]
	v_cndmask_b32_sdwa v2, v2, v5, vcc dst_sel:DWORD dst_unused:UNUSED_PAD src0_sel:DWORD src1_sel:WORD_1
	v_cmp_lt_u32_e32 vcc, 3, v4
	v_cndmask_b32_sdwa v2, v2, v6, vcc dst_sel:DWORD dst_unused:UNUSED_PAD src0_sel:DWORD src1_sel:WORD_1
	v_mov_b32_e32 v3, s11
	v_add_co_u32_e32 v0, vcc, s10, v0
	v_addc_co_u32_e32 v1, vcc, v3, v1, vcc
	global_store_short v[0:1], v2, off
	s_endpgm
	.section	.rodata,"a",@progbits
	.p2align	6, 0x0
	.amdhsa_kernel _Z26warp_inclusive_scan_kernelI12hip_bfloat16Lj64ELj8EENSt9enable_ifIXsr10test_utilsE35device_test_enabled_for_warp_size_vIXT1_EEEvE4typeEPT_S5_
		.amdhsa_group_segment_fixed_size 0
		.amdhsa_private_segment_fixed_size 0
		.amdhsa_kernarg_size 272
		.amdhsa_user_sgpr_count 6
		.amdhsa_user_sgpr_private_segment_buffer 1
		.amdhsa_user_sgpr_dispatch_ptr 0
		.amdhsa_user_sgpr_queue_ptr 0
		.amdhsa_user_sgpr_kernarg_segment_ptr 1
		.amdhsa_user_sgpr_dispatch_id 0
		.amdhsa_user_sgpr_flat_scratch_init 0
		.amdhsa_user_sgpr_private_segment_size 0
		.amdhsa_uses_dynamic_stack 0
		.amdhsa_system_sgpr_private_segment_wavefront_offset 0
		.amdhsa_system_sgpr_workgroup_id_x 1
		.amdhsa_system_sgpr_workgroup_id_y 0
		.amdhsa_system_sgpr_workgroup_id_z 0
		.amdhsa_system_sgpr_workgroup_info 0
		.amdhsa_system_vgpr_workitem_id 0
		.amdhsa_next_free_vgpr 10
		.amdhsa_next_free_sgpr 12
		.amdhsa_reserve_vcc 1
		.amdhsa_reserve_flat_scratch 0
		.amdhsa_float_round_mode_32 0
		.amdhsa_float_round_mode_16_64 0
		.amdhsa_float_denorm_mode_32 3
		.amdhsa_float_denorm_mode_16_64 3
		.amdhsa_dx10_clamp 1
		.amdhsa_ieee_mode 1
		.amdhsa_fp16_overflow 0
		.amdhsa_exception_fp_ieee_invalid_op 0
		.amdhsa_exception_fp_denorm_src 0
		.amdhsa_exception_fp_ieee_div_zero 0
		.amdhsa_exception_fp_ieee_overflow 0
		.amdhsa_exception_fp_ieee_underflow 0
		.amdhsa_exception_fp_ieee_inexact 0
		.amdhsa_exception_int_div_zero 0
	.end_amdhsa_kernel
	.section	.text._Z26warp_inclusive_scan_kernelI12hip_bfloat16Lj64ELj8EENSt9enable_ifIXsr10test_utilsE35device_test_enabled_for_warp_size_vIXT1_EEEvE4typeEPT_S5_,"axG",@progbits,_Z26warp_inclusive_scan_kernelI12hip_bfloat16Lj64ELj8EENSt9enable_ifIXsr10test_utilsE35device_test_enabled_for_warp_size_vIXT1_EEEvE4typeEPT_S5_,comdat
.Lfunc_end24:
	.size	_Z26warp_inclusive_scan_kernelI12hip_bfloat16Lj64ELj8EENSt9enable_ifIXsr10test_utilsE35device_test_enabled_for_warp_size_vIXT1_EEEvE4typeEPT_S5_, .Lfunc_end24-_Z26warp_inclusive_scan_kernelI12hip_bfloat16Lj64ELj8EENSt9enable_ifIXsr10test_utilsE35device_test_enabled_for_warp_size_vIXT1_EEEvE4typeEPT_S5_
                                        ; -- End function
	.set _Z26warp_inclusive_scan_kernelI12hip_bfloat16Lj64ELj8EENSt9enable_ifIXsr10test_utilsE35device_test_enabled_for_warp_size_vIXT1_EEEvE4typeEPT_S5_.num_vgpr, 10
	.set _Z26warp_inclusive_scan_kernelI12hip_bfloat16Lj64ELj8EENSt9enable_ifIXsr10test_utilsE35device_test_enabled_for_warp_size_vIXT1_EEEvE4typeEPT_S5_.num_agpr, 0
	.set _Z26warp_inclusive_scan_kernelI12hip_bfloat16Lj64ELj8EENSt9enable_ifIXsr10test_utilsE35device_test_enabled_for_warp_size_vIXT1_EEEvE4typeEPT_S5_.numbered_sgpr, 12
	.set _Z26warp_inclusive_scan_kernelI12hip_bfloat16Lj64ELj8EENSt9enable_ifIXsr10test_utilsE35device_test_enabled_for_warp_size_vIXT1_EEEvE4typeEPT_S5_.num_named_barrier, 0
	.set _Z26warp_inclusive_scan_kernelI12hip_bfloat16Lj64ELj8EENSt9enable_ifIXsr10test_utilsE35device_test_enabled_for_warp_size_vIXT1_EEEvE4typeEPT_S5_.private_seg_size, 0
	.set _Z26warp_inclusive_scan_kernelI12hip_bfloat16Lj64ELj8EENSt9enable_ifIXsr10test_utilsE35device_test_enabled_for_warp_size_vIXT1_EEEvE4typeEPT_S5_.uses_vcc, 1
	.set _Z26warp_inclusive_scan_kernelI12hip_bfloat16Lj64ELj8EENSt9enable_ifIXsr10test_utilsE35device_test_enabled_for_warp_size_vIXT1_EEEvE4typeEPT_S5_.uses_flat_scratch, 0
	.set _Z26warp_inclusive_scan_kernelI12hip_bfloat16Lj64ELj8EENSt9enable_ifIXsr10test_utilsE35device_test_enabled_for_warp_size_vIXT1_EEEvE4typeEPT_S5_.has_dyn_sized_stack, 0
	.set _Z26warp_inclusive_scan_kernelI12hip_bfloat16Lj64ELj8EENSt9enable_ifIXsr10test_utilsE35device_test_enabled_for_warp_size_vIXT1_EEEvE4typeEPT_S5_.has_recursion, 0
	.set _Z26warp_inclusive_scan_kernelI12hip_bfloat16Lj64ELj8EENSt9enable_ifIXsr10test_utilsE35device_test_enabled_for_warp_size_vIXT1_EEEvE4typeEPT_S5_.has_indirect_call, 0
	.section	.AMDGPU.csdata,"",@progbits
; Kernel info:
; codeLenInByte = 516
; TotalNumSgprs: 16
; NumVgprs: 10
; ScratchSize: 0
; MemoryBound: 0
; FloatMode: 240
; IeeeMode: 1
; LDSByteSize: 0 bytes/workgroup (compile time only)
; SGPRBlocks: 1
; VGPRBlocks: 2
; NumSGPRsForWavesPerEU: 16
; NumVGPRsForWavesPerEU: 10
; Occupancy: 10
; WaveLimiterHint : 0
; COMPUTE_PGM_RSRC2:SCRATCH_EN: 0
; COMPUTE_PGM_RSRC2:USER_SGPR: 6
; COMPUTE_PGM_RSRC2:TRAP_HANDLER: 0
; COMPUTE_PGM_RSRC2:TGID_X_EN: 1
; COMPUTE_PGM_RSRC2:TGID_Y_EN: 0
; COMPUTE_PGM_RSRC2:TGID_Z_EN: 0
; COMPUTE_PGM_RSRC2:TIDIG_COMP_CNT: 0
	.section	.text._Z26warp_inclusive_scan_kernelI12hip_bfloat16Lj32ELj4EENSt9enable_ifIXsr10test_utilsE35device_test_enabled_for_warp_size_vIXT1_EEEvE4typeEPT_S5_,"axG",@progbits,_Z26warp_inclusive_scan_kernelI12hip_bfloat16Lj32ELj4EENSt9enable_ifIXsr10test_utilsE35device_test_enabled_for_warp_size_vIXT1_EEEvE4typeEPT_S5_,comdat
	.protected	_Z26warp_inclusive_scan_kernelI12hip_bfloat16Lj32ELj4EENSt9enable_ifIXsr10test_utilsE35device_test_enabled_for_warp_size_vIXT1_EEEvE4typeEPT_S5_ ; -- Begin function _Z26warp_inclusive_scan_kernelI12hip_bfloat16Lj32ELj4EENSt9enable_ifIXsr10test_utilsE35device_test_enabled_for_warp_size_vIXT1_EEEvE4typeEPT_S5_
	.globl	_Z26warp_inclusive_scan_kernelI12hip_bfloat16Lj32ELj4EENSt9enable_ifIXsr10test_utilsE35device_test_enabled_for_warp_size_vIXT1_EEEvE4typeEPT_S5_
	.p2align	8
	.type	_Z26warp_inclusive_scan_kernelI12hip_bfloat16Lj32ELj4EENSt9enable_ifIXsr10test_utilsE35device_test_enabled_for_warp_size_vIXT1_EEEvE4typeEPT_S5_,@function
_Z26warp_inclusive_scan_kernelI12hip_bfloat16Lj32ELj4EENSt9enable_ifIXsr10test_utilsE35device_test_enabled_for_warp_size_vIXT1_EEEvE4typeEPT_S5_: ; @_Z26warp_inclusive_scan_kernelI12hip_bfloat16Lj32ELj4EENSt9enable_ifIXsr10test_utilsE35device_test_enabled_for_warp_size_vIXT1_EEEvE4typeEPT_S5_
; %bb.0:
	s_load_dword s7, s[4:5], 0x1c
	s_load_dwordx4 s[0:3], s[4:5], 0x0
	v_mov_b32_e32 v1, 0
	s_waitcnt lgkmcnt(0)
	s_and_b32 s4, s7, 0xffff
	s_mul_i32 s6, s6, s4
	v_add_u32_e32 v0, s6, v0
	v_lshlrev_b64 v[0:1], 1, v[0:1]
	v_mov_b32_e32 v3, s1
	v_add_co_u32_e32 v2, vcc, s0, v0
	v_addc_co_u32_e32 v3, vcc, v3, v1, vcc
	global_load_ushort v2, v[2:3], off
	s_mov_b32 s0, 0x7f800000
	s_waitcnt vmcnt(0)
	v_lshlrev_b32_e32 v5, 16, v2
	v_mov_b32_dpp v3, v2 row_shr:1 row_mask:0xf bank_mask:0xf
	v_lshlrev_b32_e32 v3, 16, v3
	v_add_f32_e32 v4, v5, v3
	v_and_b32_e32 v3, 0x7f800000, v4
	v_cmp_ne_u32_e32 vcc, s0, v3
                                        ; implicit-def: $vgpr3
	s_and_saveexec_b64 s[0:1], vcc
	s_xor_b64 s[0:1], exec, s[0:1]
; %bb.1:
	v_bfe_u32 v3, v4, 16, 1
	s_movk_i32 s4, 0x7fff
	v_add3_u32 v3, v4, v3, s4
                                        ; implicit-def: $vgpr4
; %bb.2:
	s_andn2_saveexec_b64 s[0:1], s[0:1]
; %bb.3:
	v_mov_b32_e32 v3, 0
	v_or_b32_e32 v6, 0x10000, v4
	v_cmp_eq_u32_sdwa vcc, v4, v3 src0_sel:WORD_0 src1_sel:DWORD
	v_cndmask_b32_e32 v3, v6, v4, vcc
; %bb.4:
	s_or_b64 exec, exec, s[0:1]
	v_mbcnt_lo_u32_b32 v4, -1, 0
	v_mbcnt_hi_u32_b32 v4, -1, v4
	v_and_b32_e32 v4, 3, v4
	v_and_b32_e32 v6, 0xffff0000, v3
	v_cmp_eq_u32_e32 vcc, 0, v4
	v_cndmask_b32_e32 v5, v6, v5, vcc
	v_cndmask_b32_sdwa v6, v3, v2, vcc dst_sel:DWORD dst_unused:UNUSED_PAD src0_sel:WORD_1 src1_sel:DWORD
	s_mov_b32 s0, 0x7f800000
	s_nop 0
	v_mov_b32_dpp v6, v6 row_shr:2 row_mask:0xf bank_mask:0xf
	v_lshlrev_b32_e32 v6, 16, v6
	v_add_f32_e32 v5, v5, v6
	v_and_b32_e32 v6, 0x7f800000, v5
	v_cmp_ne_u32_e64 s[0:1], s0, v6
                                        ; implicit-def: $vgpr6
	s_and_saveexec_b64 s[4:5], s[0:1]
	s_xor_b64 s[0:1], exec, s[4:5]
; %bb.5:
	v_bfe_u32 v6, v5, 16, 1
	s_movk_i32 s4, 0x7fff
	v_add3_u32 v6, v5, v6, s4
                                        ; implicit-def: $vgpr5
; %bb.6:
	s_andn2_saveexec_b64 s[4:5], s[0:1]
; %bb.7:
	v_mov_b32_e32 v6, 0
	v_or_b32_e32 v7, 0x10000, v5
	v_cmp_eq_u32_sdwa s[0:1], v5, v6 src0_sel:WORD_0 src1_sel:DWORD
	v_cndmask_b32_e64 v6, v7, v5, s[0:1]
; %bb.8:
	s_or_b64 exec, exec, s[4:5]
	v_cndmask_b32_sdwa v2, v3, v2, vcc dst_sel:DWORD dst_unused:UNUSED_PAD src0_sel:WORD_1 src1_sel:DWORD
	v_cmp_lt_u32_e32 vcc, 1, v4
	v_cndmask_b32_sdwa v2, v2, v6, vcc dst_sel:DWORD dst_unused:UNUSED_PAD src0_sel:DWORD src1_sel:WORD_1
	v_mov_b32_e32 v3, s3
	v_add_co_u32_e32 v0, vcc, s2, v0
	v_addc_co_u32_e32 v1, vcc, v3, v1, vcc
	global_store_short v[0:1], v2, off
	s_endpgm
	.section	.rodata,"a",@progbits
	.p2align	6, 0x0
	.amdhsa_kernel _Z26warp_inclusive_scan_kernelI12hip_bfloat16Lj32ELj4EENSt9enable_ifIXsr10test_utilsE35device_test_enabled_for_warp_size_vIXT1_EEEvE4typeEPT_S5_
		.amdhsa_group_segment_fixed_size 0
		.amdhsa_private_segment_fixed_size 0
		.amdhsa_kernarg_size 272
		.amdhsa_user_sgpr_count 6
		.amdhsa_user_sgpr_private_segment_buffer 1
		.amdhsa_user_sgpr_dispatch_ptr 0
		.amdhsa_user_sgpr_queue_ptr 0
		.amdhsa_user_sgpr_kernarg_segment_ptr 1
		.amdhsa_user_sgpr_dispatch_id 0
		.amdhsa_user_sgpr_flat_scratch_init 0
		.amdhsa_user_sgpr_private_segment_size 0
		.amdhsa_uses_dynamic_stack 0
		.amdhsa_system_sgpr_private_segment_wavefront_offset 0
		.amdhsa_system_sgpr_workgroup_id_x 1
		.amdhsa_system_sgpr_workgroup_id_y 0
		.amdhsa_system_sgpr_workgroup_id_z 0
		.amdhsa_system_sgpr_workgroup_info 0
		.amdhsa_system_vgpr_workitem_id 0
		.amdhsa_next_free_vgpr 8
		.amdhsa_next_free_sgpr 8
		.amdhsa_reserve_vcc 1
		.amdhsa_reserve_flat_scratch 0
		.amdhsa_float_round_mode_32 0
		.amdhsa_float_round_mode_16_64 0
		.amdhsa_float_denorm_mode_32 3
		.amdhsa_float_denorm_mode_16_64 3
		.amdhsa_dx10_clamp 1
		.amdhsa_ieee_mode 1
		.amdhsa_fp16_overflow 0
		.amdhsa_exception_fp_ieee_invalid_op 0
		.amdhsa_exception_fp_denorm_src 0
		.amdhsa_exception_fp_ieee_div_zero 0
		.amdhsa_exception_fp_ieee_overflow 0
		.amdhsa_exception_fp_ieee_underflow 0
		.amdhsa_exception_fp_ieee_inexact 0
		.amdhsa_exception_int_div_zero 0
	.end_amdhsa_kernel
	.section	.text._Z26warp_inclusive_scan_kernelI12hip_bfloat16Lj32ELj4EENSt9enable_ifIXsr10test_utilsE35device_test_enabled_for_warp_size_vIXT1_EEEvE4typeEPT_S5_,"axG",@progbits,_Z26warp_inclusive_scan_kernelI12hip_bfloat16Lj32ELj4EENSt9enable_ifIXsr10test_utilsE35device_test_enabled_for_warp_size_vIXT1_EEEvE4typeEPT_S5_,comdat
.Lfunc_end25:
	.size	_Z26warp_inclusive_scan_kernelI12hip_bfloat16Lj32ELj4EENSt9enable_ifIXsr10test_utilsE35device_test_enabled_for_warp_size_vIXT1_EEEvE4typeEPT_S5_, .Lfunc_end25-_Z26warp_inclusive_scan_kernelI12hip_bfloat16Lj32ELj4EENSt9enable_ifIXsr10test_utilsE35device_test_enabled_for_warp_size_vIXT1_EEEvE4typeEPT_S5_
                                        ; -- End function
	.set _Z26warp_inclusive_scan_kernelI12hip_bfloat16Lj32ELj4EENSt9enable_ifIXsr10test_utilsE35device_test_enabled_for_warp_size_vIXT1_EEEvE4typeEPT_S5_.num_vgpr, 8
	.set _Z26warp_inclusive_scan_kernelI12hip_bfloat16Lj32ELj4EENSt9enable_ifIXsr10test_utilsE35device_test_enabled_for_warp_size_vIXT1_EEEvE4typeEPT_S5_.num_agpr, 0
	.set _Z26warp_inclusive_scan_kernelI12hip_bfloat16Lj32ELj4EENSt9enable_ifIXsr10test_utilsE35device_test_enabled_for_warp_size_vIXT1_EEEvE4typeEPT_S5_.numbered_sgpr, 8
	.set _Z26warp_inclusive_scan_kernelI12hip_bfloat16Lj32ELj4EENSt9enable_ifIXsr10test_utilsE35device_test_enabled_for_warp_size_vIXT1_EEEvE4typeEPT_S5_.num_named_barrier, 0
	.set _Z26warp_inclusive_scan_kernelI12hip_bfloat16Lj32ELj4EENSt9enable_ifIXsr10test_utilsE35device_test_enabled_for_warp_size_vIXT1_EEEvE4typeEPT_S5_.private_seg_size, 0
	.set _Z26warp_inclusive_scan_kernelI12hip_bfloat16Lj32ELj4EENSt9enable_ifIXsr10test_utilsE35device_test_enabled_for_warp_size_vIXT1_EEEvE4typeEPT_S5_.uses_vcc, 1
	.set _Z26warp_inclusive_scan_kernelI12hip_bfloat16Lj32ELj4EENSt9enable_ifIXsr10test_utilsE35device_test_enabled_for_warp_size_vIXT1_EEEvE4typeEPT_S5_.uses_flat_scratch, 0
	.set _Z26warp_inclusive_scan_kernelI12hip_bfloat16Lj32ELj4EENSt9enable_ifIXsr10test_utilsE35device_test_enabled_for_warp_size_vIXT1_EEEvE4typeEPT_S5_.has_dyn_sized_stack, 0
	.set _Z26warp_inclusive_scan_kernelI12hip_bfloat16Lj32ELj4EENSt9enable_ifIXsr10test_utilsE35device_test_enabled_for_warp_size_vIXT1_EEEvE4typeEPT_S5_.has_recursion, 0
	.set _Z26warp_inclusive_scan_kernelI12hip_bfloat16Lj32ELj4EENSt9enable_ifIXsr10test_utilsE35device_test_enabled_for_warp_size_vIXT1_EEEvE4typeEPT_S5_.has_indirect_call, 0
	.section	.AMDGPU.csdata,"",@progbits
; Kernel info:
; codeLenInByte = 368
; TotalNumSgprs: 12
; NumVgprs: 8
; ScratchSize: 0
; MemoryBound: 0
; FloatMode: 240
; IeeeMode: 1
; LDSByteSize: 0 bytes/workgroup (compile time only)
; SGPRBlocks: 1
; VGPRBlocks: 1
; NumSGPRsForWavesPerEU: 12
; NumVGPRsForWavesPerEU: 8
; Occupancy: 10
; WaveLimiterHint : 0
; COMPUTE_PGM_RSRC2:SCRATCH_EN: 0
; COMPUTE_PGM_RSRC2:USER_SGPR: 6
; COMPUTE_PGM_RSRC2:TRAP_HANDLER: 0
; COMPUTE_PGM_RSRC2:TGID_X_EN: 1
; COMPUTE_PGM_RSRC2:TGID_Y_EN: 0
; COMPUTE_PGM_RSRC2:TGID_Z_EN: 0
; COMPUTE_PGM_RSRC2:TIDIG_COMP_CNT: 0
	.section	.text._Z26warp_inclusive_scan_kernelI12hip_bfloat16Lj64ELj4EENSt9enable_ifIXsr10test_utilsE35device_test_enabled_for_warp_size_vIXT1_EEEvE4typeEPT_S5_,"axG",@progbits,_Z26warp_inclusive_scan_kernelI12hip_bfloat16Lj64ELj4EENSt9enable_ifIXsr10test_utilsE35device_test_enabled_for_warp_size_vIXT1_EEEvE4typeEPT_S5_,comdat
	.protected	_Z26warp_inclusive_scan_kernelI12hip_bfloat16Lj64ELj4EENSt9enable_ifIXsr10test_utilsE35device_test_enabled_for_warp_size_vIXT1_EEEvE4typeEPT_S5_ ; -- Begin function _Z26warp_inclusive_scan_kernelI12hip_bfloat16Lj64ELj4EENSt9enable_ifIXsr10test_utilsE35device_test_enabled_for_warp_size_vIXT1_EEEvE4typeEPT_S5_
	.globl	_Z26warp_inclusive_scan_kernelI12hip_bfloat16Lj64ELj4EENSt9enable_ifIXsr10test_utilsE35device_test_enabled_for_warp_size_vIXT1_EEEvE4typeEPT_S5_
	.p2align	8
	.type	_Z26warp_inclusive_scan_kernelI12hip_bfloat16Lj64ELj4EENSt9enable_ifIXsr10test_utilsE35device_test_enabled_for_warp_size_vIXT1_EEEvE4typeEPT_S5_,@function
_Z26warp_inclusive_scan_kernelI12hip_bfloat16Lj64ELj4EENSt9enable_ifIXsr10test_utilsE35device_test_enabled_for_warp_size_vIXT1_EEEvE4typeEPT_S5_: ; @_Z26warp_inclusive_scan_kernelI12hip_bfloat16Lj64ELj4EENSt9enable_ifIXsr10test_utilsE35device_test_enabled_for_warp_size_vIXT1_EEEvE4typeEPT_S5_
; %bb.0:
	s_load_dword s7, s[4:5], 0x1c
	s_load_dwordx4 s[0:3], s[4:5], 0x0
	v_mov_b32_e32 v1, 0
	s_waitcnt lgkmcnt(0)
	s_and_b32 s4, s7, 0xffff
	s_mul_i32 s6, s6, s4
	v_add_u32_e32 v0, s6, v0
	v_lshlrev_b64 v[0:1], 1, v[0:1]
	v_mov_b32_e32 v3, s1
	v_add_co_u32_e32 v2, vcc, s0, v0
	v_addc_co_u32_e32 v3, vcc, v3, v1, vcc
	global_load_ushort v2, v[2:3], off
	s_mov_b32 s0, 0x7f800000
	s_waitcnt vmcnt(0)
	v_lshlrev_b32_e32 v5, 16, v2
	v_mov_b32_dpp v3, v2 row_shr:1 row_mask:0xf bank_mask:0xf
	v_lshlrev_b32_e32 v3, 16, v3
	v_add_f32_e32 v4, v5, v3
	v_and_b32_e32 v3, 0x7f800000, v4
	v_cmp_ne_u32_e32 vcc, s0, v3
                                        ; implicit-def: $vgpr3
	s_and_saveexec_b64 s[0:1], vcc
	s_xor_b64 s[0:1], exec, s[0:1]
; %bb.1:
	v_bfe_u32 v3, v4, 16, 1
	s_movk_i32 s4, 0x7fff
	v_add3_u32 v3, v4, v3, s4
                                        ; implicit-def: $vgpr4
; %bb.2:
	s_andn2_saveexec_b64 s[0:1], s[0:1]
; %bb.3:
	v_mov_b32_e32 v3, 0
	v_or_b32_e32 v6, 0x10000, v4
	v_cmp_eq_u32_sdwa vcc, v4, v3 src0_sel:WORD_0 src1_sel:DWORD
	v_cndmask_b32_e32 v3, v6, v4, vcc
; %bb.4:
	s_or_b64 exec, exec, s[0:1]
	v_mbcnt_lo_u32_b32 v4, -1, 0
	v_mbcnt_hi_u32_b32 v4, -1, v4
	v_and_b32_e32 v4, 3, v4
	v_and_b32_e32 v6, 0xffff0000, v3
	v_cmp_eq_u32_e32 vcc, 0, v4
	v_cndmask_b32_e32 v5, v6, v5, vcc
	v_cndmask_b32_sdwa v6, v3, v2, vcc dst_sel:DWORD dst_unused:UNUSED_PAD src0_sel:WORD_1 src1_sel:DWORD
	s_mov_b32 s0, 0x7f800000
	s_nop 0
	v_mov_b32_dpp v6, v6 row_shr:2 row_mask:0xf bank_mask:0xf
	v_lshlrev_b32_e32 v6, 16, v6
	v_add_f32_e32 v5, v5, v6
	v_and_b32_e32 v6, 0x7f800000, v5
	v_cmp_ne_u32_e64 s[0:1], s0, v6
                                        ; implicit-def: $vgpr6
	s_and_saveexec_b64 s[4:5], s[0:1]
	s_xor_b64 s[0:1], exec, s[4:5]
; %bb.5:
	v_bfe_u32 v6, v5, 16, 1
	s_movk_i32 s4, 0x7fff
	v_add3_u32 v6, v5, v6, s4
                                        ; implicit-def: $vgpr5
; %bb.6:
	s_andn2_saveexec_b64 s[4:5], s[0:1]
; %bb.7:
	v_mov_b32_e32 v6, 0
	v_or_b32_e32 v7, 0x10000, v5
	v_cmp_eq_u32_sdwa s[0:1], v5, v6 src0_sel:WORD_0 src1_sel:DWORD
	v_cndmask_b32_e64 v6, v7, v5, s[0:1]
; %bb.8:
	s_or_b64 exec, exec, s[4:5]
	v_cndmask_b32_sdwa v2, v3, v2, vcc dst_sel:DWORD dst_unused:UNUSED_PAD src0_sel:WORD_1 src1_sel:DWORD
	v_cmp_lt_u32_e32 vcc, 1, v4
	v_cndmask_b32_sdwa v2, v2, v6, vcc dst_sel:DWORD dst_unused:UNUSED_PAD src0_sel:DWORD src1_sel:WORD_1
	v_mov_b32_e32 v3, s3
	v_add_co_u32_e32 v0, vcc, s2, v0
	v_addc_co_u32_e32 v1, vcc, v3, v1, vcc
	global_store_short v[0:1], v2, off
	s_endpgm
	.section	.rodata,"a",@progbits
	.p2align	6, 0x0
	.amdhsa_kernel _Z26warp_inclusive_scan_kernelI12hip_bfloat16Lj64ELj4EENSt9enable_ifIXsr10test_utilsE35device_test_enabled_for_warp_size_vIXT1_EEEvE4typeEPT_S5_
		.amdhsa_group_segment_fixed_size 0
		.amdhsa_private_segment_fixed_size 0
		.amdhsa_kernarg_size 272
		.amdhsa_user_sgpr_count 6
		.amdhsa_user_sgpr_private_segment_buffer 1
		.amdhsa_user_sgpr_dispatch_ptr 0
		.amdhsa_user_sgpr_queue_ptr 0
		.amdhsa_user_sgpr_kernarg_segment_ptr 1
		.amdhsa_user_sgpr_dispatch_id 0
		.amdhsa_user_sgpr_flat_scratch_init 0
		.amdhsa_user_sgpr_private_segment_size 0
		.amdhsa_uses_dynamic_stack 0
		.amdhsa_system_sgpr_private_segment_wavefront_offset 0
		.amdhsa_system_sgpr_workgroup_id_x 1
		.amdhsa_system_sgpr_workgroup_id_y 0
		.amdhsa_system_sgpr_workgroup_id_z 0
		.amdhsa_system_sgpr_workgroup_info 0
		.amdhsa_system_vgpr_workitem_id 0
		.amdhsa_next_free_vgpr 8
		.amdhsa_next_free_sgpr 8
		.amdhsa_reserve_vcc 1
		.amdhsa_reserve_flat_scratch 0
		.amdhsa_float_round_mode_32 0
		.amdhsa_float_round_mode_16_64 0
		.amdhsa_float_denorm_mode_32 3
		.amdhsa_float_denorm_mode_16_64 3
		.amdhsa_dx10_clamp 1
		.amdhsa_ieee_mode 1
		.amdhsa_fp16_overflow 0
		.amdhsa_exception_fp_ieee_invalid_op 0
		.amdhsa_exception_fp_denorm_src 0
		.amdhsa_exception_fp_ieee_div_zero 0
		.amdhsa_exception_fp_ieee_overflow 0
		.amdhsa_exception_fp_ieee_underflow 0
		.amdhsa_exception_fp_ieee_inexact 0
		.amdhsa_exception_int_div_zero 0
	.end_amdhsa_kernel
	.section	.text._Z26warp_inclusive_scan_kernelI12hip_bfloat16Lj64ELj4EENSt9enable_ifIXsr10test_utilsE35device_test_enabled_for_warp_size_vIXT1_EEEvE4typeEPT_S5_,"axG",@progbits,_Z26warp_inclusive_scan_kernelI12hip_bfloat16Lj64ELj4EENSt9enable_ifIXsr10test_utilsE35device_test_enabled_for_warp_size_vIXT1_EEEvE4typeEPT_S5_,comdat
.Lfunc_end26:
	.size	_Z26warp_inclusive_scan_kernelI12hip_bfloat16Lj64ELj4EENSt9enable_ifIXsr10test_utilsE35device_test_enabled_for_warp_size_vIXT1_EEEvE4typeEPT_S5_, .Lfunc_end26-_Z26warp_inclusive_scan_kernelI12hip_bfloat16Lj64ELj4EENSt9enable_ifIXsr10test_utilsE35device_test_enabled_for_warp_size_vIXT1_EEEvE4typeEPT_S5_
                                        ; -- End function
	.set _Z26warp_inclusive_scan_kernelI12hip_bfloat16Lj64ELj4EENSt9enable_ifIXsr10test_utilsE35device_test_enabled_for_warp_size_vIXT1_EEEvE4typeEPT_S5_.num_vgpr, 8
	.set _Z26warp_inclusive_scan_kernelI12hip_bfloat16Lj64ELj4EENSt9enable_ifIXsr10test_utilsE35device_test_enabled_for_warp_size_vIXT1_EEEvE4typeEPT_S5_.num_agpr, 0
	.set _Z26warp_inclusive_scan_kernelI12hip_bfloat16Lj64ELj4EENSt9enable_ifIXsr10test_utilsE35device_test_enabled_for_warp_size_vIXT1_EEEvE4typeEPT_S5_.numbered_sgpr, 8
	.set _Z26warp_inclusive_scan_kernelI12hip_bfloat16Lj64ELj4EENSt9enable_ifIXsr10test_utilsE35device_test_enabled_for_warp_size_vIXT1_EEEvE4typeEPT_S5_.num_named_barrier, 0
	.set _Z26warp_inclusive_scan_kernelI12hip_bfloat16Lj64ELj4EENSt9enable_ifIXsr10test_utilsE35device_test_enabled_for_warp_size_vIXT1_EEEvE4typeEPT_S5_.private_seg_size, 0
	.set _Z26warp_inclusive_scan_kernelI12hip_bfloat16Lj64ELj4EENSt9enable_ifIXsr10test_utilsE35device_test_enabled_for_warp_size_vIXT1_EEEvE4typeEPT_S5_.uses_vcc, 1
	.set _Z26warp_inclusive_scan_kernelI12hip_bfloat16Lj64ELj4EENSt9enable_ifIXsr10test_utilsE35device_test_enabled_for_warp_size_vIXT1_EEEvE4typeEPT_S5_.uses_flat_scratch, 0
	.set _Z26warp_inclusive_scan_kernelI12hip_bfloat16Lj64ELj4EENSt9enable_ifIXsr10test_utilsE35device_test_enabled_for_warp_size_vIXT1_EEEvE4typeEPT_S5_.has_dyn_sized_stack, 0
	.set _Z26warp_inclusive_scan_kernelI12hip_bfloat16Lj64ELj4EENSt9enable_ifIXsr10test_utilsE35device_test_enabled_for_warp_size_vIXT1_EEEvE4typeEPT_S5_.has_recursion, 0
	.set _Z26warp_inclusive_scan_kernelI12hip_bfloat16Lj64ELj4EENSt9enable_ifIXsr10test_utilsE35device_test_enabled_for_warp_size_vIXT1_EEEvE4typeEPT_S5_.has_indirect_call, 0
	.section	.AMDGPU.csdata,"",@progbits
; Kernel info:
; codeLenInByte = 368
; TotalNumSgprs: 12
; NumVgprs: 8
; ScratchSize: 0
; MemoryBound: 0
; FloatMode: 240
; IeeeMode: 1
; LDSByteSize: 0 bytes/workgroup (compile time only)
; SGPRBlocks: 1
; VGPRBlocks: 1
; NumSGPRsForWavesPerEU: 12
; NumVGPRsForWavesPerEU: 8
; Occupancy: 10
; WaveLimiterHint : 0
; COMPUTE_PGM_RSRC2:SCRATCH_EN: 0
; COMPUTE_PGM_RSRC2:USER_SGPR: 6
; COMPUTE_PGM_RSRC2:TRAP_HANDLER: 0
; COMPUTE_PGM_RSRC2:TGID_X_EN: 1
; COMPUTE_PGM_RSRC2:TGID_Y_EN: 0
; COMPUTE_PGM_RSRC2:TGID_Z_EN: 0
; COMPUTE_PGM_RSRC2:TIDIG_COMP_CNT: 0
	.section	.text._Z26warp_inclusive_scan_kernelI12hip_bfloat16Lj32ELj2EENSt9enable_ifIXsr10test_utilsE35device_test_enabled_for_warp_size_vIXT1_EEEvE4typeEPT_S5_,"axG",@progbits,_Z26warp_inclusive_scan_kernelI12hip_bfloat16Lj32ELj2EENSt9enable_ifIXsr10test_utilsE35device_test_enabled_for_warp_size_vIXT1_EEEvE4typeEPT_S5_,comdat
	.protected	_Z26warp_inclusive_scan_kernelI12hip_bfloat16Lj32ELj2EENSt9enable_ifIXsr10test_utilsE35device_test_enabled_for_warp_size_vIXT1_EEEvE4typeEPT_S5_ ; -- Begin function _Z26warp_inclusive_scan_kernelI12hip_bfloat16Lj32ELj2EENSt9enable_ifIXsr10test_utilsE35device_test_enabled_for_warp_size_vIXT1_EEEvE4typeEPT_S5_
	.globl	_Z26warp_inclusive_scan_kernelI12hip_bfloat16Lj32ELj2EENSt9enable_ifIXsr10test_utilsE35device_test_enabled_for_warp_size_vIXT1_EEEvE4typeEPT_S5_
	.p2align	8
	.type	_Z26warp_inclusive_scan_kernelI12hip_bfloat16Lj32ELj2EENSt9enable_ifIXsr10test_utilsE35device_test_enabled_for_warp_size_vIXT1_EEEvE4typeEPT_S5_,@function
_Z26warp_inclusive_scan_kernelI12hip_bfloat16Lj32ELj2EENSt9enable_ifIXsr10test_utilsE35device_test_enabled_for_warp_size_vIXT1_EEEvE4typeEPT_S5_: ; @_Z26warp_inclusive_scan_kernelI12hip_bfloat16Lj32ELj2EENSt9enable_ifIXsr10test_utilsE35device_test_enabled_for_warp_size_vIXT1_EEEvE4typeEPT_S5_
; %bb.0:
	s_load_dword s7, s[4:5], 0x1c
	s_load_dwordx4 s[0:3], s[4:5], 0x0
	v_mov_b32_e32 v1, 0
	s_waitcnt lgkmcnt(0)
	s_and_b32 s4, s7, 0xffff
	s_mul_i32 s6, s6, s4
	v_add_u32_e32 v0, s6, v0
	v_lshlrev_b64 v[0:1], 1, v[0:1]
	v_mov_b32_e32 v3, s1
	v_add_co_u32_e32 v2, vcc, s0, v0
	v_addc_co_u32_e32 v3, vcc, v3, v1, vcc
	global_load_ushort v2, v[2:3], off
	s_mov_b32 s0, 0x7f800000
	s_waitcnt vmcnt(0)
	v_and_b32_e32 v3, 0xffff, v2
	s_nop 1
	v_mov_b32_dpp v3, v3 row_shr:1 row_mask:0xf bank_mask:0xf
	v_lshlrev_b32_e32 v4, 16, v2
	v_lshlrev_b32_e32 v3, 16, v3
	v_add_f32_e32 v3, v4, v3
	v_and_b32_e32 v4, 0x7f800000, v3
	v_cmp_ne_u32_e32 vcc, s0, v4
                                        ; implicit-def: $vgpr4
	s_and_saveexec_b64 s[0:1], vcc
	s_xor_b64 s[0:1], exec, s[0:1]
; %bb.1:
	v_bfe_u32 v4, v3, 16, 1
	s_movk_i32 s4, 0x7fff
	v_add3_u32 v4, v3, v4, s4
                                        ; implicit-def: $vgpr3
; %bb.2:
	s_andn2_saveexec_b64 s[0:1], s[0:1]
; %bb.3:
	v_mov_b32_e32 v4, 0
	v_or_b32_e32 v5, 0x10000, v3
	v_cmp_eq_u32_sdwa vcc, v3, v4 src0_sel:WORD_0 src1_sel:DWORD
	v_cndmask_b32_e32 v4, v5, v3, vcc
; %bb.4:
	s_or_b64 exec, exec, s[0:1]
	v_mbcnt_lo_u32_b32 v3, -1, 0
	v_mbcnt_hi_u32_b32 v3, -1, v3
	v_and_b32_e32 v3, 1, v3
	v_cmp_eq_u32_e32 vcc, 0, v3
	v_cndmask_b32_sdwa v2, v4, v2, vcc dst_sel:DWORD dst_unused:UNUSED_PAD src0_sel:WORD_1 src1_sel:DWORD
	v_mov_b32_e32 v3, s3
	v_add_co_u32_e32 v0, vcc, s2, v0
	v_addc_co_u32_e32 v1, vcc, v3, v1, vcc
	global_store_short v[0:1], v2, off
	s_endpgm
	.section	.rodata,"a",@progbits
	.p2align	6, 0x0
	.amdhsa_kernel _Z26warp_inclusive_scan_kernelI12hip_bfloat16Lj32ELj2EENSt9enable_ifIXsr10test_utilsE35device_test_enabled_for_warp_size_vIXT1_EEEvE4typeEPT_S5_
		.amdhsa_group_segment_fixed_size 0
		.amdhsa_private_segment_fixed_size 0
		.amdhsa_kernarg_size 272
		.amdhsa_user_sgpr_count 6
		.amdhsa_user_sgpr_private_segment_buffer 1
		.amdhsa_user_sgpr_dispatch_ptr 0
		.amdhsa_user_sgpr_queue_ptr 0
		.amdhsa_user_sgpr_kernarg_segment_ptr 1
		.amdhsa_user_sgpr_dispatch_id 0
		.amdhsa_user_sgpr_flat_scratch_init 0
		.amdhsa_user_sgpr_private_segment_size 0
		.amdhsa_uses_dynamic_stack 0
		.amdhsa_system_sgpr_private_segment_wavefront_offset 0
		.amdhsa_system_sgpr_workgroup_id_x 1
		.amdhsa_system_sgpr_workgroup_id_y 0
		.amdhsa_system_sgpr_workgroup_id_z 0
		.amdhsa_system_sgpr_workgroup_info 0
		.amdhsa_system_vgpr_workitem_id 0
		.amdhsa_next_free_vgpr 6
		.amdhsa_next_free_sgpr 8
		.amdhsa_reserve_vcc 1
		.amdhsa_reserve_flat_scratch 0
		.amdhsa_float_round_mode_32 0
		.amdhsa_float_round_mode_16_64 0
		.amdhsa_float_denorm_mode_32 3
		.amdhsa_float_denorm_mode_16_64 3
		.amdhsa_dx10_clamp 1
		.amdhsa_ieee_mode 1
		.amdhsa_fp16_overflow 0
		.amdhsa_exception_fp_ieee_invalid_op 0
		.amdhsa_exception_fp_denorm_src 0
		.amdhsa_exception_fp_ieee_div_zero 0
		.amdhsa_exception_fp_ieee_overflow 0
		.amdhsa_exception_fp_ieee_underflow 0
		.amdhsa_exception_fp_ieee_inexact 0
		.amdhsa_exception_int_div_zero 0
	.end_amdhsa_kernel
	.section	.text._Z26warp_inclusive_scan_kernelI12hip_bfloat16Lj32ELj2EENSt9enable_ifIXsr10test_utilsE35device_test_enabled_for_warp_size_vIXT1_EEEvE4typeEPT_S5_,"axG",@progbits,_Z26warp_inclusive_scan_kernelI12hip_bfloat16Lj32ELj2EENSt9enable_ifIXsr10test_utilsE35device_test_enabled_for_warp_size_vIXT1_EEEvE4typeEPT_S5_,comdat
.Lfunc_end27:
	.size	_Z26warp_inclusive_scan_kernelI12hip_bfloat16Lj32ELj2EENSt9enable_ifIXsr10test_utilsE35device_test_enabled_for_warp_size_vIXT1_EEEvE4typeEPT_S5_, .Lfunc_end27-_Z26warp_inclusive_scan_kernelI12hip_bfloat16Lj32ELj2EENSt9enable_ifIXsr10test_utilsE35device_test_enabled_for_warp_size_vIXT1_EEEvE4typeEPT_S5_
                                        ; -- End function
	.set _Z26warp_inclusive_scan_kernelI12hip_bfloat16Lj32ELj2EENSt9enable_ifIXsr10test_utilsE35device_test_enabled_for_warp_size_vIXT1_EEEvE4typeEPT_S5_.num_vgpr, 6
	.set _Z26warp_inclusive_scan_kernelI12hip_bfloat16Lj32ELj2EENSt9enable_ifIXsr10test_utilsE35device_test_enabled_for_warp_size_vIXT1_EEEvE4typeEPT_S5_.num_agpr, 0
	.set _Z26warp_inclusive_scan_kernelI12hip_bfloat16Lj32ELj2EENSt9enable_ifIXsr10test_utilsE35device_test_enabled_for_warp_size_vIXT1_EEEvE4typeEPT_S5_.numbered_sgpr, 8
	.set _Z26warp_inclusive_scan_kernelI12hip_bfloat16Lj32ELj2EENSt9enable_ifIXsr10test_utilsE35device_test_enabled_for_warp_size_vIXT1_EEEvE4typeEPT_S5_.num_named_barrier, 0
	.set _Z26warp_inclusive_scan_kernelI12hip_bfloat16Lj32ELj2EENSt9enable_ifIXsr10test_utilsE35device_test_enabled_for_warp_size_vIXT1_EEEvE4typeEPT_S5_.private_seg_size, 0
	.set _Z26warp_inclusive_scan_kernelI12hip_bfloat16Lj32ELj2EENSt9enable_ifIXsr10test_utilsE35device_test_enabled_for_warp_size_vIXT1_EEEvE4typeEPT_S5_.uses_vcc, 1
	.set _Z26warp_inclusive_scan_kernelI12hip_bfloat16Lj32ELj2EENSt9enable_ifIXsr10test_utilsE35device_test_enabled_for_warp_size_vIXT1_EEEvE4typeEPT_S5_.uses_flat_scratch, 0
	.set _Z26warp_inclusive_scan_kernelI12hip_bfloat16Lj32ELj2EENSt9enable_ifIXsr10test_utilsE35device_test_enabled_for_warp_size_vIXT1_EEEvE4typeEPT_S5_.has_dyn_sized_stack, 0
	.set _Z26warp_inclusive_scan_kernelI12hip_bfloat16Lj32ELj2EENSt9enable_ifIXsr10test_utilsE35device_test_enabled_for_warp_size_vIXT1_EEEvE4typeEPT_S5_.has_recursion, 0
	.set _Z26warp_inclusive_scan_kernelI12hip_bfloat16Lj32ELj2EENSt9enable_ifIXsr10test_utilsE35device_test_enabled_for_warp_size_vIXT1_EEEvE4typeEPT_S5_.has_indirect_call, 0
	.section	.AMDGPU.csdata,"",@progbits
; Kernel info:
; codeLenInByte = 240
; TotalNumSgprs: 12
; NumVgprs: 6
; ScratchSize: 0
; MemoryBound: 0
; FloatMode: 240
; IeeeMode: 1
; LDSByteSize: 0 bytes/workgroup (compile time only)
; SGPRBlocks: 1
; VGPRBlocks: 1
; NumSGPRsForWavesPerEU: 12
; NumVGPRsForWavesPerEU: 6
; Occupancy: 10
; WaveLimiterHint : 0
; COMPUTE_PGM_RSRC2:SCRATCH_EN: 0
; COMPUTE_PGM_RSRC2:USER_SGPR: 6
; COMPUTE_PGM_RSRC2:TRAP_HANDLER: 0
; COMPUTE_PGM_RSRC2:TGID_X_EN: 1
; COMPUTE_PGM_RSRC2:TGID_Y_EN: 0
; COMPUTE_PGM_RSRC2:TGID_Z_EN: 0
; COMPUTE_PGM_RSRC2:TIDIG_COMP_CNT: 0
	.section	.text._Z26warp_inclusive_scan_kernelI12hip_bfloat16Lj64ELj2EENSt9enable_ifIXsr10test_utilsE35device_test_enabled_for_warp_size_vIXT1_EEEvE4typeEPT_S5_,"axG",@progbits,_Z26warp_inclusive_scan_kernelI12hip_bfloat16Lj64ELj2EENSt9enable_ifIXsr10test_utilsE35device_test_enabled_for_warp_size_vIXT1_EEEvE4typeEPT_S5_,comdat
	.protected	_Z26warp_inclusive_scan_kernelI12hip_bfloat16Lj64ELj2EENSt9enable_ifIXsr10test_utilsE35device_test_enabled_for_warp_size_vIXT1_EEEvE4typeEPT_S5_ ; -- Begin function _Z26warp_inclusive_scan_kernelI12hip_bfloat16Lj64ELj2EENSt9enable_ifIXsr10test_utilsE35device_test_enabled_for_warp_size_vIXT1_EEEvE4typeEPT_S5_
	.globl	_Z26warp_inclusive_scan_kernelI12hip_bfloat16Lj64ELj2EENSt9enable_ifIXsr10test_utilsE35device_test_enabled_for_warp_size_vIXT1_EEEvE4typeEPT_S5_
	.p2align	8
	.type	_Z26warp_inclusive_scan_kernelI12hip_bfloat16Lj64ELj2EENSt9enable_ifIXsr10test_utilsE35device_test_enabled_for_warp_size_vIXT1_EEEvE4typeEPT_S5_,@function
_Z26warp_inclusive_scan_kernelI12hip_bfloat16Lj64ELj2EENSt9enable_ifIXsr10test_utilsE35device_test_enabled_for_warp_size_vIXT1_EEEvE4typeEPT_S5_: ; @_Z26warp_inclusive_scan_kernelI12hip_bfloat16Lj64ELj2EENSt9enable_ifIXsr10test_utilsE35device_test_enabled_for_warp_size_vIXT1_EEEvE4typeEPT_S5_
; %bb.0:
	s_load_dword s7, s[4:5], 0x1c
	s_load_dwordx4 s[0:3], s[4:5], 0x0
	v_mov_b32_e32 v1, 0
	s_waitcnt lgkmcnt(0)
	s_and_b32 s4, s7, 0xffff
	s_mul_i32 s6, s6, s4
	v_add_u32_e32 v0, s6, v0
	v_lshlrev_b64 v[0:1], 1, v[0:1]
	v_mov_b32_e32 v3, s1
	v_add_co_u32_e32 v2, vcc, s0, v0
	v_addc_co_u32_e32 v3, vcc, v3, v1, vcc
	global_load_ushort v2, v[2:3], off
	s_mov_b32 s0, 0x7f800000
	s_waitcnt vmcnt(0)
	v_and_b32_e32 v3, 0xffff, v2
	s_nop 1
	v_mov_b32_dpp v3, v3 row_shr:1 row_mask:0xf bank_mask:0xf
	v_lshlrev_b32_e32 v4, 16, v2
	v_lshlrev_b32_e32 v3, 16, v3
	v_add_f32_e32 v3, v4, v3
	v_and_b32_e32 v4, 0x7f800000, v3
	v_cmp_ne_u32_e32 vcc, s0, v4
                                        ; implicit-def: $vgpr4
	s_and_saveexec_b64 s[0:1], vcc
	s_xor_b64 s[0:1], exec, s[0:1]
; %bb.1:
	v_bfe_u32 v4, v3, 16, 1
	s_movk_i32 s4, 0x7fff
	v_add3_u32 v4, v3, v4, s4
                                        ; implicit-def: $vgpr3
; %bb.2:
	s_andn2_saveexec_b64 s[0:1], s[0:1]
; %bb.3:
	v_mov_b32_e32 v4, 0
	v_or_b32_e32 v5, 0x10000, v3
	v_cmp_eq_u32_sdwa vcc, v3, v4 src0_sel:WORD_0 src1_sel:DWORD
	v_cndmask_b32_e32 v4, v5, v3, vcc
; %bb.4:
	s_or_b64 exec, exec, s[0:1]
	v_mbcnt_lo_u32_b32 v3, -1, 0
	v_mbcnt_hi_u32_b32 v3, -1, v3
	v_and_b32_e32 v3, 1, v3
	v_cmp_eq_u32_e32 vcc, 0, v3
	v_cndmask_b32_sdwa v2, v4, v2, vcc dst_sel:DWORD dst_unused:UNUSED_PAD src0_sel:WORD_1 src1_sel:DWORD
	v_mov_b32_e32 v3, s3
	v_add_co_u32_e32 v0, vcc, s2, v0
	v_addc_co_u32_e32 v1, vcc, v3, v1, vcc
	global_store_short v[0:1], v2, off
	s_endpgm
	.section	.rodata,"a",@progbits
	.p2align	6, 0x0
	.amdhsa_kernel _Z26warp_inclusive_scan_kernelI12hip_bfloat16Lj64ELj2EENSt9enable_ifIXsr10test_utilsE35device_test_enabled_for_warp_size_vIXT1_EEEvE4typeEPT_S5_
		.amdhsa_group_segment_fixed_size 0
		.amdhsa_private_segment_fixed_size 0
		.amdhsa_kernarg_size 272
		.amdhsa_user_sgpr_count 6
		.amdhsa_user_sgpr_private_segment_buffer 1
		.amdhsa_user_sgpr_dispatch_ptr 0
		.amdhsa_user_sgpr_queue_ptr 0
		.amdhsa_user_sgpr_kernarg_segment_ptr 1
		.amdhsa_user_sgpr_dispatch_id 0
		.amdhsa_user_sgpr_flat_scratch_init 0
		.amdhsa_user_sgpr_private_segment_size 0
		.amdhsa_uses_dynamic_stack 0
		.amdhsa_system_sgpr_private_segment_wavefront_offset 0
		.amdhsa_system_sgpr_workgroup_id_x 1
		.amdhsa_system_sgpr_workgroup_id_y 0
		.amdhsa_system_sgpr_workgroup_id_z 0
		.amdhsa_system_sgpr_workgroup_info 0
		.amdhsa_system_vgpr_workitem_id 0
		.amdhsa_next_free_vgpr 6
		.amdhsa_next_free_sgpr 8
		.amdhsa_reserve_vcc 1
		.amdhsa_reserve_flat_scratch 0
		.amdhsa_float_round_mode_32 0
		.amdhsa_float_round_mode_16_64 0
		.amdhsa_float_denorm_mode_32 3
		.amdhsa_float_denorm_mode_16_64 3
		.amdhsa_dx10_clamp 1
		.amdhsa_ieee_mode 1
		.amdhsa_fp16_overflow 0
		.amdhsa_exception_fp_ieee_invalid_op 0
		.amdhsa_exception_fp_denorm_src 0
		.amdhsa_exception_fp_ieee_div_zero 0
		.amdhsa_exception_fp_ieee_overflow 0
		.amdhsa_exception_fp_ieee_underflow 0
		.amdhsa_exception_fp_ieee_inexact 0
		.amdhsa_exception_int_div_zero 0
	.end_amdhsa_kernel
	.section	.text._Z26warp_inclusive_scan_kernelI12hip_bfloat16Lj64ELj2EENSt9enable_ifIXsr10test_utilsE35device_test_enabled_for_warp_size_vIXT1_EEEvE4typeEPT_S5_,"axG",@progbits,_Z26warp_inclusive_scan_kernelI12hip_bfloat16Lj64ELj2EENSt9enable_ifIXsr10test_utilsE35device_test_enabled_for_warp_size_vIXT1_EEEvE4typeEPT_S5_,comdat
.Lfunc_end28:
	.size	_Z26warp_inclusive_scan_kernelI12hip_bfloat16Lj64ELj2EENSt9enable_ifIXsr10test_utilsE35device_test_enabled_for_warp_size_vIXT1_EEEvE4typeEPT_S5_, .Lfunc_end28-_Z26warp_inclusive_scan_kernelI12hip_bfloat16Lj64ELj2EENSt9enable_ifIXsr10test_utilsE35device_test_enabled_for_warp_size_vIXT1_EEEvE4typeEPT_S5_
                                        ; -- End function
	.set _Z26warp_inclusive_scan_kernelI12hip_bfloat16Lj64ELj2EENSt9enable_ifIXsr10test_utilsE35device_test_enabled_for_warp_size_vIXT1_EEEvE4typeEPT_S5_.num_vgpr, 6
	.set _Z26warp_inclusive_scan_kernelI12hip_bfloat16Lj64ELj2EENSt9enable_ifIXsr10test_utilsE35device_test_enabled_for_warp_size_vIXT1_EEEvE4typeEPT_S5_.num_agpr, 0
	.set _Z26warp_inclusive_scan_kernelI12hip_bfloat16Lj64ELj2EENSt9enable_ifIXsr10test_utilsE35device_test_enabled_for_warp_size_vIXT1_EEEvE4typeEPT_S5_.numbered_sgpr, 8
	.set _Z26warp_inclusive_scan_kernelI12hip_bfloat16Lj64ELj2EENSt9enable_ifIXsr10test_utilsE35device_test_enabled_for_warp_size_vIXT1_EEEvE4typeEPT_S5_.num_named_barrier, 0
	.set _Z26warp_inclusive_scan_kernelI12hip_bfloat16Lj64ELj2EENSt9enable_ifIXsr10test_utilsE35device_test_enabled_for_warp_size_vIXT1_EEEvE4typeEPT_S5_.private_seg_size, 0
	.set _Z26warp_inclusive_scan_kernelI12hip_bfloat16Lj64ELj2EENSt9enable_ifIXsr10test_utilsE35device_test_enabled_for_warp_size_vIXT1_EEEvE4typeEPT_S5_.uses_vcc, 1
	.set _Z26warp_inclusive_scan_kernelI12hip_bfloat16Lj64ELj2EENSt9enable_ifIXsr10test_utilsE35device_test_enabled_for_warp_size_vIXT1_EEEvE4typeEPT_S5_.uses_flat_scratch, 0
	.set _Z26warp_inclusive_scan_kernelI12hip_bfloat16Lj64ELj2EENSt9enable_ifIXsr10test_utilsE35device_test_enabled_for_warp_size_vIXT1_EEEvE4typeEPT_S5_.has_dyn_sized_stack, 0
	.set _Z26warp_inclusive_scan_kernelI12hip_bfloat16Lj64ELj2EENSt9enable_ifIXsr10test_utilsE35device_test_enabled_for_warp_size_vIXT1_EEEvE4typeEPT_S5_.has_recursion, 0
	.set _Z26warp_inclusive_scan_kernelI12hip_bfloat16Lj64ELj2EENSt9enable_ifIXsr10test_utilsE35device_test_enabled_for_warp_size_vIXT1_EEEvE4typeEPT_S5_.has_indirect_call, 0
	.section	.AMDGPU.csdata,"",@progbits
; Kernel info:
; codeLenInByte = 240
; TotalNumSgprs: 12
; NumVgprs: 6
; ScratchSize: 0
; MemoryBound: 0
; FloatMode: 240
; IeeeMode: 1
; LDSByteSize: 0 bytes/workgroup (compile time only)
; SGPRBlocks: 1
; VGPRBlocks: 1
; NumSGPRsForWavesPerEU: 12
; NumVGPRsForWavesPerEU: 6
; Occupancy: 10
; WaveLimiterHint : 0
; COMPUTE_PGM_RSRC2:SCRATCH_EN: 0
; COMPUTE_PGM_RSRC2:USER_SGPR: 6
; COMPUTE_PGM_RSRC2:TRAP_HANDLER: 0
; COMPUTE_PGM_RSRC2:TGID_X_EN: 1
; COMPUTE_PGM_RSRC2:TGID_Y_EN: 0
; COMPUTE_PGM_RSRC2:TGID_Z_EN: 0
; COMPUTE_PGM_RSRC2:TIDIG_COMP_CNT: 0
	.section	.text._Z26warp_inclusive_scan_kernelI6__halfLj256ELj64EENSt9enable_ifIXsr10test_utilsE35device_test_enabled_for_warp_size_vIXT1_EEEvE4typeEPT_S5_,"axG",@progbits,_Z26warp_inclusive_scan_kernelI6__halfLj256ELj64EENSt9enable_ifIXsr10test_utilsE35device_test_enabled_for_warp_size_vIXT1_EEEvE4typeEPT_S5_,comdat
	.protected	_Z26warp_inclusive_scan_kernelI6__halfLj256ELj64EENSt9enable_ifIXsr10test_utilsE35device_test_enabled_for_warp_size_vIXT1_EEEvE4typeEPT_S5_ ; -- Begin function _Z26warp_inclusive_scan_kernelI6__halfLj256ELj64EENSt9enable_ifIXsr10test_utilsE35device_test_enabled_for_warp_size_vIXT1_EEEvE4typeEPT_S5_
	.globl	_Z26warp_inclusive_scan_kernelI6__halfLj256ELj64EENSt9enable_ifIXsr10test_utilsE35device_test_enabled_for_warp_size_vIXT1_EEEvE4typeEPT_S5_
	.p2align	8
	.type	_Z26warp_inclusive_scan_kernelI6__halfLj256ELj64EENSt9enable_ifIXsr10test_utilsE35device_test_enabled_for_warp_size_vIXT1_EEEvE4typeEPT_S5_,@function
_Z26warp_inclusive_scan_kernelI6__halfLj256ELj64EENSt9enable_ifIXsr10test_utilsE35device_test_enabled_for_warp_size_vIXT1_EEEvE4typeEPT_S5_: ; @_Z26warp_inclusive_scan_kernelI6__halfLj256ELj64EENSt9enable_ifIXsr10test_utilsE35device_test_enabled_for_warp_size_vIXT1_EEEvE4typeEPT_S5_
; %bb.0:
	s_load_dword s7, s[4:5], 0x1c
	s_load_dwordx4 s[0:3], s[4:5], 0x0
	v_mov_b32_e32 v1, 0
	s_waitcnt lgkmcnt(0)
	s_and_b32 s4, s7, 0xffff
	s_mul_i32 s6, s6, s4
	v_add_u32_e32 v0, s6, v0
	v_lshlrev_b64 v[0:1], 1, v[0:1]
	v_mov_b32_e32 v3, s1
	v_add_co_u32_e32 v2, vcc, s0, v0
	v_addc_co_u32_e32 v3, vcc, v3, v1, vcc
	global_load_ushort v2, v[2:3], off
	v_mbcnt_lo_u32_b32 v3, -1, 0
	v_mbcnt_hi_u32_b32 v3, -1, v3
	v_and_b32_e32 v4, 15, v3
	v_cmp_eq_u32_e32 vcc, 0, v4
	v_and_b32_e32 v5, 16, v3
	v_mov_b32_e32 v6, s3
	s_waitcnt vmcnt(0)
	v_and_b32_e32 v7, 0xffff, v2
	s_nop 1
	v_mov_b32_dpp v7, v7 row_shr:1 row_mask:0xf bank_mask:0xf
	v_add_f16_e32 v7, v2, v7
	v_cndmask_b32_e32 v2, v7, v2, vcc
	v_and_b32_e32 v7, 0xffff, v2
	v_cmp_lt_u32_e32 vcc, 1, v4
	s_nop 0
	v_mov_b32_dpp v7, v7 row_shr:2 row_mask:0xf bank_mask:0xf
	v_add_f16_e32 v7, v2, v7
	v_cndmask_b32_e32 v2, v2, v7, vcc
	v_and_b32_e32 v7, 0xffff, v2
	v_cmp_lt_u32_e32 vcc, 3, v4
	;; [unrolled: 6-line block ×3, first 2 shown]
	s_nop 0
	v_mov_b32_dpp v7, v7 row_shr:8 row_mask:0xf bank_mask:0xf
	v_add_f16_e32 v7, v2, v7
	v_cndmask_b32_e32 v2, v2, v7, vcc
	v_and_b32_e32 v4, 0xffff, v2
	v_cmp_eq_u32_e32 vcc, 0, v5
	s_nop 0
	v_mov_b32_dpp v4, v4 row_bcast:15 row_mask:0xf bank_mask:0xf
	v_add_f16_e32 v4, v2, v4
	v_cndmask_b32_e32 v2, v4, v2, vcc
	v_and_b32_e32 v4, 0xffff, v2
	v_cmp_lt_u32_e32 vcc, 31, v3
	s_nop 0
	v_mov_b32_dpp v4, v4 row_bcast:31 row_mask:0xf bank_mask:0xf
	v_add_f16_e32 v4, v2, v4
	v_cndmask_b32_e32 v2, v2, v4, vcc
	v_add_co_u32_e32 v0, vcc, s2, v0
	v_addc_co_u32_e32 v1, vcc, v6, v1, vcc
	global_store_short v[0:1], v2, off
	s_endpgm
	.section	.rodata,"a",@progbits
	.p2align	6, 0x0
	.amdhsa_kernel _Z26warp_inclusive_scan_kernelI6__halfLj256ELj64EENSt9enable_ifIXsr10test_utilsE35device_test_enabled_for_warp_size_vIXT1_EEEvE4typeEPT_S5_
		.amdhsa_group_segment_fixed_size 0
		.amdhsa_private_segment_fixed_size 0
		.amdhsa_kernarg_size 272
		.amdhsa_user_sgpr_count 6
		.amdhsa_user_sgpr_private_segment_buffer 1
		.amdhsa_user_sgpr_dispatch_ptr 0
		.amdhsa_user_sgpr_queue_ptr 0
		.amdhsa_user_sgpr_kernarg_segment_ptr 1
		.amdhsa_user_sgpr_dispatch_id 0
		.amdhsa_user_sgpr_flat_scratch_init 0
		.amdhsa_user_sgpr_private_segment_size 0
		.amdhsa_uses_dynamic_stack 0
		.amdhsa_system_sgpr_private_segment_wavefront_offset 0
		.amdhsa_system_sgpr_workgroup_id_x 1
		.amdhsa_system_sgpr_workgroup_id_y 0
		.amdhsa_system_sgpr_workgroup_id_z 0
		.amdhsa_system_sgpr_workgroup_info 0
		.amdhsa_system_vgpr_workitem_id 0
		.amdhsa_next_free_vgpr 8
		.amdhsa_next_free_sgpr 8
		.amdhsa_reserve_vcc 1
		.amdhsa_reserve_flat_scratch 0
		.amdhsa_float_round_mode_32 0
		.amdhsa_float_round_mode_16_64 0
		.amdhsa_float_denorm_mode_32 3
		.amdhsa_float_denorm_mode_16_64 3
		.amdhsa_dx10_clamp 1
		.amdhsa_ieee_mode 1
		.amdhsa_fp16_overflow 0
		.amdhsa_exception_fp_ieee_invalid_op 0
		.amdhsa_exception_fp_denorm_src 0
		.amdhsa_exception_fp_ieee_div_zero 0
		.amdhsa_exception_fp_ieee_overflow 0
		.amdhsa_exception_fp_ieee_underflow 0
		.amdhsa_exception_fp_ieee_inexact 0
		.amdhsa_exception_int_div_zero 0
	.end_amdhsa_kernel
	.section	.text._Z26warp_inclusive_scan_kernelI6__halfLj256ELj64EENSt9enable_ifIXsr10test_utilsE35device_test_enabled_for_warp_size_vIXT1_EEEvE4typeEPT_S5_,"axG",@progbits,_Z26warp_inclusive_scan_kernelI6__halfLj256ELj64EENSt9enable_ifIXsr10test_utilsE35device_test_enabled_for_warp_size_vIXT1_EEEvE4typeEPT_S5_,comdat
.Lfunc_end29:
	.size	_Z26warp_inclusive_scan_kernelI6__halfLj256ELj64EENSt9enable_ifIXsr10test_utilsE35device_test_enabled_for_warp_size_vIXT1_EEEvE4typeEPT_S5_, .Lfunc_end29-_Z26warp_inclusive_scan_kernelI6__halfLj256ELj64EENSt9enable_ifIXsr10test_utilsE35device_test_enabled_for_warp_size_vIXT1_EEEvE4typeEPT_S5_
                                        ; -- End function
	.set _Z26warp_inclusive_scan_kernelI6__halfLj256ELj64EENSt9enable_ifIXsr10test_utilsE35device_test_enabled_for_warp_size_vIXT1_EEEvE4typeEPT_S5_.num_vgpr, 8
	.set _Z26warp_inclusive_scan_kernelI6__halfLj256ELj64EENSt9enable_ifIXsr10test_utilsE35device_test_enabled_for_warp_size_vIXT1_EEEvE4typeEPT_S5_.num_agpr, 0
	.set _Z26warp_inclusive_scan_kernelI6__halfLj256ELj64EENSt9enable_ifIXsr10test_utilsE35device_test_enabled_for_warp_size_vIXT1_EEEvE4typeEPT_S5_.numbered_sgpr, 8
	.set _Z26warp_inclusive_scan_kernelI6__halfLj256ELj64EENSt9enable_ifIXsr10test_utilsE35device_test_enabled_for_warp_size_vIXT1_EEEvE4typeEPT_S5_.num_named_barrier, 0
	.set _Z26warp_inclusive_scan_kernelI6__halfLj256ELj64EENSt9enable_ifIXsr10test_utilsE35device_test_enabled_for_warp_size_vIXT1_EEEvE4typeEPT_S5_.private_seg_size, 0
	.set _Z26warp_inclusive_scan_kernelI6__halfLj256ELj64EENSt9enable_ifIXsr10test_utilsE35device_test_enabled_for_warp_size_vIXT1_EEEvE4typeEPT_S5_.uses_vcc, 1
	.set _Z26warp_inclusive_scan_kernelI6__halfLj256ELj64EENSt9enable_ifIXsr10test_utilsE35device_test_enabled_for_warp_size_vIXT1_EEEvE4typeEPT_S5_.uses_flat_scratch, 0
	.set _Z26warp_inclusive_scan_kernelI6__halfLj256ELj64EENSt9enable_ifIXsr10test_utilsE35device_test_enabled_for_warp_size_vIXT1_EEEvE4typeEPT_S5_.has_dyn_sized_stack, 0
	.set _Z26warp_inclusive_scan_kernelI6__halfLj256ELj64EENSt9enable_ifIXsr10test_utilsE35device_test_enabled_for_warp_size_vIXT1_EEEvE4typeEPT_S5_.has_recursion, 0
	.set _Z26warp_inclusive_scan_kernelI6__halfLj256ELj64EENSt9enable_ifIXsr10test_utilsE35device_test_enabled_for_warp_size_vIXT1_EEEvE4typeEPT_S5_.has_indirect_call, 0
	.section	.AMDGPU.csdata,"",@progbits
; Kernel info:
; codeLenInByte = 312
; TotalNumSgprs: 12
; NumVgprs: 8
; ScratchSize: 0
; MemoryBound: 0
; FloatMode: 240
; IeeeMode: 1
; LDSByteSize: 0 bytes/workgroup (compile time only)
; SGPRBlocks: 1
; VGPRBlocks: 1
; NumSGPRsForWavesPerEU: 12
; NumVGPRsForWavesPerEU: 8
; Occupancy: 10
; WaveLimiterHint : 0
; COMPUTE_PGM_RSRC2:SCRATCH_EN: 0
; COMPUTE_PGM_RSRC2:USER_SGPR: 6
; COMPUTE_PGM_RSRC2:TRAP_HANDLER: 0
; COMPUTE_PGM_RSRC2:TGID_X_EN: 1
; COMPUTE_PGM_RSRC2:TGID_Y_EN: 0
; COMPUTE_PGM_RSRC2:TGID_Z_EN: 0
; COMPUTE_PGM_RSRC2:TIDIG_COMP_CNT: 0
	.section	.text._Z26warp_inclusive_scan_kernelI6__halfLj128ELj32EENSt9enable_ifIXsr10test_utilsE35device_test_enabled_for_warp_size_vIXT1_EEEvE4typeEPT_S5_,"axG",@progbits,_Z26warp_inclusive_scan_kernelI6__halfLj128ELj32EENSt9enable_ifIXsr10test_utilsE35device_test_enabled_for_warp_size_vIXT1_EEEvE4typeEPT_S5_,comdat
	.protected	_Z26warp_inclusive_scan_kernelI6__halfLj128ELj32EENSt9enable_ifIXsr10test_utilsE35device_test_enabled_for_warp_size_vIXT1_EEEvE4typeEPT_S5_ ; -- Begin function _Z26warp_inclusive_scan_kernelI6__halfLj128ELj32EENSt9enable_ifIXsr10test_utilsE35device_test_enabled_for_warp_size_vIXT1_EEEvE4typeEPT_S5_
	.globl	_Z26warp_inclusive_scan_kernelI6__halfLj128ELj32EENSt9enable_ifIXsr10test_utilsE35device_test_enabled_for_warp_size_vIXT1_EEEvE4typeEPT_S5_
	.p2align	8
	.type	_Z26warp_inclusive_scan_kernelI6__halfLj128ELj32EENSt9enable_ifIXsr10test_utilsE35device_test_enabled_for_warp_size_vIXT1_EEEvE4typeEPT_S5_,@function
_Z26warp_inclusive_scan_kernelI6__halfLj128ELj32EENSt9enable_ifIXsr10test_utilsE35device_test_enabled_for_warp_size_vIXT1_EEEvE4typeEPT_S5_: ; @_Z26warp_inclusive_scan_kernelI6__halfLj128ELj32EENSt9enable_ifIXsr10test_utilsE35device_test_enabled_for_warp_size_vIXT1_EEEvE4typeEPT_S5_
; %bb.0:
	s_load_dword s7, s[4:5], 0x1c
	s_load_dwordx4 s[0:3], s[4:5], 0x0
	v_mov_b32_e32 v1, 0
	s_waitcnt lgkmcnt(0)
	s_and_b32 s4, s7, 0xffff
	s_mul_i32 s6, s6, s4
	v_add_u32_e32 v0, s6, v0
	v_lshlrev_b64 v[0:1], 1, v[0:1]
	v_mov_b32_e32 v3, s1
	v_add_co_u32_e32 v2, vcc, s0, v0
	v_addc_co_u32_e32 v3, vcc, v3, v1, vcc
	global_load_ushort v2, v[2:3], off
	v_mbcnt_lo_u32_b32 v3, -1, 0
	v_mbcnt_hi_u32_b32 v3, -1, v3
	v_and_b32_e32 v4, 15, v3
	v_cmp_eq_u32_e32 vcc, 0, v4
	v_and_b32_e32 v3, 16, v3
	v_mov_b32_e32 v5, s3
	s_waitcnt vmcnt(0)
	v_and_b32_e32 v6, 0xffff, v2
	s_nop 1
	v_mov_b32_dpp v6, v6 row_shr:1 row_mask:0xf bank_mask:0xf
	v_add_f16_e32 v6, v2, v6
	v_cndmask_b32_e32 v2, v6, v2, vcc
	v_and_b32_e32 v6, 0xffff, v2
	v_cmp_lt_u32_e32 vcc, 1, v4
	s_nop 0
	v_mov_b32_dpp v6, v6 row_shr:2 row_mask:0xf bank_mask:0xf
	v_add_f16_e32 v6, v2, v6
	v_cndmask_b32_e32 v2, v2, v6, vcc
	v_and_b32_e32 v6, 0xffff, v2
	v_cmp_lt_u32_e32 vcc, 3, v4
	;; [unrolled: 6-line block ×3, first 2 shown]
	s_nop 0
	v_mov_b32_dpp v6, v6 row_shr:8 row_mask:0xf bank_mask:0xf
	v_add_f16_e32 v6, v2, v6
	v_cndmask_b32_e32 v2, v2, v6, vcc
	v_and_b32_e32 v4, 0xffff, v2
	v_cmp_eq_u32_e32 vcc, 0, v3
	s_nop 0
	v_mov_b32_dpp v4, v4 row_bcast:15 row_mask:0xf bank_mask:0xf
	v_add_f16_e32 v4, v2, v4
	v_cndmask_b32_e32 v2, v4, v2, vcc
	v_add_co_u32_e32 v0, vcc, s2, v0
	v_addc_co_u32_e32 v1, vcc, v5, v1, vcc
	global_store_short v[0:1], v2, off
	s_endpgm
	.section	.rodata,"a",@progbits
	.p2align	6, 0x0
	.amdhsa_kernel _Z26warp_inclusive_scan_kernelI6__halfLj128ELj32EENSt9enable_ifIXsr10test_utilsE35device_test_enabled_for_warp_size_vIXT1_EEEvE4typeEPT_S5_
		.amdhsa_group_segment_fixed_size 0
		.amdhsa_private_segment_fixed_size 0
		.amdhsa_kernarg_size 272
		.amdhsa_user_sgpr_count 6
		.amdhsa_user_sgpr_private_segment_buffer 1
		.amdhsa_user_sgpr_dispatch_ptr 0
		.amdhsa_user_sgpr_queue_ptr 0
		.amdhsa_user_sgpr_kernarg_segment_ptr 1
		.amdhsa_user_sgpr_dispatch_id 0
		.amdhsa_user_sgpr_flat_scratch_init 0
		.amdhsa_user_sgpr_private_segment_size 0
		.amdhsa_uses_dynamic_stack 0
		.amdhsa_system_sgpr_private_segment_wavefront_offset 0
		.amdhsa_system_sgpr_workgroup_id_x 1
		.amdhsa_system_sgpr_workgroup_id_y 0
		.amdhsa_system_sgpr_workgroup_id_z 0
		.amdhsa_system_sgpr_workgroup_info 0
		.amdhsa_system_vgpr_workitem_id 0
		.amdhsa_next_free_vgpr 7
		.amdhsa_next_free_sgpr 8
		.amdhsa_reserve_vcc 1
		.amdhsa_reserve_flat_scratch 0
		.amdhsa_float_round_mode_32 0
		.amdhsa_float_round_mode_16_64 0
		.amdhsa_float_denorm_mode_32 3
		.amdhsa_float_denorm_mode_16_64 3
		.amdhsa_dx10_clamp 1
		.amdhsa_ieee_mode 1
		.amdhsa_fp16_overflow 0
		.amdhsa_exception_fp_ieee_invalid_op 0
		.amdhsa_exception_fp_denorm_src 0
		.amdhsa_exception_fp_ieee_div_zero 0
		.amdhsa_exception_fp_ieee_overflow 0
		.amdhsa_exception_fp_ieee_underflow 0
		.amdhsa_exception_fp_ieee_inexact 0
		.amdhsa_exception_int_div_zero 0
	.end_amdhsa_kernel
	.section	.text._Z26warp_inclusive_scan_kernelI6__halfLj128ELj32EENSt9enable_ifIXsr10test_utilsE35device_test_enabled_for_warp_size_vIXT1_EEEvE4typeEPT_S5_,"axG",@progbits,_Z26warp_inclusive_scan_kernelI6__halfLj128ELj32EENSt9enable_ifIXsr10test_utilsE35device_test_enabled_for_warp_size_vIXT1_EEEvE4typeEPT_S5_,comdat
.Lfunc_end30:
	.size	_Z26warp_inclusive_scan_kernelI6__halfLj128ELj32EENSt9enable_ifIXsr10test_utilsE35device_test_enabled_for_warp_size_vIXT1_EEEvE4typeEPT_S5_, .Lfunc_end30-_Z26warp_inclusive_scan_kernelI6__halfLj128ELj32EENSt9enable_ifIXsr10test_utilsE35device_test_enabled_for_warp_size_vIXT1_EEEvE4typeEPT_S5_
                                        ; -- End function
	.set _Z26warp_inclusive_scan_kernelI6__halfLj128ELj32EENSt9enable_ifIXsr10test_utilsE35device_test_enabled_for_warp_size_vIXT1_EEEvE4typeEPT_S5_.num_vgpr, 7
	.set _Z26warp_inclusive_scan_kernelI6__halfLj128ELj32EENSt9enable_ifIXsr10test_utilsE35device_test_enabled_for_warp_size_vIXT1_EEEvE4typeEPT_S5_.num_agpr, 0
	.set _Z26warp_inclusive_scan_kernelI6__halfLj128ELj32EENSt9enable_ifIXsr10test_utilsE35device_test_enabled_for_warp_size_vIXT1_EEEvE4typeEPT_S5_.numbered_sgpr, 8
	.set _Z26warp_inclusive_scan_kernelI6__halfLj128ELj32EENSt9enable_ifIXsr10test_utilsE35device_test_enabled_for_warp_size_vIXT1_EEEvE4typeEPT_S5_.num_named_barrier, 0
	.set _Z26warp_inclusive_scan_kernelI6__halfLj128ELj32EENSt9enable_ifIXsr10test_utilsE35device_test_enabled_for_warp_size_vIXT1_EEEvE4typeEPT_S5_.private_seg_size, 0
	.set _Z26warp_inclusive_scan_kernelI6__halfLj128ELj32EENSt9enable_ifIXsr10test_utilsE35device_test_enabled_for_warp_size_vIXT1_EEEvE4typeEPT_S5_.uses_vcc, 1
	.set _Z26warp_inclusive_scan_kernelI6__halfLj128ELj32EENSt9enable_ifIXsr10test_utilsE35device_test_enabled_for_warp_size_vIXT1_EEEvE4typeEPT_S5_.uses_flat_scratch, 0
	.set _Z26warp_inclusive_scan_kernelI6__halfLj128ELj32EENSt9enable_ifIXsr10test_utilsE35device_test_enabled_for_warp_size_vIXT1_EEEvE4typeEPT_S5_.has_dyn_sized_stack, 0
	.set _Z26warp_inclusive_scan_kernelI6__halfLj128ELj32EENSt9enable_ifIXsr10test_utilsE35device_test_enabled_for_warp_size_vIXT1_EEEvE4typeEPT_S5_.has_recursion, 0
	.set _Z26warp_inclusive_scan_kernelI6__halfLj128ELj32EENSt9enable_ifIXsr10test_utilsE35device_test_enabled_for_warp_size_vIXT1_EEEvE4typeEPT_S5_.has_indirect_call, 0
	.section	.AMDGPU.csdata,"",@progbits
; Kernel info:
; codeLenInByte = 280
; TotalNumSgprs: 12
; NumVgprs: 7
; ScratchSize: 0
; MemoryBound: 0
; FloatMode: 240
; IeeeMode: 1
; LDSByteSize: 0 bytes/workgroup (compile time only)
; SGPRBlocks: 1
; VGPRBlocks: 1
; NumSGPRsForWavesPerEU: 12
; NumVGPRsForWavesPerEU: 7
; Occupancy: 10
; WaveLimiterHint : 0
; COMPUTE_PGM_RSRC2:SCRATCH_EN: 0
; COMPUTE_PGM_RSRC2:USER_SGPR: 6
; COMPUTE_PGM_RSRC2:TRAP_HANDLER: 0
; COMPUTE_PGM_RSRC2:TGID_X_EN: 1
; COMPUTE_PGM_RSRC2:TGID_Y_EN: 0
; COMPUTE_PGM_RSRC2:TGID_Z_EN: 0
; COMPUTE_PGM_RSRC2:TIDIG_COMP_CNT: 0
	.section	.text._Z26warp_inclusive_scan_kernelI6__halfLj64ELj16EENSt9enable_ifIXsr10test_utilsE35device_test_enabled_for_warp_size_vIXT1_EEEvE4typeEPT_S5_,"axG",@progbits,_Z26warp_inclusive_scan_kernelI6__halfLj64ELj16EENSt9enable_ifIXsr10test_utilsE35device_test_enabled_for_warp_size_vIXT1_EEEvE4typeEPT_S5_,comdat
	.protected	_Z26warp_inclusive_scan_kernelI6__halfLj64ELj16EENSt9enable_ifIXsr10test_utilsE35device_test_enabled_for_warp_size_vIXT1_EEEvE4typeEPT_S5_ ; -- Begin function _Z26warp_inclusive_scan_kernelI6__halfLj64ELj16EENSt9enable_ifIXsr10test_utilsE35device_test_enabled_for_warp_size_vIXT1_EEEvE4typeEPT_S5_
	.globl	_Z26warp_inclusive_scan_kernelI6__halfLj64ELj16EENSt9enable_ifIXsr10test_utilsE35device_test_enabled_for_warp_size_vIXT1_EEEvE4typeEPT_S5_
	.p2align	8
	.type	_Z26warp_inclusive_scan_kernelI6__halfLj64ELj16EENSt9enable_ifIXsr10test_utilsE35device_test_enabled_for_warp_size_vIXT1_EEEvE4typeEPT_S5_,@function
_Z26warp_inclusive_scan_kernelI6__halfLj64ELj16EENSt9enable_ifIXsr10test_utilsE35device_test_enabled_for_warp_size_vIXT1_EEEvE4typeEPT_S5_: ; @_Z26warp_inclusive_scan_kernelI6__halfLj64ELj16EENSt9enable_ifIXsr10test_utilsE35device_test_enabled_for_warp_size_vIXT1_EEEvE4typeEPT_S5_
; %bb.0:
	s_load_dword s7, s[4:5], 0x1c
	s_load_dwordx4 s[0:3], s[4:5], 0x0
	v_mov_b32_e32 v1, 0
	s_waitcnt lgkmcnt(0)
	s_and_b32 s4, s7, 0xffff
	s_mul_i32 s6, s6, s4
	v_add_u32_e32 v0, s6, v0
	v_lshlrev_b64 v[0:1], 1, v[0:1]
	v_mov_b32_e32 v3, s1
	v_add_co_u32_e32 v2, vcc, s0, v0
	v_addc_co_u32_e32 v3, vcc, v3, v1, vcc
	global_load_ushort v2, v[2:3], off
	v_mbcnt_lo_u32_b32 v3, -1, 0
	v_mbcnt_hi_u32_b32 v3, -1, v3
	v_and_b32_e32 v3, 15, v3
	v_cmp_eq_u32_e32 vcc, 0, v3
	v_mov_b32_e32 v4, s3
	s_waitcnt vmcnt(0)
	v_and_b32_e32 v5, 0xffff, v2
	s_nop 1
	v_mov_b32_dpp v5, v5 row_shr:1 row_mask:0xf bank_mask:0xf
	v_add_f16_e32 v5, v2, v5
	v_cndmask_b32_e32 v2, v5, v2, vcc
	v_and_b32_e32 v5, 0xffff, v2
	v_cmp_lt_u32_e32 vcc, 1, v3
	s_nop 0
	v_mov_b32_dpp v5, v5 row_shr:2 row_mask:0xf bank_mask:0xf
	v_add_f16_e32 v5, v2, v5
	v_cndmask_b32_e32 v2, v2, v5, vcc
	v_and_b32_e32 v5, 0xffff, v2
	v_cmp_lt_u32_e32 vcc, 3, v3
	s_nop 0
	v_mov_b32_dpp v5, v5 row_shr:4 row_mask:0xf bank_mask:0xf
	v_add_f16_e32 v5, v2, v5
	v_cndmask_b32_e32 v2, v2, v5, vcc
	v_and_b32_e32 v5, 0xffff, v2
	v_cmp_lt_u32_e32 vcc, 7, v3
	s_nop 0
	v_mov_b32_dpp v5, v5 row_shr:8 row_mask:0xf bank_mask:0xf
	v_add_f16_e32 v5, v2, v5
	v_cndmask_b32_e32 v2, v2, v5, vcc
	v_add_co_u32_e32 v0, vcc, s2, v0
	v_addc_co_u32_e32 v1, vcc, v4, v1, vcc
	global_store_short v[0:1], v2, off
	s_endpgm
	.section	.rodata,"a",@progbits
	.p2align	6, 0x0
	.amdhsa_kernel _Z26warp_inclusive_scan_kernelI6__halfLj64ELj16EENSt9enable_ifIXsr10test_utilsE35device_test_enabled_for_warp_size_vIXT1_EEEvE4typeEPT_S5_
		.amdhsa_group_segment_fixed_size 0
		.amdhsa_private_segment_fixed_size 0
		.amdhsa_kernarg_size 272
		.amdhsa_user_sgpr_count 6
		.amdhsa_user_sgpr_private_segment_buffer 1
		.amdhsa_user_sgpr_dispatch_ptr 0
		.amdhsa_user_sgpr_queue_ptr 0
		.amdhsa_user_sgpr_kernarg_segment_ptr 1
		.amdhsa_user_sgpr_dispatch_id 0
		.amdhsa_user_sgpr_flat_scratch_init 0
		.amdhsa_user_sgpr_private_segment_size 0
		.amdhsa_uses_dynamic_stack 0
		.amdhsa_system_sgpr_private_segment_wavefront_offset 0
		.amdhsa_system_sgpr_workgroup_id_x 1
		.amdhsa_system_sgpr_workgroup_id_y 0
		.amdhsa_system_sgpr_workgroup_id_z 0
		.amdhsa_system_sgpr_workgroup_info 0
		.amdhsa_system_vgpr_workitem_id 0
		.amdhsa_next_free_vgpr 6
		.amdhsa_next_free_sgpr 8
		.amdhsa_reserve_vcc 1
		.amdhsa_reserve_flat_scratch 0
		.amdhsa_float_round_mode_32 0
		.amdhsa_float_round_mode_16_64 0
		.amdhsa_float_denorm_mode_32 3
		.amdhsa_float_denorm_mode_16_64 3
		.amdhsa_dx10_clamp 1
		.amdhsa_ieee_mode 1
		.amdhsa_fp16_overflow 0
		.amdhsa_exception_fp_ieee_invalid_op 0
		.amdhsa_exception_fp_denorm_src 0
		.amdhsa_exception_fp_ieee_div_zero 0
		.amdhsa_exception_fp_ieee_overflow 0
		.amdhsa_exception_fp_ieee_underflow 0
		.amdhsa_exception_fp_ieee_inexact 0
		.amdhsa_exception_int_div_zero 0
	.end_amdhsa_kernel
	.section	.text._Z26warp_inclusive_scan_kernelI6__halfLj64ELj16EENSt9enable_ifIXsr10test_utilsE35device_test_enabled_for_warp_size_vIXT1_EEEvE4typeEPT_S5_,"axG",@progbits,_Z26warp_inclusive_scan_kernelI6__halfLj64ELj16EENSt9enable_ifIXsr10test_utilsE35device_test_enabled_for_warp_size_vIXT1_EEEvE4typeEPT_S5_,comdat
.Lfunc_end31:
	.size	_Z26warp_inclusive_scan_kernelI6__halfLj64ELj16EENSt9enable_ifIXsr10test_utilsE35device_test_enabled_for_warp_size_vIXT1_EEEvE4typeEPT_S5_, .Lfunc_end31-_Z26warp_inclusive_scan_kernelI6__halfLj64ELj16EENSt9enable_ifIXsr10test_utilsE35device_test_enabled_for_warp_size_vIXT1_EEEvE4typeEPT_S5_
                                        ; -- End function
	.set _Z26warp_inclusive_scan_kernelI6__halfLj64ELj16EENSt9enable_ifIXsr10test_utilsE35device_test_enabled_for_warp_size_vIXT1_EEEvE4typeEPT_S5_.num_vgpr, 6
	.set _Z26warp_inclusive_scan_kernelI6__halfLj64ELj16EENSt9enable_ifIXsr10test_utilsE35device_test_enabled_for_warp_size_vIXT1_EEEvE4typeEPT_S5_.num_agpr, 0
	.set _Z26warp_inclusive_scan_kernelI6__halfLj64ELj16EENSt9enable_ifIXsr10test_utilsE35device_test_enabled_for_warp_size_vIXT1_EEEvE4typeEPT_S5_.numbered_sgpr, 8
	.set _Z26warp_inclusive_scan_kernelI6__halfLj64ELj16EENSt9enable_ifIXsr10test_utilsE35device_test_enabled_for_warp_size_vIXT1_EEEvE4typeEPT_S5_.num_named_barrier, 0
	.set _Z26warp_inclusive_scan_kernelI6__halfLj64ELj16EENSt9enable_ifIXsr10test_utilsE35device_test_enabled_for_warp_size_vIXT1_EEEvE4typeEPT_S5_.private_seg_size, 0
	.set _Z26warp_inclusive_scan_kernelI6__halfLj64ELj16EENSt9enable_ifIXsr10test_utilsE35device_test_enabled_for_warp_size_vIXT1_EEEvE4typeEPT_S5_.uses_vcc, 1
	.set _Z26warp_inclusive_scan_kernelI6__halfLj64ELj16EENSt9enable_ifIXsr10test_utilsE35device_test_enabled_for_warp_size_vIXT1_EEEvE4typeEPT_S5_.uses_flat_scratch, 0
	.set _Z26warp_inclusive_scan_kernelI6__halfLj64ELj16EENSt9enable_ifIXsr10test_utilsE35device_test_enabled_for_warp_size_vIXT1_EEEvE4typeEPT_S5_.has_dyn_sized_stack, 0
	.set _Z26warp_inclusive_scan_kernelI6__halfLj64ELj16EENSt9enable_ifIXsr10test_utilsE35device_test_enabled_for_warp_size_vIXT1_EEEvE4typeEPT_S5_.has_recursion, 0
	.set _Z26warp_inclusive_scan_kernelI6__halfLj64ELj16EENSt9enable_ifIXsr10test_utilsE35device_test_enabled_for_warp_size_vIXT1_EEEvE4typeEPT_S5_.has_indirect_call, 0
	.section	.AMDGPU.csdata,"",@progbits
; Kernel info:
; codeLenInByte = 244
; TotalNumSgprs: 12
; NumVgprs: 6
; ScratchSize: 0
; MemoryBound: 0
; FloatMode: 240
; IeeeMode: 1
; LDSByteSize: 0 bytes/workgroup (compile time only)
; SGPRBlocks: 1
; VGPRBlocks: 1
; NumSGPRsForWavesPerEU: 12
; NumVGPRsForWavesPerEU: 6
; Occupancy: 10
; WaveLimiterHint : 0
; COMPUTE_PGM_RSRC2:SCRATCH_EN: 0
; COMPUTE_PGM_RSRC2:USER_SGPR: 6
; COMPUTE_PGM_RSRC2:TRAP_HANDLER: 0
; COMPUTE_PGM_RSRC2:TGID_X_EN: 1
; COMPUTE_PGM_RSRC2:TGID_Y_EN: 0
; COMPUTE_PGM_RSRC2:TGID_Z_EN: 0
; COMPUTE_PGM_RSRC2:TIDIG_COMP_CNT: 0
	.section	.text._Z26warp_inclusive_scan_kernelI6__halfLj32ELj8EENSt9enable_ifIXsr10test_utilsE35device_test_enabled_for_warp_size_vIXT1_EEEvE4typeEPT_S5_,"axG",@progbits,_Z26warp_inclusive_scan_kernelI6__halfLj32ELj8EENSt9enable_ifIXsr10test_utilsE35device_test_enabled_for_warp_size_vIXT1_EEEvE4typeEPT_S5_,comdat
	.protected	_Z26warp_inclusive_scan_kernelI6__halfLj32ELj8EENSt9enable_ifIXsr10test_utilsE35device_test_enabled_for_warp_size_vIXT1_EEEvE4typeEPT_S5_ ; -- Begin function _Z26warp_inclusive_scan_kernelI6__halfLj32ELj8EENSt9enable_ifIXsr10test_utilsE35device_test_enabled_for_warp_size_vIXT1_EEEvE4typeEPT_S5_
	.globl	_Z26warp_inclusive_scan_kernelI6__halfLj32ELj8EENSt9enable_ifIXsr10test_utilsE35device_test_enabled_for_warp_size_vIXT1_EEEvE4typeEPT_S5_
	.p2align	8
	.type	_Z26warp_inclusive_scan_kernelI6__halfLj32ELj8EENSt9enable_ifIXsr10test_utilsE35device_test_enabled_for_warp_size_vIXT1_EEEvE4typeEPT_S5_,@function
_Z26warp_inclusive_scan_kernelI6__halfLj32ELj8EENSt9enable_ifIXsr10test_utilsE35device_test_enabled_for_warp_size_vIXT1_EEEvE4typeEPT_S5_: ; @_Z26warp_inclusive_scan_kernelI6__halfLj32ELj8EENSt9enable_ifIXsr10test_utilsE35device_test_enabled_for_warp_size_vIXT1_EEEvE4typeEPT_S5_
; %bb.0:
	s_load_dword s7, s[4:5], 0x1c
	s_load_dwordx4 s[0:3], s[4:5], 0x0
	v_mov_b32_e32 v1, 0
	s_waitcnt lgkmcnt(0)
	s_and_b32 s4, s7, 0xffff
	s_mul_i32 s6, s6, s4
	v_add_u32_e32 v0, s6, v0
	v_lshlrev_b64 v[0:1], 1, v[0:1]
	v_mov_b32_e32 v3, s1
	v_add_co_u32_e32 v2, vcc, s0, v0
	v_addc_co_u32_e32 v3, vcc, v3, v1, vcc
	global_load_ushort v2, v[2:3], off
	v_mbcnt_lo_u32_b32 v3, -1, 0
	v_mbcnt_hi_u32_b32 v3, -1, v3
	v_and_b32_e32 v3, 7, v3
	v_cmp_eq_u32_e32 vcc, 0, v3
	v_mov_b32_e32 v4, s3
	s_waitcnt vmcnt(0)
	v_and_b32_e32 v5, 0xffff, v2
	s_nop 1
	v_mov_b32_dpp v5, v5 row_shr:1 row_mask:0xf bank_mask:0xf
	v_add_f16_e32 v5, v2, v5
	v_cndmask_b32_e32 v2, v5, v2, vcc
	v_and_b32_e32 v5, 0xffff, v2
	v_cmp_lt_u32_e32 vcc, 1, v3
	s_nop 0
	v_mov_b32_dpp v5, v5 row_shr:2 row_mask:0xf bank_mask:0xf
	v_add_f16_e32 v5, v2, v5
	v_cndmask_b32_e32 v2, v2, v5, vcc
	v_and_b32_e32 v5, 0xffff, v2
	v_cmp_lt_u32_e32 vcc, 3, v3
	s_nop 0
	v_mov_b32_dpp v5, v5 row_shr:4 row_mask:0xf bank_mask:0xf
	v_add_f16_e32 v5, v2, v5
	v_cndmask_b32_e32 v2, v2, v5, vcc
	v_add_co_u32_e32 v0, vcc, s2, v0
	v_addc_co_u32_e32 v1, vcc, v4, v1, vcc
	global_store_short v[0:1], v2, off
	s_endpgm
	.section	.rodata,"a",@progbits
	.p2align	6, 0x0
	.amdhsa_kernel _Z26warp_inclusive_scan_kernelI6__halfLj32ELj8EENSt9enable_ifIXsr10test_utilsE35device_test_enabled_for_warp_size_vIXT1_EEEvE4typeEPT_S5_
		.amdhsa_group_segment_fixed_size 0
		.amdhsa_private_segment_fixed_size 0
		.amdhsa_kernarg_size 272
		.amdhsa_user_sgpr_count 6
		.amdhsa_user_sgpr_private_segment_buffer 1
		.amdhsa_user_sgpr_dispatch_ptr 0
		.amdhsa_user_sgpr_queue_ptr 0
		.amdhsa_user_sgpr_kernarg_segment_ptr 1
		.amdhsa_user_sgpr_dispatch_id 0
		.amdhsa_user_sgpr_flat_scratch_init 0
		.amdhsa_user_sgpr_private_segment_size 0
		.amdhsa_uses_dynamic_stack 0
		.amdhsa_system_sgpr_private_segment_wavefront_offset 0
		.amdhsa_system_sgpr_workgroup_id_x 1
		.amdhsa_system_sgpr_workgroup_id_y 0
		.amdhsa_system_sgpr_workgroup_id_z 0
		.amdhsa_system_sgpr_workgroup_info 0
		.amdhsa_system_vgpr_workitem_id 0
		.amdhsa_next_free_vgpr 6
		.amdhsa_next_free_sgpr 8
		.amdhsa_reserve_vcc 1
		.amdhsa_reserve_flat_scratch 0
		.amdhsa_float_round_mode_32 0
		.amdhsa_float_round_mode_16_64 0
		.amdhsa_float_denorm_mode_32 3
		.amdhsa_float_denorm_mode_16_64 3
		.amdhsa_dx10_clamp 1
		.amdhsa_ieee_mode 1
		.amdhsa_fp16_overflow 0
		.amdhsa_exception_fp_ieee_invalid_op 0
		.amdhsa_exception_fp_denorm_src 0
		.amdhsa_exception_fp_ieee_div_zero 0
		.amdhsa_exception_fp_ieee_overflow 0
		.amdhsa_exception_fp_ieee_underflow 0
		.amdhsa_exception_fp_ieee_inexact 0
		.amdhsa_exception_int_div_zero 0
	.end_amdhsa_kernel
	.section	.text._Z26warp_inclusive_scan_kernelI6__halfLj32ELj8EENSt9enable_ifIXsr10test_utilsE35device_test_enabled_for_warp_size_vIXT1_EEEvE4typeEPT_S5_,"axG",@progbits,_Z26warp_inclusive_scan_kernelI6__halfLj32ELj8EENSt9enable_ifIXsr10test_utilsE35device_test_enabled_for_warp_size_vIXT1_EEEvE4typeEPT_S5_,comdat
.Lfunc_end32:
	.size	_Z26warp_inclusive_scan_kernelI6__halfLj32ELj8EENSt9enable_ifIXsr10test_utilsE35device_test_enabled_for_warp_size_vIXT1_EEEvE4typeEPT_S5_, .Lfunc_end32-_Z26warp_inclusive_scan_kernelI6__halfLj32ELj8EENSt9enable_ifIXsr10test_utilsE35device_test_enabled_for_warp_size_vIXT1_EEEvE4typeEPT_S5_
                                        ; -- End function
	.set _Z26warp_inclusive_scan_kernelI6__halfLj32ELj8EENSt9enable_ifIXsr10test_utilsE35device_test_enabled_for_warp_size_vIXT1_EEEvE4typeEPT_S5_.num_vgpr, 6
	.set _Z26warp_inclusive_scan_kernelI6__halfLj32ELj8EENSt9enable_ifIXsr10test_utilsE35device_test_enabled_for_warp_size_vIXT1_EEEvE4typeEPT_S5_.num_agpr, 0
	.set _Z26warp_inclusive_scan_kernelI6__halfLj32ELj8EENSt9enable_ifIXsr10test_utilsE35device_test_enabled_for_warp_size_vIXT1_EEEvE4typeEPT_S5_.numbered_sgpr, 8
	.set _Z26warp_inclusive_scan_kernelI6__halfLj32ELj8EENSt9enable_ifIXsr10test_utilsE35device_test_enabled_for_warp_size_vIXT1_EEEvE4typeEPT_S5_.num_named_barrier, 0
	.set _Z26warp_inclusive_scan_kernelI6__halfLj32ELj8EENSt9enable_ifIXsr10test_utilsE35device_test_enabled_for_warp_size_vIXT1_EEEvE4typeEPT_S5_.private_seg_size, 0
	.set _Z26warp_inclusive_scan_kernelI6__halfLj32ELj8EENSt9enable_ifIXsr10test_utilsE35device_test_enabled_for_warp_size_vIXT1_EEEvE4typeEPT_S5_.uses_vcc, 1
	.set _Z26warp_inclusive_scan_kernelI6__halfLj32ELj8EENSt9enable_ifIXsr10test_utilsE35device_test_enabled_for_warp_size_vIXT1_EEEvE4typeEPT_S5_.uses_flat_scratch, 0
	.set _Z26warp_inclusive_scan_kernelI6__halfLj32ELj8EENSt9enable_ifIXsr10test_utilsE35device_test_enabled_for_warp_size_vIXT1_EEEvE4typeEPT_S5_.has_dyn_sized_stack, 0
	.set _Z26warp_inclusive_scan_kernelI6__halfLj32ELj8EENSt9enable_ifIXsr10test_utilsE35device_test_enabled_for_warp_size_vIXT1_EEEvE4typeEPT_S5_.has_recursion, 0
	.set _Z26warp_inclusive_scan_kernelI6__halfLj32ELj8EENSt9enable_ifIXsr10test_utilsE35device_test_enabled_for_warp_size_vIXT1_EEEvE4typeEPT_S5_.has_indirect_call, 0
	.section	.AMDGPU.csdata,"",@progbits
; Kernel info:
; codeLenInByte = 212
; TotalNumSgprs: 12
; NumVgprs: 6
; ScratchSize: 0
; MemoryBound: 0
; FloatMode: 240
; IeeeMode: 1
; LDSByteSize: 0 bytes/workgroup (compile time only)
; SGPRBlocks: 1
; VGPRBlocks: 1
; NumSGPRsForWavesPerEU: 12
; NumVGPRsForWavesPerEU: 6
; Occupancy: 10
; WaveLimiterHint : 0
; COMPUTE_PGM_RSRC2:SCRATCH_EN: 0
; COMPUTE_PGM_RSRC2:USER_SGPR: 6
; COMPUTE_PGM_RSRC2:TRAP_HANDLER: 0
; COMPUTE_PGM_RSRC2:TGID_X_EN: 1
; COMPUTE_PGM_RSRC2:TGID_Y_EN: 0
; COMPUTE_PGM_RSRC2:TGID_Z_EN: 0
; COMPUTE_PGM_RSRC2:TIDIG_COMP_CNT: 0
	.section	.text._Z26warp_inclusive_scan_kernelI6__halfLj64ELj8EENSt9enable_ifIXsr10test_utilsE35device_test_enabled_for_warp_size_vIXT1_EEEvE4typeEPT_S5_,"axG",@progbits,_Z26warp_inclusive_scan_kernelI6__halfLj64ELj8EENSt9enable_ifIXsr10test_utilsE35device_test_enabled_for_warp_size_vIXT1_EEEvE4typeEPT_S5_,comdat
	.protected	_Z26warp_inclusive_scan_kernelI6__halfLj64ELj8EENSt9enable_ifIXsr10test_utilsE35device_test_enabled_for_warp_size_vIXT1_EEEvE4typeEPT_S5_ ; -- Begin function _Z26warp_inclusive_scan_kernelI6__halfLj64ELj8EENSt9enable_ifIXsr10test_utilsE35device_test_enabled_for_warp_size_vIXT1_EEEvE4typeEPT_S5_
	.globl	_Z26warp_inclusive_scan_kernelI6__halfLj64ELj8EENSt9enable_ifIXsr10test_utilsE35device_test_enabled_for_warp_size_vIXT1_EEEvE4typeEPT_S5_
	.p2align	8
	.type	_Z26warp_inclusive_scan_kernelI6__halfLj64ELj8EENSt9enable_ifIXsr10test_utilsE35device_test_enabled_for_warp_size_vIXT1_EEEvE4typeEPT_S5_,@function
_Z26warp_inclusive_scan_kernelI6__halfLj64ELj8EENSt9enable_ifIXsr10test_utilsE35device_test_enabled_for_warp_size_vIXT1_EEEvE4typeEPT_S5_: ; @_Z26warp_inclusive_scan_kernelI6__halfLj64ELj8EENSt9enable_ifIXsr10test_utilsE35device_test_enabled_for_warp_size_vIXT1_EEEvE4typeEPT_S5_
; %bb.0:
	s_load_dword s7, s[4:5], 0x1c
	s_load_dwordx4 s[0:3], s[4:5], 0x0
	v_mov_b32_e32 v1, 0
	s_waitcnt lgkmcnt(0)
	s_and_b32 s4, s7, 0xffff
	s_mul_i32 s6, s6, s4
	v_add_u32_e32 v0, s6, v0
	v_lshlrev_b64 v[0:1], 1, v[0:1]
	v_mov_b32_e32 v3, s1
	v_add_co_u32_e32 v2, vcc, s0, v0
	v_addc_co_u32_e32 v3, vcc, v3, v1, vcc
	global_load_ushort v2, v[2:3], off
	v_mbcnt_lo_u32_b32 v3, -1, 0
	v_mbcnt_hi_u32_b32 v3, -1, v3
	v_and_b32_e32 v3, 7, v3
	v_cmp_eq_u32_e32 vcc, 0, v3
	v_mov_b32_e32 v4, s3
	s_waitcnt vmcnt(0)
	v_and_b32_e32 v5, 0xffff, v2
	s_nop 1
	v_mov_b32_dpp v5, v5 row_shr:1 row_mask:0xf bank_mask:0xf
	v_add_f16_e32 v5, v2, v5
	v_cndmask_b32_e32 v2, v5, v2, vcc
	v_and_b32_e32 v5, 0xffff, v2
	v_cmp_lt_u32_e32 vcc, 1, v3
	s_nop 0
	v_mov_b32_dpp v5, v5 row_shr:2 row_mask:0xf bank_mask:0xf
	v_add_f16_e32 v5, v2, v5
	v_cndmask_b32_e32 v2, v2, v5, vcc
	v_and_b32_e32 v5, 0xffff, v2
	v_cmp_lt_u32_e32 vcc, 3, v3
	s_nop 0
	v_mov_b32_dpp v5, v5 row_shr:4 row_mask:0xf bank_mask:0xf
	v_add_f16_e32 v5, v2, v5
	v_cndmask_b32_e32 v2, v2, v5, vcc
	v_add_co_u32_e32 v0, vcc, s2, v0
	v_addc_co_u32_e32 v1, vcc, v4, v1, vcc
	global_store_short v[0:1], v2, off
	s_endpgm
	.section	.rodata,"a",@progbits
	.p2align	6, 0x0
	.amdhsa_kernel _Z26warp_inclusive_scan_kernelI6__halfLj64ELj8EENSt9enable_ifIXsr10test_utilsE35device_test_enabled_for_warp_size_vIXT1_EEEvE4typeEPT_S5_
		.amdhsa_group_segment_fixed_size 0
		.amdhsa_private_segment_fixed_size 0
		.amdhsa_kernarg_size 272
		.amdhsa_user_sgpr_count 6
		.amdhsa_user_sgpr_private_segment_buffer 1
		.amdhsa_user_sgpr_dispatch_ptr 0
		.amdhsa_user_sgpr_queue_ptr 0
		.amdhsa_user_sgpr_kernarg_segment_ptr 1
		.amdhsa_user_sgpr_dispatch_id 0
		.amdhsa_user_sgpr_flat_scratch_init 0
		.amdhsa_user_sgpr_private_segment_size 0
		.amdhsa_uses_dynamic_stack 0
		.amdhsa_system_sgpr_private_segment_wavefront_offset 0
		.amdhsa_system_sgpr_workgroup_id_x 1
		.amdhsa_system_sgpr_workgroup_id_y 0
		.amdhsa_system_sgpr_workgroup_id_z 0
		.amdhsa_system_sgpr_workgroup_info 0
		.amdhsa_system_vgpr_workitem_id 0
		.amdhsa_next_free_vgpr 6
		.amdhsa_next_free_sgpr 8
		.amdhsa_reserve_vcc 1
		.amdhsa_reserve_flat_scratch 0
		.amdhsa_float_round_mode_32 0
		.amdhsa_float_round_mode_16_64 0
		.amdhsa_float_denorm_mode_32 3
		.amdhsa_float_denorm_mode_16_64 3
		.amdhsa_dx10_clamp 1
		.amdhsa_ieee_mode 1
		.amdhsa_fp16_overflow 0
		.amdhsa_exception_fp_ieee_invalid_op 0
		.amdhsa_exception_fp_denorm_src 0
		.amdhsa_exception_fp_ieee_div_zero 0
		.amdhsa_exception_fp_ieee_overflow 0
		.amdhsa_exception_fp_ieee_underflow 0
		.amdhsa_exception_fp_ieee_inexact 0
		.amdhsa_exception_int_div_zero 0
	.end_amdhsa_kernel
	.section	.text._Z26warp_inclusive_scan_kernelI6__halfLj64ELj8EENSt9enable_ifIXsr10test_utilsE35device_test_enabled_for_warp_size_vIXT1_EEEvE4typeEPT_S5_,"axG",@progbits,_Z26warp_inclusive_scan_kernelI6__halfLj64ELj8EENSt9enable_ifIXsr10test_utilsE35device_test_enabled_for_warp_size_vIXT1_EEEvE4typeEPT_S5_,comdat
.Lfunc_end33:
	.size	_Z26warp_inclusive_scan_kernelI6__halfLj64ELj8EENSt9enable_ifIXsr10test_utilsE35device_test_enabled_for_warp_size_vIXT1_EEEvE4typeEPT_S5_, .Lfunc_end33-_Z26warp_inclusive_scan_kernelI6__halfLj64ELj8EENSt9enable_ifIXsr10test_utilsE35device_test_enabled_for_warp_size_vIXT1_EEEvE4typeEPT_S5_
                                        ; -- End function
	.set _Z26warp_inclusive_scan_kernelI6__halfLj64ELj8EENSt9enable_ifIXsr10test_utilsE35device_test_enabled_for_warp_size_vIXT1_EEEvE4typeEPT_S5_.num_vgpr, 6
	.set _Z26warp_inclusive_scan_kernelI6__halfLj64ELj8EENSt9enable_ifIXsr10test_utilsE35device_test_enabled_for_warp_size_vIXT1_EEEvE4typeEPT_S5_.num_agpr, 0
	.set _Z26warp_inclusive_scan_kernelI6__halfLj64ELj8EENSt9enable_ifIXsr10test_utilsE35device_test_enabled_for_warp_size_vIXT1_EEEvE4typeEPT_S5_.numbered_sgpr, 8
	.set _Z26warp_inclusive_scan_kernelI6__halfLj64ELj8EENSt9enable_ifIXsr10test_utilsE35device_test_enabled_for_warp_size_vIXT1_EEEvE4typeEPT_S5_.num_named_barrier, 0
	.set _Z26warp_inclusive_scan_kernelI6__halfLj64ELj8EENSt9enable_ifIXsr10test_utilsE35device_test_enabled_for_warp_size_vIXT1_EEEvE4typeEPT_S5_.private_seg_size, 0
	.set _Z26warp_inclusive_scan_kernelI6__halfLj64ELj8EENSt9enable_ifIXsr10test_utilsE35device_test_enabled_for_warp_size_vIXT1_EEEvE4typeEPT_S5_.uses_vcc, 1
	.set _Z26warp_inclusive_scan_kernelI6__halfLj64ELj8EENSt9enable_ifIXsr10test_utilsE35device_test_enabled_for_warp_size_vIXT1_EEEvE4typeEPT_S5_.uses_flat_scratch, 0
	.set _Z26warp_inclusive_scan_kernelI6__halfLj64ELj8EENSt9enable_ifIXsr10test_utilsE35device_test_enabled_for_warp_size_vIXT1_EEEvE4typeEPT_S5_.has_dyn_sized_stack, 0
	.set _Z26warp_inclusive_scan_kernelI6__halfLj64ELj8EENSt9enable_ifIXsr10test_utilsE35device_test_enabled_for_warp_size_vIXT1_EEEvE4typeEPT_S5_.has_recursion, 0
	.set _Z26warp_inclusive_scan_kernelI6__halfLj64ELj8EENSt9enable_ifIXsr10test_utilsE35device_test_enabled_for_warp_size_vIXT1_EEEvE4typeEPT_S5_.has_indirect_call, 0
	.section	.AMDGPU.csdata,"",@progbits
; Kernel info:
; codeLenInByte = 212
; TotalNumSgprs: 12
; NumVgprs: 6
; ScratchSize: 0
; MemoryBound: 0
; FloatMode: 240
; IeeeMode: 1
; LDSByteSize: 0 bytes/workgroup (compile time only)
; SGPRBlocks: 1
; VGPRBlocks: 1
; NumSGPRsForWavesPerEU: 12
; NumVGPRsForWavesPerEU: 6
; Occupancy: 10
; WaveLimiterHint : 0
; COMPUTE_PGM_RSRC2:SCRATCH_EN: 0
; COMPUTE_PGM_RSRC2:USER_SGPR: 6
; COMPUTE_PGM_RSRC2:TRAP_HANDLER: 0
; COMPUTE_PGM_RSRC2:TGID_X_EN: 1
; COMPUTE_PGM_RSRC2:TGID_Y_EN: 0
; COMPUTE_PGM_RSRC2:TGID_Z_EN: 0
; COMPUTE_PGM_RSRC2:TIDIG_COMP_CNT: 0
	.section	.text._Z26warp_inclusive_scan_kernelI6__halfLj32ELj4EENSt9enable_ifIXsr10test_utilsE35device_test_enabled_for_warp_size_vIXT1_EEEvE4typeEPT_S5_,"axG",@progbits,_Z26warp_inclusive_scan_kernelI6__halfLj32ELj4EENSt9enable_ifIXsr10test_utilsE35device_test_enabled_for_warp_size_vIXT1_EEEvE4typeEPT_S5_,comdat
	.protected	_Z26warp_inclusive_scan_kernelI6__halfLj32ELj4EENSt9enable_ifIXsr10test_utilsE35device_test_enabled_for_warp_size_vIXT1_EEEvE4typeEPT_S5_ ; -- Begin function _Z26warp_inclusive_scan_kernelI6__halfLj32ELj4EENSt9enable_ifIXsr10test_utilsE35device_test_enabled_for_warp_size_vIXT1_EEEvE4typeEPT_S5_
	.globl	_Z26warp_inclusive_scan_kernelI6__halfLj32ELj4EENSt9enable_ifIXsr10test_utilsE35device_test_enabled_for_warp_size_vIXT1_EEEvE4typeEPT_S5_
	.p2align	8
	.type	_Z26warp_inclusive_scan_kernelI6__halfLj32ELj4EENSt9enable_ifIXsr10test_utilsE35device_test_enabled_for_warp_size_vIXT1_EEEvE4typeEPT_S5_,@function
_Z26warp_inclusive_scan_kernelI6__halfLj32ELj4EENSt9enable_ifIXsr10test_utilsE35device_test_enabled_for_warp_size_vIXT1_EEEvE4typeEPT_S5_: ; @_Z26warp_inclusive_scan_kernelI6__halfLj32ELj4EENSt9enable_ifIXsr10test_utilsE35device_test_enabled_for_warp_size_vIXT1_EEEvE4typeEPT_S5_
; %bb.0:
	s_load_dword s7, s[4:5], 0x1c
	s_load_dwordx4 s[0:3], s[4:5], 0x0
	v_mov_b32_e32 v1, 0
	s_waitcnt lgkmcnt(0)
	s_and_b32 s4, s7, 0xffff
	s_mul_i32 s6, s6, s4
	v_add_u32_e32 v0, s6, v0
	v_lshlrev_b64 v[0:1], 1, v[0:1]
	v_mov_b32_e32 v3, s1
	v_add_co_u32_e32 v2, vcc, s0, v0
	v_addc_co_u32_e32 v3, vcc, v3, v1, vcc
	global_load_ushort v2, v[2:3], off
	v_mbcnt_lo_u32_b32 v3, -1, 0
	v_mbcnt_hi_u32_b32 v3, -1, v3
	v_and_b32_e32 v3, 3, v3
	v_cmp_eq_u32_e32 vcc, 0, v3
	v_mov_b32_e32 v4, s3
	s_waitcnt vmcnt(0)
	v_and_b32_e32 v5, 0xffff, v2
	s_nop 1
	v_mov_b32_dpp v5, v5 row_shr:1 row_mask:0xf bank_mask:0xf
	v_add_f16_e32 v5, v2, v5
	v_cndmask_b32_e32 v2, v5, v2, vcc
	v_and_b32_e32 v5, 0xffff, v2
	v_cmp_lt_u32_e32 vcc, 1, v3
	s_nop 0
	v_mov_b32_dpp v5, v5 row_shr:2 row_mask:0xf bank_mask:0xf
	v_add_f16_e32 v5, v2, v5
	v_cndmask_b32_e32 v2, v2, v5, vcc
	v_add_co_u32_e32 v0, vcc, s2, v0
	v_addc_co_u32_e32 v1, vcc, v4, v1, vcc
	global_store_short v[0:1], v2, off
	s_endpgm
	.section	.rodata,"a",@progbits
	.p2align	6, 0x0
	.amdhsa_kernel _Z26warp_inclusive_scan_kernelI6__halfLj32ELj4EENSt9enable_ifIXsr10test_utilsE35device_test_enabled_for_warp_size_vIXT1_EEEvE4typeEPT_S5_
		.amdhsa_group_segment_fixed_size 0
		.amdhsa_private_segment_fixed_size 0
		.amdhsa_kernarg_size 272
		.amdhsa_user_sgpr_count 6
		.amdhsa_user_sgpr_private_segment_buffer 1
		.amdhsa_user_sgpr_dispatch_ptr 0
		.amdhsa_user_sgpr_queue_ptr 0
		.amdhsa_user_sgpr_kernarg_segment_ptr 1
		.amdhsa_user_sgpr_dispatch_id 0
		.amdhsa_user_sgpr_flat_scratch_init 0
		.amdhsa_user_sgpr_private_segment_size 0
		.amdhsa_uses_dynamic_stack 0
		.amdhsa_system_sgpr_private_segment_wavefront_offset 0
		.amdhsa_system_sgpr_workgroup_id_x 1
		.amdhsa_system_sgpr_workgroup_id_y 0
		.amdhsa_system_sgpr_workgroup_id_z 0
		.amdhsa_system_sgpr_workgroup_info 0
		.amdhsa_system_vgpr_workitem_id 0
		.amdhsa_next_free_vgpr 6
		.amdhsa_next_free_sgpr 8
		.amdhsa_reserve_vcc 1
		.amdhsa_reserve_flat_scratch 0
		.amdhsa_float_round_mode_32 0
		.amdhsa_float_round_mode_16_64 0
		.amdhsa_float_denorm_mode_32 3
		.amdhsa_float_denorm_mode_16_64 3
		.amdhsa_dx10_clamp 1
		.amdhsa_ieee_mode 1
		.amdhsa_fp16_overflow 0
		.amdhsa_exception_fp_ieee_invalid_op 0
		.amdhsa_exception_fp_denorm_src 0
		.amdhsa_exception_fp_ieee_div_zero 0
		.amdhsa_exception_fp_ieee_overflow 0
		.amdhsa_exception_fp_ieee_underflow 0
		.amdhsa_exception_fp_ieee_inexact 0
		.amdhsa_exception_int_div_zero 0
	.end_amdhsa_kernel
	.section	.text._Z26warp_inclusive_scan_kernelI6__halfLj32ELj4EENSt9enable_ifIXsr10test_utilsE35device_test_enabled_for_warp_size_vIXT1_EEEvE4typeEPT_S5_,"axG",@progbits,_Z26warp_inclusive_scan_kernelI6__halfLj32ELj4EENSt9enable_ifIXsr10test_utilsE35device_test_enabled_for_warp_size_vIXT1_EEEvE4typeEPT_S5_,comdat
.Lfunc_end34:
	.size	_Z26warp_inclusive_scan_kernelI6__halfLj32ELj4EENSt9enable_ifIXsr10test_utilsE35device_test_enabled_for_warp_size_vIXT1_EEEvE4typeEPT_S5_, .Lfunc_end34-_Z26warp_inclusive_scan_kernelI6__halfLj32ELj4EENSt9enable_ifIXsr10test_utilsE35device_test_enabled_for_warp_size_vIXT1_EEEvE4typeEPT_S5_
                                        ; -- End function
	.set _Z26warp_inclusive_scan_kernelI6__halfLj32ELj4EENSt9enable_ifIXsr10test_utilsE35device_test_enabled_for_warp_size_vIXT1_EEEvE4typeEPT_S5_.num_vgpr, 6
	.set _Z26warp_inclusive_scan_kernelI6__halfLj32ELj4EENSt9enable_ifIXsr10test_utilsE35device_test_enabled_for_warp_size_vIXT1_EEEvE4typeEPT_S5_.num_agpr, 0
	.set _Z26warp_inclusive_scan_kernelI6__halfLj32ELj4EENSt9enable_ifIXsr10test_utilsE35device_test_enabled_for_warp_size_vIXT1_EEEvE4typeEPT_S5_.numbered_sgpr, 8
	.set _Z26warp_inclusive_scan_kernelI6__halfLj32ELj4EENSt9enable_ifIXsr10test_utilsE35device_test_enabled_for_warp_size_vIXT1_EEEvE4typeEPT_S5_.num_named_barrier, 0
	.set _Z26warp_inclusive_scan_kernelI6__halfLj32ELj4EENSt9enable_ifIXsr10test_utilsE35device_test_enabled_for_warp_size_vIXT1_EEEvE4typeEPT_S5_.private_seg_size, 0
	.set _Z26warp_inclusive_scan_kernelI6__halfLj32ELj4EENSt9enable_ifIXsr10test_utilsE35device_test_enabled_for_warp_size_vIXT1_EEEvE4typeEPT_S5_.uses_vcc, 1
	.set _Z26warp_inclusive_scan_kernelI6__halfLj32ELj4EENSt9enable_ifIXsr10test_utilsE35device_test_enabled_for_warp_size_vIXT1_EEEvE4typeEPT_S5_.uses_flat_scratch, 0
	.set _Z26warp_inclusive_scan_kernelI6__halfLj32ELj4EENSt9enable_ifIXsr10test_utilsE35device_test_enabled_for_warp_size_vIXT1_EEEvE4typeEPT_S5_.has_dyn_sized_stack, 0
	.set _Z26warp_inclusive_scan_kernelI6__halfLj32ELj4EENSt9enable_ifIXsr10test_utilsE35device_test_enabled_for_warp_size_vIXT1_EEEvE4typeEPT_S5_.has_recursion, 0
	.set _Z26warp_inclusive_scan_kernelI6__halfLj32ELj4EENSt9enable_ifIXsr10test_utilsE35device_test_enabled_for_warp_size_vIXT1_EEEvE4typeEPT_S5_.has_indirect_call, 0
	.section	.AMDGPU.csdata,"",@progbits
; Kernel info:
; codeLenInByte = 180
; TotalNumSgprs: 12
; NumVgprs: 6
; ScratchSize: 0
; MemoryBound: 0
; FloatMode: 240
; IeeeMode: 1
; LDSByteSize: 0 bytes/workgroup (compile time only)
; SGPRBlocks: 1
; VGPRBlocks: 1
; NumSGPRsForWavesPerEU: 12
; NumVGPRsForWavesPerEU: 6
; Occupancy: 10
; WaveLimiterHint : 0
; COMPUTE_PGM_RSRC2:SCRATCH_EN: 0
; COMPUTE_PGM_RSRC2:USER_SGPR: 6
; COMPUTE_PGM_RSRC2:TRAP_HANDLER: 0
; COMPUTE_PGM_RSRC2:TGID_X_EN: 1
; COMPUTE_PGM_RSRC2:TGID_Y_EN: 0
; COMPUTE_PGM_RSRC2:TGID_Z_EN: 0
; COMPUTE_PGM_RSRC2:TIDIG_COMP_CNT: 0
	.section	.text._Z26warp_inclusive_scan_kernelI6__halfLj64ELj4EENSt9enable_ifIXsr10test_utilsE35device_test_enabled_for_warp_size_vIXT1_EEEvE4typeEPT_S5_,"axG",@progbits,_Z26warp_inclusive_scan_kernelI6__halfLj64ELj4EENSt9enable_ifIXsr10test_utilsE35device_test_enabled_for_warp_size_vIXT1_EEEvE4typeEPT_S5_,comdat
	.protected	_Z26warp_inclusive_scan_kernelI6__halfLj64ELj4EENSt9enable_ifIXsr10test_utilsE35device_test_enabled_for_warp_size_vIXT1_EEEvE4typeEPT_S5_ ; -- Begin function _Z26warp_inclusive_scan_kernelI6__halfLj64ELj4EENSt9enable_ifIXsr10test_utilsE35device_test_enabled_for_warp_size_vIXT1_EEEvE4typeEPT_S5_
	.globl	_Z26warp_inclusive_scan_kernelI6__halfLj64ELj4EENSt9enable_ifIXsr10test_utilsE35device_test_enabled_for_warp_size_vIXT1_EEEvE4typeEPT_S5_
	.p2align	8
	.type	_Z26warp_inclusive_scan_kernelI6__halfLj64ELj4EENSt9enable_ifIXsr10test_utilsE35device_test_enabled_for_warp_size_vIXT1_EEEvE4typeEPT_S5_,@function
_Z26warp_inclusive_scan_kernelI6__halfLj64ELj4EENSt9enable_ifIXsr10test_utilsE35device_test_enabled_for_warp_size_vIXT1_EEEvE4typeEPT_S5_: ; @_Z26warp_inclusive_scan_kernelI6__halfLj64ELj4EENSt9enable_ifIXsr10test_utilsE35device_test_enabled_for_warp_size_vIXT1_EEEvE4typeEPT_S5_
; %bb.0:
	s_load_dword s7, s[4:5], 0x1c
	s_load_dwordx4 s[0:3], s[4:5], 0x0
	v_mov_b32_e32 v1, 0
	s_waitcnt lgkmcnt(0)
	s_and_b32 s4, s7, 0xffff
	s_mul_i32 s6, s6, s4
	v_add_u32_e32 v0, s6, v0
	v_lshlrev_b64 v[0:1], 1, v[0:1]
	v_mov_b32_e32 v3, s1
	v_add_co_u32_e32 v2, vcc, s0, v0
	v_addc_co_u32_e32 v3, vcc, v3, v1, vcc
	global_load_ushort v2, v[2:3], off
	v_mbcnt_lo_u32_b32 v3, -1, 0
	v_mbcnt_hi_u32_b32 v3, -1, v3
	v_and_b32_e32 v3, 3, v3
	v_cmp_eq_u32_e32 vcc, 0, v3
	v_mov_b32_e32 v4, s3
	s_waitcnt vmcnt(0)
	v_and_b32_e32 v5, 0xffff, v2
	s_nop 1
	v_mov_b32_dpp v5, v5 row_shr:1 row_mask:0xf bank_mask:0xf
	v_add_f16_e32 v5, v2, v5
	v_cndmask_b32_e32 v2, v5, v2, vcc
	v_and_b32_e32 v5, 0xffff, v2
	v_cmp_lt_u32_e32 vcc, 1, v3
	s_nop 0
	v_mov_b32_dpp v5, v5 row_shr:2 row_mask:0xf bank_mask:0xf
	v_add_f16_e32 v5, v2, v5
	v_cndmask_b32_e32 v2, v2, v5, vcc
	v_add_co_u32_e32 v0, vcc, s2, v0
	v_addc_co_u32_e32 v1, vcc, v4, v1, vcc
	global_store_short v[0:1], v2, off
	s_endpgm
	.section	.rodata,"a",@progbits
	.p2align	6, 0x0
	.amdhsa_kernel _Z26warp_inclusive_scan_kernelI6__halfLj64ELj4EENSt9enable_ifIXsr10test_utilsE35device_test_enabled_for_warp_size_vIXT1_EEEvE4typeEPT_S5_
		.amdhsa_group_segment_fixed_size 0
		.amdhsa_private_segment_fixed_size 0
		.amdhsa_kernarg_size 272
		.amdhsa_user_sgpr_count 6
		.amdhsa_user_sgpr_private_segment_buffer 1
		.amdhsa_user_sgpr_dispatch_ptr 0
		.amdhsa_user_sgpr_queue_ptr 0
		.amdhsa_user_sgpr_kernarg_segment_ptr 1
		.amdhsa_user_sgpr_dispatch_id 0
		.amdhsa_user_sgpr_flat_scratch_init 0
		.amdhsa_user_sgpr_private_segment_size 0
		.amdhsa_uses_dynamic_stack 0
		.amdhsa_system_sgpr_private_segment_wavefront_offset 0
		.amdhsa_system_sgpr_workgroup_id_x 1
		.amdhsa_system_sgpr_workgroup_id_y 0
		.amdhsa_system_sgpr_workgroup_id_z 0
		.amdhsa_system_sgpr_workgroup_info 0
		.amdhsa_system_vgpr_workitem_id 0
		.amdhsa_next_free_vgpr 6
		.amdhsa_next_free_sgpr 8
		.amdhsa_reserve_vcc 1
		.amdhsa_reserve_flat_scratch 0
		.amdhsa_float_round_mode_32 0
		.amdhsa_float_round_mode_16_64 0
		.amdhsa_float_denorm_mode_32 3
		.amdhsa_float_denorm_mode_16_64 3
		.amdhsa_dx10_clamp 1
		.amdhsa_ieee_mode 1
		.amdhsa_fp16_overflow 0
		.amdhsa_exception_fp_ieee_invalid_op 0
		.amdhsa_exception_fp_denorm_src 0
		.amdhsa_exception_fp_ieee_div_zero 0
		.amdhsa_exception_fp_ieee_overflow 0
		.amdhsa_exception_fp_ieee_underflow 0
		.amdhsa_exception_fp_ieee_inexact 0
		.amdhsa_exception_int_div_zero 0
	.end_amdhsa_kernel
	.section	.text._Z26warp_inclusive_scan_kernelI6__halfLj64ELj4EENSt9enable_ifIXsr10test_utilsE35device_test_enabled_for_warp_size_vIXT1_EEEvE4typeEPT_S5_,"axG",@progbits,_Z26warp_inclusive_scan_kernelI6__halfLj64ELj4EENSt9enable_ifIXsr10test_utilsE35device_test_enabled_for_warp_size_vIXT1_EEEvE4typeEPT_S5_,comdat
.Lfunc_end35:
	.size	_Z26warp_inclusive_scan_kernelI6__halfLj64ELj4EENSt9enable_ifIXsr10test_utilsE35device_test_enabled_for_warp_size_vIXT1_EEEvE4typeEPT_S5_, .Lfunc_end35-_Z26warp_inclusive_scan_kernelI6__halfLj64ELj4EENSt9enable_ifIXsr10test_utilsE35device_test_enabled_for_warp_size_vIXT1_EEEvE4typeEPT_S5_
                                        ; -- End function
	.set _Z26warp_inclusive_scan_kernelI6__halfLj64ELj4EENSt9enable_ifIXsr10test_utilsE35device_test_enabled_for_warp_size_vIXT1_EEEvE4typeEPT_S5_.num_vgpr, 6
	.set _Z26warp_inclusive_scan_kernelI6__halfLj64ELj4EENSt9enable_ifIXsr10test_utilsE35device_test_enabled_for_warp_size_vIXT1_EEEvE4typeEPT_S5_.num_agpr, 0
	.set _Z26warp_inclusive_scan_kernelI6__halfLj64ELj4EENSt9enable_ifIXsr10test_utilsE35device_test_enabled_for_warp_size_vIXT1_EEEvE4typeEPT_S5_.numbered_sgpr, 8
	.set _Z26warp_inclusive_scan_kernelI6__halfLj64ELj4EENSt9enable_ifIXsr10test_utilsE35device_test_enabled_for_warp_size_vIXT1_EEEvE4typeEPT_S5_.num_named_barrier, 0
	.set _Z26warp_inclusive_scan_kernelI6__halfLj64ELj4EENSt9enable_ifIXsr10test_utilsE35device_test_enabled_for_warp_size_vIXT1_EEEvE4typeEPT_S5_.private_seg_size, 0
	.set _Z26warp_inclusive_scan_kernelI6__halfLj64ELj4EENSt9enable_ifIXsr10test_utilsE35device_test_enabled_for_warp_size_vIXT1_EEEvE4typeEPT_S5_.uses_vcc, 1
	.set _Z26warp_inclusive_scan_kernelI6__halfLj64ELj4EENSt9enable_ifIXsr10test_utilsE35device_test_enabled_for_warp_size_vIXT1_EEEvE4typeEPT_S5_.uses_flat_scratch, 0
	.set _Z26warp_inclusive_scan_kernelI6__halfLj64ELj4EENSt9enable_ifIXsr10test_utilsE35device_test_enabled_for_warp_size_vIXT1_EEEvE4typeEPT_S5_.has_dyn_sized_stack, 0
	.set _Z26warp_inclusive_scan_kernelI6__halfLj64ELj4EENSt9enable_ifIXsr10test_utilsE35device_test_enabled_for_warp_size_vIXT1_EEEvE4typeEPT_S5_.has_recursion, 0
	.set _Z26warp_inclusive_scan_kernelI6__halfLj64ELj4EENSt9enable_ifIXsr10test_utilsE35device_test_enabled_for_warp_size_vIXT1_EEEvE4typeEPT_S5_.has_indirect_call, 0
	.section	.AMDGPU.csdata,"",@progbits
; Kernel info:
; codeLenInByte = 180
; TotalNumSgprs: 12
; NumVgprs: 6
; ScratchSize: 0
; MemoryBound: 0
; FloatMode: 240
; IeeeMode: 1
; LDSByteSize: 0 bytes/workgroup (compile time only)
; SGPRBlocks: 1
; VGPRBlocks: 1
; NumSGPRsForWavesPerEU: 12
; NumVGPRsForWavesPerEU: 6
; Occupancy: 10
; WaveLimiterHint : 0
; COMPUTE_PGM_RSRC2:SCRATCH_EN: 0
; COMPUTE_PGM_RSRC2:USER_SGPR: 6
; COMPUTE_PGM_RSRC2:TRAP_HANDLER: 0
; COMPUTE_PGM_RSRC2:TGID_X_EN: 1
; COMPUTE_PGM_RSRC2:TGID_Y_EN: 0
; COMPUTE_PGM_RSRC2:TGID_Z_EN: 0
; COMPUTE_PGM_RSRC2:TIDIG_COMP_CNT: 0
	.section	.text._Z26warp_inclusive_scan_kernelI6__halfLj32ELj2EENSt9enable_ifIXsr10test_utilsE35device_test_enabled_for_warp_size_vIXT1_EEEvE4typeEPT_S5_,"axG",@progbits,_Z26warp_inclusive_scan_kernelI6__halfLj32ELj2EENSt9enable_ifIXsr10test_utilsE35device_test_enabled_for_warp_size_vIXT1_EEEvE4typeEPT_S5_,comdat
	.protected	_Z26warp_inclusive_scan_kernelI6__halfLj32ELj2EENSt9enable_ifIXsr10test_utilsE35device_test_enabled_for_warp_size_vIXT1_EEEvE4typeEPT_S5_ ; -- Begin function _Z26warp_inclusive_scan_kernelI6__halfLj32ELj2EENSt9enable_ifIXsr10test_utilsE35device_test_enabled_for_warp_size_vIXT1_EEEvE4typeEPT_S5_
	.globl	_Z26warp_inclusive_scan_kernelI6__halfLj32ELj2EENSt9enable_ifIXsr10test_utilsE35device_test_enabled_for_warp_size_vIXT1_EEEvE4typeEPT_S5_
	.p2align	8
	.type	_Z26warp_inclusive_scan_kernelI6__halfLj32ELj2EENSt9enable_ifIXsr10test_utilsE35device_test_enabled_for_warp_size_vIXT1_EEEvE4typeEPT_S5_,@function
_Z26warp_inclusive_scan_kernelI6__halfLj32ELj2EENSt9enable_ifIXsr10test_utilsE35device_test_enabled_for_warp_size_vIXT1_EEEvE4typeEPT_S5_: ; @_Z26warp_inclusive_scan_kernelI6__halfLj32ELj2EENSt9enable_ifIXsr10test_utilsE35device_test_enabled_for_warp_size_vIXT1_EEEvE4typeEPT_S5_
; %bb.0:
	s_load_dword s7, s[4:5], 0x1c
	s_load_dwordx4 s[0:3], s[4:5], 0x0
	v_mov_b32_e32 v1, 0
	s_waitcnt lgkmcnt(0)
	s_and_b32 s4, s7, 0xffff
	s_mul_i32 s6, s6, s4
	v_add_u32_e32 v0, s6, v0
	v_lshlrev_b64 v[0:1], 1, v[0:1]
	v_mov_b32_e32 v3, s1
	v_add_co_u32_e32 v2, vcc, s0, v0
	v_addc_co_u32_e32 v3, vcc, v3, v1, vcc
	global_load_ushort v2, v[2:3], off
	v_mbcnt_lo_u32_b32 v3, -1, 0
	v_mov_b32_e32 v4, s3
	v_add_co_u32_e32 v0, vcc, s2, v0
	v_mbcnt_hi_u32_b32 v3, -1, v3
	v_addc_co_u32_e32 v1, vcc, v4, v1, vcc
	v_and_b32_e32 v3, 1, v3
	v_cmp_eq_u32_e32 vcc, 0, v3
	s_waitcnt vmcnt(0)
	v_and_b32_e32 v4, 0xffff, v2
	s_nop 1
	v_mov_b32_dpp v4, v4 row_shr:1 row_mask:0xf bank_mask:0xf
	v_add_f16_e32 v4, v2, v4
	v_cndmask_b32_e32 v2, v4, v2, vcc
	global_store_short v[0:1], v2, off
	s_endpgm
	.section	.rodata,"a",@progbits
	.p2align	6, 0x0
	.amdhsa_kernel _Z26warp_inclusive_scan_kernelI6__halfLj32ELj2EENSt9enable_ifIXsr10test_utilsE35device_test_enabled_for_warp_size_vIXT1_EEEvE4typeEPT_S5_
		.amdhsa_group_segment_fixed_size 0
		.amdhsa_private_segment_fixed_size 0
		.amdhsa_kernarg_size 272
		.amdhsa_user_sgpr_count 6
		.amdhsa_user_sgpr_private_segment_buffer 1
		.amdhsa_user_sgpr_dispatch_ptr 0
		.amdhsa_user_sgpr_queue_ptr 0
		.amdhsa_user_sgpr_kernarg_segment_ptr 1
		.amdhsa_user_sgpr_dispatch_id 0
		.amdhsa_user_sgpr_flat_scratch_init 0
		.amdhsa_user_sgpr_private_segment_size 0
		.amdhsa_uses_dynamic_stack 0
		.amdhsa_system_sgpr_private_segment_wavefront_offset 0
		.amdhsa_system_sgpr_workgroup_id_x 1
		.amdhsa_system_sgpr_workgroup_id_y 0
		.amdhsa_system_sgpr_workgroup_id_z 0
		.amdhsa_system_sgpr_workgroup_info 0
		.amdhsa_system_vgpr_workitem_id 0
		.amdhsa_next_free_vgpr 5
		.amdhsa_next_free_sgpr 8
		.amdhsa_reserve_vcc 1
		.amdhsa_reserve_flat_scratch 0
		.amdhsa_float_round_mode_32 0
		.amdhsa_float_round_mode_16_64 0
		.amdhsa_float_denorm_mode_32 3
		.amdhsa_float_denorm_mode_16_64 3
		.amdhsa_dx10_clamp 1
		.amdhsa_ieee_mode 1
		.amdhsa_fp16_overflow 0
		.amdhsa_exception_fp_ieee_invalid_op 0
		.amdhsa_exception_fp_denorm_src 0
		.amdhsa_exception_fp_ieee_div_zero 0
		.amdhsa_exception_fp_ieee_overflow 0
		.amdhsa_exception_fp_ieee_underflow 0
		.amdhsa_exception_fp_ieee_inexact 0
		.amdhsa_exception_int_div_zero 0
	.end_amdhsa_kernel
	.section	.text._Z26warp_inclusive_scan_kernelI6__halfLj32ELj2EENSt9enable_ifIXsr10test_utilsE35device_test_enabled_for_warp_size_vIXT1_EEEvE4typeEPT_S5_,"axG",@progbits,_Z26warp_inclusive_scan_kernelI6__halfLj32ELj2EENSt9enable_ifIXsr10test_utilsE35device_test_enabled_for_warp_size_vIXT1_EEEvE4typeEPT_S5_,comdat
.Lfunc_end36:
	.size	_Z26warp_inclusive_scan_kernelI6__halfLj32ELj2EENSt9enable_ifIXsr10test_utilsE35device_test_enabled_for_warp_size_vIXT1_EEEvE4typeEPT_S5_, .Lfunc_end36-_Z26warp_inclusive_scan_kernelI6__halfLj32ELj2EENSt9enable_ifIXsr10test_utilsE35device_test_enabled_for_warp_size_vIXT1_EEEvE4typeEPT_S5_
                                        ; -- End function
	.set _Z26warp_inclusive_scan_kernelI6__halfLj32ELj2EENSt9enable_ifIXsr10test_utilsE35device_test_enabled_for_warp_size_vIXT1_EEEvE4typeEPT_S5_.num_vgpr, 5
	.set _Z26warp_inclusive_scan_kernelI6__halfLj32ELj2EENSt9enable_ifIXsr10test_utilsE35device_test_enabled_for_warp_size_vIXT1_EEEvE4typeEPT_S5_.num_agpr, 0
	.set _Z26warp_inclusive_scan_kernelI6__halfLj32ELj2EENSt9enable_ifIXsr10test_utilsE35device_test_enabled_for_warp_size_vIXT1_EEEvE4typeEPT_S5_.numbered_sgpr, 8
	.set _Z26warp_inclusive_scan_kernelI6__halfLj32ELj2EENSt9enable_ifIXsr10test_utilsE35device_test_enabled_for_warp_size_vIXT1_EEEvE4typeEPT_S5_.num_named_barrier, 0
	.set _Z26warp_inclusive_scan_kernelI6__halfLj32ELj2EENSt9enable_ifIXsr10test_utilsE35device_test_enabled_for_warp_size_vIXT1_EEEvE4typeEPT_S5_.private_seg_size, 0
	.set _Z26warp_inclusive_scan_kernelI6__halfLj32ELj2EENSt9enable_ifIXsr10test_utilsE35device_test_enabled_for_warp_size_vIXT1_EEEvE4typeEPT_S5_.uses_vcc, 1
	.set _Z26warp_inclusive_scan_kernelI6__halfLj32ELj2EENSt9enable_ifIXsr10test_utilsE35device_test_enabled_for_warp_size_vIXT1_EEEvE4typeEPT_S5_.uses_flat_scratch, 0
	.set _Z26warp_inclusive_scan_kernelI6__halfLj32ELj2EENSt9enable_ifIXsr10test_utilsE35device_test_enabled_for_warp_size_vIXT1_EEEvE4typeEPT_S5_.has_dyn_sized_stack, 0
	.set _Z26warp_inclusive_scan_kernelI6__halfLj32ELj2EENSt9enable_ifIXsr10test_utilsE35device_test_enabled_for_warp_size_vIXT1_EEEvE4typeEPT_S5_.has_recursion, 0
	.set _Z26warp_inclusive_scan_kernelI6__halfLj32ELj2EENSt9enable_ifIXsr10test_utilsE35device_test_enabled_for_warp_size_vIXT1_EEEvE4typeEPT_S5_.has_indirect_call, 0
	.section	.AMDGPU.csdata,"",@progbits
; Kernel info:
; codeLenInByte = 148
; TotalNumSgprs: 12
; NumVgprs: 5
; ScratchSize: 0
; MemoryBound: 0
; FloatMode: 240
; IeeeMode: 1
; LDSByteSize: 0 bytes/workgroup (compile time only)
; SGPRBlocks: 1
; VGPRBlocks: 1
; NumSGPRsForWavesPerEU: 12
; NumVGPRsForWavesPerEU: 5
; Occupancy: 10
; WaveLimiterHint : 0
; COMPUTE_PGM_RSRC2:SCRATCH_EN: 0
; COMPUTE_PGM_RSRC2:USER_SGPR: 6
; COMPUTE_PGM_RSRC2:TRAP_HANDLER: 0
; COMPUTE_PGM_RSRC2:TGID_X_EN: 1
; COMPUTE_PGM_RSRC2:TGID_Y_EN: 0
; COMPUTE_PGM_RSRC2:TGID_Z_EN: 0
; COMPUTE_PGM_RSRC2:TIDIG_COMP_CNT: 0
	.section	.text._Z26warp_inclusive_scan_kernelI6__halfLj64ELj2EENSt9enable_ifIXsr10test_utilsE35device_test_enabled_for_warp_size_vIXT1_EEEvE4typeEPT_S5_,"axG",@progbits,_Z26warp_inclusive_scan_kernelI6__halfLj64ELj2EENSt9enable_ifIXsr10test_utilsE35device_test_enabled_for_warp_size_vIXT1_EEEvE4typeEPT_S5_,comdat
	.protected	_Z26warp_inclusive_scan_kernelI6__halfLj64ELj2EENSt9enable_ifIXsr10test_utilsE35device_test_enabled_for_warp_size_vIXT1_EEEvE4typeEPT_S5_ ; -- Begin function _Z26warp_inclusive_scan_kernelI6__halfLj64ELj2EENSt9enable_ifIXsr10test_utilsE35device_test_enabled_for_warp_size_vIXT1_EEEvE4typeEPT_S5_
	.globl	_Z26warp_inclusive_scan_kernelI6__halfLj64ELj2EENSt9enable_ifIXsr10test_utilsE35device_test_enabled_for_warp_size_vIXT1_EEEvE4typeEPT_S5_
	.p2align	8
	.type	_Z26warp_inclusive_scan_kernelI6__halfLj64ELj2EENSt9enable_ifIXsr10test_utilsE35device_test_enabled_for_warp_size_vIXT1_EEEvE4typeEPT_S5_,@function
_Z26warp_inclusive_scan_kernelI6__halfLj64ELj2EENSt9enable_ifIXsr10test_utilsE35device_test_enabled_for_warp_size_vIXT1_EEEvE4typeEPT_S5_: ; @_Z26warp_inclusive_scan_kernelI6__halfLj64ELj2EENSt9enable_ifIXsr10test_utilsE35device_test_enabled_for_warp_size_vIXT1_EEEvE4typeEPT_S5_
; %bb.0:
	s_load_dword s7, s[4:5], 0x1c
	s_load_dwordx4 s[0:3], s[4:5], 0x0
	v_mov_b32_e32 v1, 0
	s_waitcnt lgkmcnt(0)
	s_and_b32 s4, s7, 0xffff
	s_mul_i32 s6, s6, s4
	v_add_u32_e32 v0, s6, v0
	v_lshlrev_b64 v[0:1], 1, v[0:1]
	v_mov_b32_e32 v3, s1
	v_add_co_u32_e32 v2, vcc, s0, v0
	v_addc_co_u32_e32 v3, vcc, v3, v1, vcc
	global_load_ushort v2, v[2:3], off
	v_mbcnt_lo_u32_b32 v3, -1, 0
	v_mov_b32_e32 v4, s3
	v_add_co_u32_e32 v0, vcc, s2, v0
	v_mbcnt_hi_u32_b32 v3, -1, v3
	v_addc_co_u32_e32 v1, vcc, v4, v1, vcc
	v_and_b32_e32 v3, 1, v3
	v_cmp_eq_u32_e32 vcc, 0, v3
	s_waitcnt vmcnt(0)
	v_and_b32_e32 v4, 0xffff, v2
	s_nop 1
	v_mov_b32_dpp v4, v4 row_shr:1 row_mask:0xf bank_mask:0xf
	v_add_f16_e32 v4, v2, v4
	v_cndmask_b32_e32 v2, v4, v2, vcc
	global_store_short v[0:1], v2, off
	s_endpgm
	.section	.rodata,"a",@progbits
	.p2align	6, 0x0
	.amdhsa_kernel _Z26warp_inclusive_scan_kernelI6__halfLj64ELj2EENSt9enable_ifIXsr10test_utilsE35device_test_enabled_for_warp_size_vIXT1_EEEvE4typeEPT_S5_
		.amdhsa_group_segment_fixed_size 0
		.amdhsa_private_segment_fixed_size 0
		.amdhsa_kernarg_size 272
		.amdhsa_user_sgpr_count 6
		.amdhsa_user_sgpr_private_segment_buffer 1
		.amdhsa_user_sgpr_dispatch_ptr 0
		.amdhsa_user_sgpr_queue_ptr 0
		.amdhsa_user_sgpr_kernarg_segment_ptr 1
		.amdhsa_user_sgpr_dispatch_id 0
		.amdhsa_user_sgpr_flat_scratch_init 0
		.amdhsa_user_sgpr_private_segment_size 0
		.amdhsa_uses_dynamic_stack 0
		.amdhsa_system_sgpr_private_segment_wavefront_offset 0
		.amdhsa_system_sgpr_workgroup_id_x 1
		.amdhsa_system_sgpr_workgroup_id_y 0
		.amdhsa_system_sgpr_workgroup_id_z 0
		.amdhsa_system_sgpr_workgroup_info 0
		.amdhsa_system_vgpr_workitem_id 0
		.amdhsa_next_free_vgpr 5
		.amdhsa_next_free_sgpr 8
		.amdhsa_reserve_vcc 1
		.amdhsa_reserve_flat_scratch 0
		.amdhsa_float_round_mode_32 0
		.amdhsa_float_round_mode_16_64 0
		.amdhsa_float_denorm_mode_32 3
		.amdhsa_float_denorm_mode_16_64 3
		.amdhsa_dx10_clamp 1
		.amdhsa_ieee_mode 1
		.amdhsa_fp16_overflow 0
		.amdhsa_exception_fp_ieee_invalid_op 0
		.amdhsa_exception_fp_denorm_src 0
		.amdhsa_exception_fp_ieee_div_zero 0
		.amdhsa_exception_fp_ieee_overflow 0
		.amdhsa_exception_fp_ieee_underflow 0
		.amdhsa_exception_fp_ieee_inexact 0
		.amdhsa_exception_int_div_zero 0
	.end_amdhsa_kernel
	.section	.text._Z26warp_inclusive_scan_kernelI6__halfLj64ELj2EENSt9enable_ifIXsr10test_utilsE35device_test_enabled_for_warp_size_vIXT1_EEEvE4typeEPT_S5_,"axG",@progbits,_Z26warp_inclusive_scan_kernelI6__halfLj64ELj2EENSt9enable_ifIXsr10test_utilsE35device_test_enabled_for_warp_size_vIXT1_EEEvE4typeEPT_S5_,comdat
.Lfunc_end37:
	.size	_Z26warp_inclusive_scan_kernelI6__halfLj64ELj2EENSt9enable_ifIXsr10test_utilsE35device_test_enabled_for_warp_size_vIXT1_EEEvE4typeEPT_S5_, .Lfunc_end37-_Z26warp_inclusive_scan_kernelI6__halfLj64ELj2EENSt9enable_ifIXsr10test_utilsE35device_test_enabled_for_warp_size_vIXT1_EEEvE4typeEPT_S5_
                                        ; -- End function
	.set _Z26warp_inclusive_scan_kernelI6__halfLj64ELj2EENSt9enable_ifIXsr10test_utilsE35device_test_enabled_for_warp_size_vIXT1_EEEvE4typeEPT_S5_.num_vgpr, 5
	.set _Z26warp_inclusive_scan_kernelI6__halfLj64ELj2EENSt9enable_ifIXsr10test_utilsE35device_test_enabled_for_warp_size_vIXT1_EEEvE4typeEPT_S5_.num_agpr, 0
	.set _Z26warp_inclusive_scan_kernelI6__halfLj64ELj2EENSt9enable_ifIXsr10test_utilsE35device_test_enabled_for_warp_size_vIXT1_EEEvE4typeEPT_S5_.numbered_sgpr, 8
	.set _Z26warp_inclusive_scan_kernelI6__halfLj64ELj2EENSt9enable_ifIXsr10test_utilsE35device_test_enabled_for_warp_size_vIXT1_EEEvE4typeEPT_S5_.num_named_barrier, 0
	.set _Z26warp_inclusive_scan_kernelI6__halfLj64ELj2EENSt9enable_ifIXsr10test_utilsE35device_test_enabled_for_warp_size_vIXT1_EEEvE4typeEPT_S5_.private_seg_size, 0
	.set _Z26warp_inclusive_scan_kernelI6__halfLj64ELj2EENSt9enable_ifIXsr10test_utilsE35device_test_enabled_for_warp_size_vIXT1_EEEvE4typeEPT_S5_.uses_vcc, 1
	.set _Z26warp_inclusive_scan_kernelI6__halfLj64ELj2EENSt9enable_ifIXsr10test_utilsE35device_test_enabled_for_warp_size_vIXT1_EEEvE4typeEPT_S5_.uses_flat_scratch, 0
	.set _Z26warp_inclusive_scan_kernelI6__halfLj64ELj2EENSt9enable_ifIXsr10test_utilsE35device_test_enabled_for_warp_size_vIXT1_EEEvE4typeEPT_S5_.has_dyn_sized_stack, 0
	.set _Z26warp_inclusive_scan_kernelI6__halfLj64ELj2EENSt9enable_ifIXsr10test_utilsE35device_test_enabled_for_warp_size_vIXT1_EEEvE4typeEPT_S5_.has_recursion, 0
	.set _Z26warp_inclusive_scan_kernelI6__halfLj64ELj2EENSt9enable_ifIXsr10test_utilsE35device_test_enabled_for_warp_size_vIXT1_EEEvE4typeEPT_S5_.has_indirect_call, 0
	.section	.AMDGPU.csdata,"",@progbits
; Kernel info:
; codeLenInByte = 148
; TotalNumSgprs: 12
; NumVgprs: 5
; ScratchSize: 0
; MemoryBound: 0
; FloatMode: 240
; IeeeMode: 1
; LDSByteSize: 0 bytes/workgroup (compile time only)
; SGPRBlocks: 1
; VGPRBlocks: 1
; NumSGPRsForWavesPerEU: 12
; NumVGPRsForWavesPerEU: 5
; Occupancy: 10
; WaveLimiterHint : 0
; COMPUTE_PGM_RSRC2:SCRATCH_EN: 0
; COMPUTE_PGM_RSRC2:USER_SGPR: 6
; COMPUTE_PGM_RSRC2:TRAP_HANDLER: 0
; COMPUTE_PGM_RSRC2:TGID_X_EN: 1
; COMPUTE_PGM_RSRC2:TGID_Y_EN: 0
; COMPUTE_PGM_RSRC2:TGID_Z_EN: 0
; COMPUTE_PGM_RSRC2:TIDIG_COMP_CNT: 0
	.section	.text._Z26warp_inclusive_scan_kernelIfLj256ELj64EENSt9enable_ifIXsr10test_utilsE35device_test_enabled_for_warp_size_vIXT1_EEEvE4typeEPT_S4_,"axG",@progbits,_Z26warp_inclusive_scan_kernelIfLj256ELj64EENSt9enable_ifIXsr10test_utilsE35device_test_enabled_for_warp_size_vIXT1_EEEvE4typeEPT_S4_,comdat
	.protected	_Z26warp_inclusive_scan_kernelIfLj256ELj64EENSt9enable_ifIXsr10test_utilsE35device_test_enabled_for_warp_size_vIXT1_EEEvE4typeEPT_S4_ ; -- Begin function _Z26warp_inclusive_scan_kernelIfLj256ELj64EENSt9enable_ifIXsr10test_utilsE35device_test_enabled_for_warp_size_vIXT1_EEEvE4typeEPT_S4_
	.globl	_Z26warp_inclusive_scan_kernelIfLj256ELj64EENSt9enable_ifIXsr10test_utilsE35device_test_enabled_for_warp_size_vIXT1_EEEvE4typeEPT_S4_
	.p2align	8
	.type	_Z26warp_inclusive_scan_kernelIfLj256ELj64EENSt9enable_ifIXsr10test_utilsE35device_test_enabled_for_warp_size_vIXT1_EEEvE4typeEPT_S4_,@function
_Z26warp_inclusive_scan_kernelIfLj256ELj64EENSt9enable_ifIXsr10test_utilsE35device_test_enabled_for_warp_size_vIXT1_EEEvE4typeEPT_S4_: ; @_Z26warp_inclusive_scan_kernelIfLj256ELj64EENSt9enable_ifIXsr10test_utilsE35device_test_enabled_for_warp_size_vIXT1_EEEvE4typeEPT_S4_
; %bb.0:
	s_load_dword s7, s[4:5], 0x1c
	s_load_dwordx4 s[0:3], s[4:5], 0x0
	v_mov_b32_e32 v1, 0
	s_waitcnt lgkmcnt(0)
	s_and_b32 s4, s7, 0xffff
	s_mul_i32 s6, s6, s4
	v_add_u32_e32 v0, s6, v0
	v_lshlrev_b64 v[0:1], 2, v[0:1]
	v_mov_b32_e32 v3, s1
	v_add_co_u32_e32 v2, vcc, s0, v0
	v_addc_co_u32_e32 v3, vcc, v3, v1, vcc
	global_load_dword v2, v[2:3], off
	v_mbcnt_lo_u32_b32 v3, -1, 0
	v_mbcnt_hi_u32_b32 v3, -1, v3
	v_and_b32_e32 v4, 15, v3
	v_cmp_eq_u32_e32 vcc, 0, v4
	v_and_b32_e32 v5, 16, v3
	v_mov_b32_e32 v6, s3
	s_waitcnt vmcnt(0)
	v_mov_b32_dpp v7, v2 row_shr:1 row_mask:0xf bank_mask:0xf
	v_add_f32_e32 v7, v2, v7
	v_cndmask_b32_e32 v2, v7, v2, vcc
	v_cmp_lt_u32_e32 vcc, 1, v4
	s_nop 0
	v_mov_b32_dpp v7, v2 row_shr:2 row_mask:0xf bank_mask:0xf
	v_add_f32_e32 v7, v2, v7
	v_cndmask_b32_e32 v2, v2, v7, vcc
	v_cmp_lt_u32_e32 vcc, 3, v4
	s_nop 0
	;; [unrolled: 5-line block ×3, first 2 shown]
	v_mov_b32_dpp v7, v2 row_shr:8 row_mask:0xf bank_mask:0xf
	v_add_f32_e32 v7, v2, v7
	v_cndmask_b32_e32 v2, v2, v7, vcc
	v_cmp_eq_u32_e32 vcc, 0, v5
	s_nop 0
	v_mov_b32_dpp v4, v2 row_bcast:15 row_mask:0xf bank_mask:0xf
	v_add_f32_e32 v4, v2, v4
	v_cndmask_b32_e32 v2, v4, v2, vcc
	v_cmp_lt_u32_e32 vcc, 31, v3
	s_nop 0
	v_mov_b32_dpp v4, v2 row_bcast:31 row_mask:0xf bank_mask:0xf
	v_add_f32_e32 v4, v2, v4
	v_cndmask_b32_e32 v2, v2, v4, vcc
	v_add_co_u32_e32 v0, vcc, s2, v0
	v_addc_co_u32_e32 v1, vcc, v6, v1, vcc
	global_store_dword v[0:1], v2, off
	s_endpgm
	.section	.rodata,"a",@progbits
	.p2align	6, 0x0
	.amdhsa_kernel _Z26warp_inclusive_scan_kernelIfLj256ELj64EENSt9enable_ifIXsr10test_utilsE35device_test_enabled_for_warp_size_vIXT1_EEEvE4typeEPT_S4_
		.amdhsa_group_segment_fixed_size 0
		.amdhsa_private_segment_fixed_size 0
		.amdhsa_kernarg_size 272
		.amdhsa_user_sgpr_count 6
		.amdhsa_user_sgpr_private_segment_buffer 1
		.amdhsa_user_sgpr_dispatch_ptr 0
		.amdhsa_user_sgpr_queue_ptr 0
		.amdhsa_user_sgpr_kernarg_segment_ptr 1
		.amdhsa_user_sgpr_dispatch_id 0
		.amdhsa_user_sgpr_flat_scratch_init 0
		.amdhsa_user_sgpr_private_segment_size 0
		.amdhsa_uses_dynamic_stack 0
		.amdhsa_system_sgpr_private_segment_wavefront_offset 0
		.amdhsa_system_sgpr_workgroup_id_x 1
		.amdhsa_system_sgpr_workgroup_id_y 0
		.amdhsa_system_sgpr_workgroup_id_z 0
		.amdhsa_system_sgpr_workgroup_info 0
		.amdhsa_system_vgpr_workitem_id 0
		.amdhsa_next_free_vgpr 8
		.amdhsa_next_free_sgpr 8
		.amdhsa_reserve_vcc 1
		.amdhsa_reserve_flat_scratch 0
		.amdhsa_float_round_mode_32 0
		.amdhsa_float_round_mode_16_64 0
		.amdhsa_float_denorm_mode_32 3
		.amdhsa_float_denorm_mode_16_64 3
		.amdhsa_dx10_clamp 1
		.amdhsa_ieee_mode 1
		.amdhsa_fp16_overflow 0
		.amdhsa_exception_fp_ieee_invalid_op 0
		.amdhsa_exception_fp_denorm_src 0
		.amdhsa_exception_fp_ieee_div_zero 0
		.amdhsa_exception_fp_ieee_overflow 0
		.amdhsa_exception_fp_ieee_underflow 0
		.amdhsa_exception_fp_ieee_inexact 0
		.amdhsa_exception_int_div_zero 0
	.end_amdhsa_kernel
	.section	.text._Z26warp_inclusive_scan_kernelIfLj256ELj64EENSt9enable_ifIXsr10test_utilsE35device_test_enabled_for_warp_size_vIXT1_EEEvE4typeEPT_S4_,"axG",@progbits,_Z26warp_inclusive_scan_kernelIfLj256ELj64EENSt9enable_ifIXsr10test_utilsE35device_test_enabled_for_warp_size_vIXT1_EEEvE4typeEPT_S4_,comdat
.Lfunc_end38:
	.size	_Z26warp_inclusive_scan_kernelIfLj256ELj64EENSt9enable_ifIXsr10test_utilsE35device_test_enabled_for_warp_size_vIXT1_EEEvE4typeEPT_S4_, .Lfunc_end38-_Z26warp_inclusive_scan_kernelIfLj256ELj64EENSt9enable_ifIXsr10test_utilsE35device_test_enabled_for_warp_size_vIXT1_EEEvE4typeEPT_S4_
                                        ; -- End function
	.set _Z26warp_inclusive_scan_kernelIfLj256ELj64EENSt9enable_ifIXsr10test_utilsE35device_test_enabled_for_warp_size_vIXT1_EEEvE4typeEPT_S4_.num_vgpr, 8
	.set _Z26warp_inclusive_scan_kernelIfLj256ELj64EENSt9enable_ifIXsr10test_utilsE35device_test_enabled_for_warp_size_vIXT1_EEEvE4typeEPT_S4_.num_agpr, 0
	.set _Z26warp_inclusive_scan_kernelIfLj256ELj64EENSt9enable_ifIXsr10test_utilsE35device_test_enabled_for_warp_size_vIXT1_EEEvE4typeEPT_S4_.numbered_sgpr, 8
	.set _Z26warp_inclusive_scan_kernelIfLj256ELj64EENSt9enable_ifIXsr10test_utilsE35device_test_enabled_for_warp_size_vIXT1_EEEvE4typeEPT_S4_.num_named_barrier, 0
	.set _Z26warp_inclusive_scan_kernelIfLj256ELj64EENSt9enable_ifIXsr10test_utilsE35device_test_enabled_for_warp_size_vIXT1_EEEvE4typeEPT_S4_.private_seg_size, 0
	.set _Z26warp_inclusive_scan_kernelIfLj256ELj64EENSt9enable_ifIXsr10test_utilsE35device_test_enabled_for_warp_size_vIXT1_EEEvE4typeEPT_S4_.uses_vcc, 1
	.set _Z26warp_inclusive_scan_kernelIfLj256ELj64EENSt9enable_ifIXsr10test_utilsE35device_test_enabled_for_warp_size_vIXT1_EEEvE4typeEPT_S4_.uses_flat_scratch, 0
	.set _Z26warp_inclusive_scan_kernelIfLj256ELj64EENSt9enable_ifIXsr10test_utilsE35device_test_enabled_for_warp_size_vIXT1_EEEvE4typeEPT_S4_.has_dyn_sized_stack, 0
	.set _Z26warp_inclusive_scan_kernelIfLj256ELj64EENSt9enable_ifIXsr10test_utilsE35device_test_enabled_for_warp_size_vIXT1_EEEvE4typeEPT_S4_.has_recursion, 0
	.set _Z26warp_inclusive_scan_kernelIfLj256ELj64EENSt9enable_ifIXsr10test_utilsE35device_test_enabled_for_warp_size_vIXT1_EEEvE4typeEPT_S4_.has_indirect_call, 0
	.section	.AMDGPU.csdata,"",@progbits
; Kernel info:
; codeLenInByte = 260
; TotalNumSgprs: 12
; NumVgprs: 8
; ScratchSize: 0
; MemoryBound: 0
; FloatMode: 240
; IeeeMode: 1
; LDSByteSize: 0 bytes/workgroup (compile time only)
; SGPRBlocks: 1
; VGPRBlocks: 1
; NumSGPRsForWavesPerEU: 12
; NumVGPRsForWavesPerEU: 8
; Occupancy: 10
; WaveLimiterHint : 0
; COMPUTE_PGM_RSRC2:SCRATCH_EN: 0
; COMPUTE_PGM_RSRC2:USER_SGPR: 6
; COMPUTE_PGM_RSRC2:TRAP_HANDLER: 0
; COMPUTE_PGM_RSRC2:TGID_X_EN: 1
; COMPUTE_PGM_RSRC2:TGID_Y_EN: 0
; COMPUTE_PGM_RSRC2:TGID_Z_EN: 0
; COMPUTE_PGM_RSRC2:TIDIG_COMP_CNT: 0
	.section	.text._Z26warp_inclusive_scan_kernelIfLj128ELj32EENSt9enable_ifIXsr10test_utilsE35device_test_enabled_for_warp_size_vIXT1_EEEvE4typeEPT_S4_,"axG",@progbits,_Z26warp_inclusive_scan_kernelIfLj128ELj32EENSt9enable_ifIXsr10test_utilsE35device_test_enabled_for_warp_size_vIXT1_EEEvE4typeEPT_S4_,comdat
	.protected	_Z26warp_inclusive_scan_kernelIfLj128ELj32EENSt9enable_ifIXsr10test_utilsE35device_test_enabled_for_warp_size_vIXT1_EEEvE4typeEPT_S4_ ; -- Begin function _Z26warp_inclusive_scan_kernelIfLj128ELj32EENSt9enable_ifIXsr10test_utilsE35device_test_enabled_for_warp_size_vIXT1_EEEvE4typeEPT_S4_
	.globl	_Z26warp_inclusive_scan_kernelIfLj128ELj32EENSt9enable_ifIXsr10test_utilsE35device_test_enabled_for_warp_size_vIXT1_EEEvE4typeEPT_S4_
	.p2align	8
	.type	_Z26warp_inclusive_scan_kernelIfLj128ELj32EENSt9enable_ifIXsr10test_utilsE35device_test_enabled_for_warp_size_vIXT1_EEEvE4typeEPT_S4_,@function
_Z26warp_inclusive_scan_kernelIfLj128ELj32EENSt9enable_ifIXsr10test_utilsE35device_test_enabled_for_warp_size_vIXT1_EEEvE4typeEPT_S4_: ; @_Z26warp_inclusive_scan_kernelIfLj128ELj32EENSt9enable_ifIXsr10test_utilsE35device_test_enabled_for_warp_size_vIXT1_EEEvE4typeEPT_S4_
; %bb.0:
	s_load_dword s7, s[4:5], 0x1c
	s_load_dwordx4 s[0:3], s[4:5], 0x0
	v_mov_b32_e32 v1, 0
	s_waitcnt lgkmcnt(0)
	s_and_b32 s4, s7, 0xffff
	s_mul_i32 s6, s6, s4
	v_add_u32_e32 v0, s6, v0
	v_lshlrev_b64 v[0:1], 2, v[0:1]
	v_mov_b32_e32 v3, s1
	v_add_co_u32_e32 v2, vcc, s0, v0
	v_addc_co_u32_e32 v3, vcc, v3, v1, vcc
	global_load_dword v2, v[2:3], off
	v_mbcnt_lo_u32_b32 v3, -1, 0
	v_mbcnt_hi_u32_b32 v3, -1, v3
	v_and_b32_e32 v4, 15, v3
	v_cmp_eq_u32_e32 vcc, 0, v4
	v_and_b32_e32 v3, 16, v3
	v_mov_b32_e32 v5, s3
	s_waitcnt vmcnt(0)
	v_mov_b32_dpp v6, v2 row_shr:1 row_mask:0xf bank_mask:0xf
	v_add_f32_e32 v6, v2, v6
	v_cndmask_b32_e32 v2, v6, v2, vcc
	v_cmp_lt_u32_e32 vcc, 1, v4
	s_nop 0
	v_mov_b32_dpp v6, v2 row_shr:2 row_mask:0xf bank_mask:0xf
	v_add_f32_e32 v6, v2, v6
	v_cndmask_b32_e32 v2, v2, v6, vcc
	v_cmp_lt_u32_e32 vcc, 3, v4
	s_nop 0
	v_mov_b32_dpp v6, v2 row_shr:4 row_mask:0xf bank_mask:0xf
	v_add_f32_e32 v6, v2, v6
	v_cndmask_b32_e32 v2, v2, v6, vcc
	v_cmp_lt_u32_e32 vcc, 7, v4
	s_nop 0
	v_mov_b32_dpp v6, v2 row_shr:8 row_mask:0xf bank_mask:0xf
	v_add_f32_e32 v6, v2, v6
	v_cndmask_b32_e32 v2, v2, v6, vcc
	v_cmp_eq_u32_e32 vcc, 0, v3
	s_nop 0
	v_mov_b32_dpp v4, v2 row_bcast:15 row_mask:0xf bank_mask:0xf
	v_add_f32_e32 v4, v2, v4
	v_cndmask_b32_e32 v2, v4, v2, vcc
	v_add_co_u32_e32 v0, vcc, s2, v0
	v_addc_co_u32_e32 v1, vcc, v5, v1, vcc
	global_store_dword v[0:1], v2, off
	s_endpgm
	.section	.rodata,"a",@progbits
	.p2align	6, 0x0
	.amdhsa_kernel _Z26warp_inclusive_scan_kernelIfLj128ELj32EENSt9enable_ifIXsr10test_utilsE35device_test_enabled_for_warp_size_vIXT1_EEEvE4typeEPT_S4_
		.amdhsa_group_segment_fixed_size 0
		.amdhsa_private_segment_fixed_size 0
		.amdhsa_kernarg_size 272
		.amdhsa_user_sgpr_count 6
		.amdhsa_user_sgpr_private_segment_buffer 1
		.amdhsa_user_sgpr_dispatch_ptr 0
		.amdhsa_user_sgpr_queue_ptr 0
		.amdhsa_user_sgpr_kernarg_segment_ptr 1
		.amdhsa_user_sgpr_dispatch_id 0
		.amdhsa_user_sgpr_flat_scratch_init 0
		.amdhsa_user_sgpr_private_segment_size 0
		.amdhsa_uses_dynamic_stack 0
		.amdhsa_system_sgpr_private_segment_wavefront_offset 0
		.amdhsa_system_sgpr_workgroup_id_x 1
		.amdhsa_system_sgpr_workgroup_id_y 0
		.amdhsa_system_sgpr_workgroup_id_z 0
		.amdhsa_system_sgpr_workgroup_info 0
		.amdhsa_system_vgpr_workitem_id 0
		.amdhsa_next_free_vgpr 7
		.amdhsa_next_free_sgpr 8
		.amdhsa_reserve_vcc 1
		.amdhsa_reserve_flat_scratch 0
		.amdhsa_float_round_mode_32 0
		.amdhsa_float_round_mode_16_64 0
		.amdhsa_float_denorm_mode_32 3
		.amdhsa_float_denorm_mode_16_64 3
		.amdhsa_dx10_clamp 1
		.amdhsa_ieee_mode 1
		.amdhsa_fp16_overflow 0
		.amdhsa_exception_fp_ieee_invalid_op 0
		.amdhsa_exception_fp_denorm_src 0
		.amdhsa_exception_fp_ieee_div_zero 0
		.amdhsa_exception_fp_ieee_overflow 0
		.amdhsa_exception_fp_ieee_underflow 0
		.amdhsa_exception_fp_ieee_inexact 0
		.amdhsa_exception_int_div_zero 0
	.end_amdhsa_kernel
	.section	.text._Z26warp_inclusive_scan_kernelIfLj128ELj32EENSt9enable_ifIXsr10test_utilsE35device_test_enabled_for_warp_size_vIXT1_EEEvE4typeEPT_S4_,"axG",@progbits,_Z26warp_inclusive_scan_kernelIfLj128ELj32EENSt9enable_ifIXsr10test_utilsE35device_test_enabled_for_warp_size_vIXT1_EEEvE4typeEPT_S4_,comdat
.Lfunc_end39:
	.size	_Z26warp_inclusive_scan_kernelIfLj128ELj32EENSt9enable_ifIXsr10test_utilsE35device_test_enabled_for_warp_size_vIXT1_EEEvE4typeEPT_S4_, .Lfunc_end39-_Z26warp_inclusive_scan_kernelIfLj128ELj32EENSt9enable_ifIXsr10test_utilsE35device_test_enabled_for_warp_size_vIXT1_EEEvE4typeEPT_S4_
                                        ; -- End function
	.set _Z26warp_inclusive_scan_kernelIfLj128ELj32EENSt9enable_ifIXsr10test_utilsE35device_test_enabled_for_warp_size_vIXT1_EEEvE4typeEPT_S4_.num_vgpr, 7
	.set _Z26warp_inclusive_scan_kernelIfLj128ELj32EENSt9enable_ifIXsr10test_utilsE35device_test_enabled_for_warp_size_vIXT1_EEEvE4typeEPT_S4_.num_agpr, 0
	.set _Z26warp_inclusive_scan_kernelIfLj128ELj32EENSt9enable_ifIXsr10test_utilsE35device_test_enabled_for_warp_size_vIXT1_EEEvE4typeEPT_S4_.numbered_sgpr, 8
	.set _Z26warp_inclusive_scan_kernelIfLj128ELj32EENSt9enable_ifIXsr10test_utilsE35device_test_enabled_for_warp_size_vIXT1_EEEvE4typeEPT_S4_.num_named_barrier, 0
	.set _Z26warp_inclusive_scan_kernelIfLj128ELj32EENSt9enable_ifIXsr10test_utilsE35device_test_enabled_for_warp_size_vIXT1_EEEvE4typeEPT_S4_.private_seg_size, 0
	.set _Z26warp_inclusive_scan_kernelIfLj128ELj32EENSt9enable_ifIXsr10test_utilsE35device_test_enabled_for_warp_size_vIXT1_EEEvE4typeEPT_S4_.uses_vcc, 1
	.set _Z26warp_inclusive_scan_kernelIfLj128ELj32EENSt9enable_ifIXsr10test_utilsE35device_test_enabled_for_warp_size_vIXT1_EEEvE4typeEPT_S4_.uses_flat_scratch, 0
	.set _Z26warp_inclusive_scan_kernelIfLj128ELj32EENSt9enable_ifIXsr10test_utilsE35device_test_enabled_for_warp_size_vIXT1_EEEvE4typeEPT_S4_.has_dyn_sized_stack, 0
	.set _Z26warp_inclusive_scan_kernelIfLj128ELj32EENSt9enable_ifIXsr10test_utilsE35device_test_enabled_for_warp_size_vIXT1_EEEvE4typeEPT_S4_.has_recursion, 0
	.set _Z26warp_inclusive_scan_kernelIfLj128ELj32EENSt9enable_ifIXsr10test_utilsE35device_test_enabled_for_warp_size_vIXT1_EEEvE4typeEPT_S4_.has_indirect_call, 0
	.section	.AMDGPU.csdata,"",@progbits
; Kernel info:
; codeLenInByte = 236
; TotalNumSgprs: 12
; NumVgprs: 7
; ScratchSize: 0
; MemoryBound: 0
; FloatMode: 240
; IeeeMode: 1
; LDSByteSize: 0 bytes/workgroup (compile time only)
; SGPRBlocks: 1
; VGPRBlocks: 1
; NumSGPRsForWavesPerEU: 12
; NumVGPRsForWavesPerEU: 7
; Occupancy: 10
; WaveLimiterHint : 0
; COMPUTE_PGM_RSRC2:SCRATCH_EN: 0
; COMPUTE_PGM_RSRC2:USER_SGPR: 6
; COMPUTE_PGM_RSRC2:TRAP_HANDLER: 0
; COMPUTE_PGM_RSRC2:TGID_X_EN: 1
; COMPUTE_PGM_RSRC2:TGID_Y_EN: 0
; COMPUTE_PGM_RSRC2:TGID_Z_EN: 0
; COMPUTE_PGM_RSRC2:TIDIG_COMP_CNT: 0
	.section	.text._Z26warp_inclusive_scan_kernelIfLj64ELj16EENSt9enable_ifIXsr10test_utilsE35device_test_enabled_for_warp_size_vIXT1_EEEvE4typeEPT_S4_,"axG",@progbits,_Z26warp_inclusive_scan_kernelIfLj64ELj16EENSt9enable_ifIXsr10test_utilsE35device_test_enabled_for_warp_size_vIXT1_EEEvE4typeEPT_S4_,comdat
	.protected	_Z26warp_inclusive_scan_kernelIfLj64ELj16EENSt9enable_ifIXsr10test_utilsE35device_test_enabled_for_warp_size_vIXT1_EEEvE4typeEPT_S4_ ; -- Begin function _Z26warp_inclusive_scan_kernelIfLj64ELj16EENSt9enable_ifIXsr10test_utilsE35device_test_enabled_for_warp_size_vIXT1_EEEvE4typeEPT_S4_
	.globl	_Z26warp_inclusive_scan_kernelIfLj64ELj16EENSt9enable_ifIXsr10test_utilsE35device_test_enabled_for_warp_size_vIXT1_EEEvE4typeEPT_S4_
	.p2align	8
	.type	_Z26warp_inclusive_scan_kernelIfLj64ELj16EENSt9enable_ifIXsr10test_utilsE35device_test_enabled_for_warp_size_vIXT1_EEEvE4typeEPT_S4_,@function
_Z26warp_inclusive_scan_kernelIfLj64ELj16EENSt9enable_ifIXsr10test_utilsE35device_test_enabled_for_warp_size_vIXT1_EEEvE4typeEPT_S4_: ; @_Z26warp_inclusive_scan_kernelIfLj64ELj16EENSt9enable_ifIXsr10test_utilsE35device_test_enabled_for_warp_size_vIXT1_EEEvE4typeEPT_S4_
; %bb.0:
	s_load_dword s7, s[4:5], 0x1c
	s_load_dwordx4 s[0:3], s[4:5], 0x0
	v_mov_b32_e32 v1, 0
	s_waitcnt lgkmcnt(0)
	s_and_b32 s4, s7, 0xffff
	s_mul_i32 s6, s6, s4
	v_add_u32_e32 v0, s6, v0
	v_lshlrev_b64 v[0:1], 2, v[0:1]
	v_mov_b32_e32 v3, s1
	v_add_co_u32_e32 v2, vcc, s0, v0
	v_addc_co_u32_e32 v3, vcc, v3, v1, vcc
	global_load_dword v2, v[2:3], off
	v_mbcnt_lo_u32_b32 v3, -1, 0
	v_mbcnt_hi_u32_b32 v3, -1, v3
	v_and_b32_e32 v3, 15, v3
	v_cmp_eq_u32_e32 vcc, 0, v3
	v_mov_b32_e32 v4, s3
	s_waitcnt vmcnt(0)
	v_mov_b32_dpp v5, v2 row_shr:1 row_mask:0xf bank_mask:0xf
	v_add_f32_e32 v5, v2, v5
	v_cndmask_b32_e32 v2, v5, v2, vcc
	v_cmp_lt_u32_e32 vcc, 1, v3
	s_nop 0
	v_mov_b32_dpp v5, v2 row_shr:2 row_mask:0xf bank_mask:0xf
	v_add_f32_e32 v5, v2, v5
	v_cndmask_b32_e32 v2, v2, v5, vcc
	v_cmp_lt_u32_e32 vcc, 3, v3
	s_nop 0
	;; [unrolled: 5-line block ×3, first 2 shown]
	v_mov_b32_dpp v5, v2 row_shr:8 row_mask:0xf bank_mask:0xf
	v_add_f32_e32 v5, v2, v5
	v_cndmask_b32_e32 v2, v2, v5, vcc
	v_add_co_u32_e32 v0, vcc, s2, v0
	v_addc_co_u32_e32 v1, vcc, v4, v1, vcc
	global_store_dword v[0:1], v2, off
	s_endpgm
	.section	.rodata,"a",@progbits
	.p2align	6, 0x0
	.amdhsa_kernel _Z26warp_inclusive_scan_kernelIfLj64ELj16EENSt9enable_ifIXsr10test_utilsE35device_test_enabled_for_warp_size_vIXT1_EEEvE4typeEPT_S4_
		.amdhsa_group_segment_fixed_size 0
		.amdhsa_private_segment_fixed_size 0
		.amdhsa_kernarg_size 272
		.amdhsa_user_sgpr_count 6
		.amdhsa_user_sgpr_private_segment_buffer 1
		.amdhsa_user_sgpr_dispatch_ptr 0
		.amdhsa_user_sgpr_queue_ptr 0
		.amdhsa_user_sgpr_kernarg_segment_ptr 1
		.amdhsa_user_sgpr_dispatch_id 0
		.amdhsa_user_sgpr_flat_scratch_init 0
		.amdhsa_user_sgpr_private_segment_size 0
		.amdhsa_uses_dynamic_stack 0
		.amdhsa_system_sgpr_private_segment_wavefront_offset 0
		.amdhsa_system_sgpr_workgroup_id_x 1
		.amdhsa_system_sgpr_workgroup_id_y 0
		.amdhsa_system_sgpr_workgroup_id_z 0
		.amdhsa_system_sgpr_workgroup_info 0
		.amdhsa_system_vgpr_workitem_id 0
		.amdhsa_next_free_vgpr 6
		.amdhsa_next_free_sgpr 8
		.amdhsa_reserve_vcc 1
		.amdhsa_reserve_flat_scratch 0
		.amdhsa_float_round_mode_32 0
		.amdhsa_float_round_mode_16_64 0
		.amdhsa_float_denorm_mode_32 3
		.amdhsa_float_denorm_mode_16_64 3
		.amdhsa_dx10_clamp 1
		.amdhsa_ieee_mode 1
		.amdhsa_fp16_overflow 0
		.amdhsa_exception_fp_ieee_invalid_op 0
		.amdhsa_exception_fp_denorm_src 0
		.amdhsa_exception_fp_ieee_div_zero 0
		.amdhsa_exception_fp_ieee_overflow 0
		.amdhsa_exception_fp_ieee_underflow 0
		.amdhsa_exception_fp_ieee_inexact 0
		.amdhsa_exception_int_div_zero 0
	.end_amdhsa_kernel
	.section	.text._Z26warp_inclusive_scan_kernelIfLj64ELj16EENSt9enable_ifIXsr10test_utilsE35device_test_enabled_for_warp_size_vIXT1_EEEvE4typeEPT_S4_,"axG",@progbits,_Z26warp_inclusive_scan_kernelIfLj64ELj16EENSt9enable_ifIXsr10test_utilsE35device_test_enabled_for_warp_size_vIXT1_EEEvE4typeEPT_S4_,comdat
.Lfunc_end40:
	.size	_Z26warp_inclusive_scan_kernelIfLj64ELj16EENSt9enable_ifIXsr10test_utilsE35device_test_enabled_for_warp_size_vIXT1_EEEvE4typeEPT_S4_, .Lfunc_end40-_Z26warp_inclusive_scan_kernelIfLj64ELj16EENSt9enable_ifIXsr10test_utilsE35device_test_enabled_for_warp_size_vIXT1_EEEvE4typeEPT_S4_
                                        ; -- End function
	.set _Z26warp_inclusive_scan_kernelIfLj64ELj16EENSt9enable_ifIXsr10test_utilsE35device_test_enabled_for_warp_size_vIXT1_EEEvE4typeEPT_S4_.num_vgpr, 6
	.set _Z26warp_inclusive_scan_kernelIfLj64ELj16EENSt9enable_ifIXsr10test_utilsE35device_test_enabled_for_warp_size_vIXT1_EEEvE4typeEPT_S4_.num_agpr, 0
	.set _Z26warp_inclusive_scan_kernelIfLj64ELj16EENSt9enable_ifIXsr10test_utilsE35device_test_enabled_for_warp_size_vIXT1_EEEvE4typeEPT_S4_.numbered_sgpr, 8
	.set _Z26warp_inclusive_scan_kernelIfLj64ELj16EENSt9enable_ifIXsr10test_utilsE35device_test_enabled_for_warp_size_vIXT1_EEEvE4typeEPT_S4_.num_named_barrier, 0
	.set _Z26warp_inclusive_scan_kernelIfLj64ELj16EENSt9enable_ifIXsr10test_utilsE35device_test_enabled_for_warp_size_vIXT1_EEEvE4typeEPT_S4_.private_seg_size, 0
	.set _Z26warp_inclusive_scan_kernelIfLj64ELj16EENSt9enable_ifIXsr10test_utilsE35device_test_enabled_for_warp_size_vIXT1_EEEvE4typeEPT_S4_.uses_vcc, 1
	.set _Z26warp_inclusive_scan_kernelIfLj64ELj16EENSt9enable_ifIXsr10test_utilsE35device_test_enabled_for_warp_size_vIXT1_EEEvE4typeEPT_S4_.uses_flat_scratch, 0
	.set _Z26warp_inclusive_scan_kernelIfLj64ELj16EENSt9enable_ifIXsr10test_utilsE35device_test_enabled_for_warp_size_vIXT1_EEEvE4typeEPT_S4_.has_dyn_sized_stack, 0
	.set _Z26warp_inclusive_scan_kernelIfLj64ELj16EENSt9enable_ifIXsr10test_utilsE35device_test_enabled_for_warp_size_vIXT1_EEEvE4typeEPT_S4_.has_recursion, 0
	.set _Z26warp_inclusive_scan_kernelIfLj64ELj16EENSt9enable_ifIXsr10test_utilsE35device_test_enabled_for_warp_size_vIXT1_EEEvE4typeEPT_S4_.has_indirect_call, 0
	.section	.AMDGPU.csdata,"",@progbits
; Kernel info:
; codeLenInByte = 208
; TotalNumSgprs: 12
; NumVgprs: 6
; ScratchSize: 0
; MemoryBound: 0
; FloatMode: 240
; IeeeMode: 1
; LDSByteSize: 0 bytes/workgroup (compile time only)
; SGPRBlocks: 1
; VGPRBlocks: 1
; NumSGPRsForWavesPerEU: 12
; NumVGPRsForWavesPerEU: 6
; Occupancy: 10
; WaveLimiterHint : 0
; COMPUTE_PGM_RSRC2:SCRATCH_EN: 0
; COMPUTE_PGM_RSRC2:USER_SGPR: 6
; COMPUTE_PGM_RSRC2:TRAP_HANDLER: 0
; COMPUTE_PGM_RSRC2:TGID_X_EN: 1
; COMPUTE_PGM_RSRC2:TGID_Y_EN: 0
; COMPUTE_PGM_RSRC2:TGID_Z_EN: 0
; COMPUTE_PGM_RSRC2:TIDIG_COMP_CNT: 0
	.section	.text._Z26warp_inclusive_scan_kernelIfLj32ELj8EENSt9enable_ifIXsr10test_utilsE35device_test_enabled_for_warp_size_vIXT1_EEEvE4typeEPT_S4_,"axG",@progbits,_Z26warp_inclusive_scan_kernelIfLj32ELj8EENSt9enable_ifIXsr10test_utilsE35device_test_enabled_for_warp_size_vIXT1_EEEvE4typeEPT_S4_,comdat
	.protected	_Z26warp_inclusive_scan_kernelIfLj32ELj8EENSt9enable_ifIXsr10test_utilsE35device_test_enabled_for_warp_size_vIXT1_EEEvE4typeEPT_S4_ ; -- Begin function _Z26warp_inclusive_scan_kernelIfLj32ELj8EENSt9enable_ifIXsr10test_utilsE35device_test_enabled_for_warp_size_vIXT1_EEEvE4typeEPT_S4_
	.globl	_Z26warp_inclusive_scan_kernelIfLj32ELj8EENSt9enable_ifIXsr10test_utilsE35device_test_enabled_for_warp_size_vIXT1_EEEvE4typeEPT_S4_
	.p2align	8
	.type	_Z26warp_inclusive_scan_kernelIfLj32ELj8EENSt9enable_ifIXsr10test_utilsE35device_test_enabled_for_warp_size_vIXT1_EEEvE4typeEPT_S4_,@function
_Z26warp_inclusive_scan_kernelIfLj32ELj8EENSt9enable_ifIXsr10test_utilsE35device_test_enabled_for_warp_size_vIXT1_EEEvE4typeEPT_S4_: ; @_Z26warp_inclusive_scan_kernelIfLj32ELj8EENSt9enable_ifIXsr10test_utilsE35device_test_enabled_for_warp_size_vIXT1_EEEvE4typeEPT_S4_
; %bb.0:
	s_load_dword s7, s[4:5], 0x1c
	s_load_dwordx4 s[0:3], s[4:5], 0x0
	v_mov_b32_e32 v1, 0
	s_waitcnt lgkmcnt(0)
	s_and_b32 s4, s7, 0xffff
	s_mul_i32 s6, s6, s4
	v_add_u32_e32 v0, s6, v0
	v_lshlrev_b64 v[0:1], 2, v[0:1]
	v_mov_b32_e32 v3, s1
	v_add_co_u32_e32 v2, vcc, s0, v0
	v_addc_co_u32_e32 v3, vcc, v3, v1, vcc
	global_load_dword v2, v[2:3], off
	v_mbcnt_lo_u32_b32 v3, -1, 0
	v_mbcnt_hi_u32_b32 v3, -1, v3
	v_and_b32_e32 v3, 7, v3
	v_cmp_eq_u32_e32 vcc, 0, v3
	v_mov_b32_e32 v4, s3
	s_waitcnt vmcnt(0)
	v_mov_b32_dpp v5, v2 row_shr:1 row_mask:0xf bank_mask:0xf
	v_add_f32_e32 v5, v2, v5
	v_cndmask_b32_e32 v2, v5, v2, vcc
	v_cmp_lt_u32_e32 vcc, 1, v3
	s_nop 0
	v_mov_b32_dpp v5, v2 row_shr:2 row_mask:0xf bank_mask:0xf
	v_add_f32_e32 v5, v2, v5
	v_cndmask_b32_e32 v2, v2, v5, vcc
	v_cmp_lt_u32_e32 vcc, 3, v3
	s_nop 0
	v_mov_b32_dpp v5, v2 row_shr:4 row_mask:0xf bank_mask:0xf
	v_add_f32_e32 v5, v2, v5
	v_cndmask_b32_e32 v2, v2, v5, vcc
	v_add_co_u32_e32 v0, vcc, s2, v0
	v_addc_co_u32_e32 v1, vcc, v4, v1, vcc
	global_store_dword v[0:1], v2, off
	s_endpgm
	.section	.rodata,"a",@progbits
	.p2align	6, 0x0
	.amdhsa_kernel _Z26warp_inclusive_scan_kernelIfLj32ELj8EENSt9enable_ifIXsr10test_utilsE35device_test_enabled_for_warp_size_vIXT1_EEEvE4typeEPT_S4_
		.amdhsa_group_segment_fixed_size 0
		.amdhsa_private_segment_fixed_size 0
		.amdhsa_kernarg_size 272
		.amdhsa_user_sgpr_count 6
		.amdhsa_user_sgpr_private_segment_buffer 1
		.amdhsa_user_sgpr_dispatch_ptr 0
		.amdhsa_user_sgpr_queue_ptr 0
		.amdhsa_user_sgpr_kernarg_segment_ptr 1
		.amdhsa_user_sgpr_dispatch_id 0
		.amdhsa_user_sgpr_flat_scratch_init 0
		.amdhsa_user_sgpr_private_segment_size 0
		.amdhsa_uses_dynamic_stack 0
		.amdhsa_system_sgpr_private_segment_wavefront_offset 0
		.amdhsa_system_sgpr_workgroup_id_x 1
		.amdhsa_system_sgpr_workgroup_id_y 0
		.amdhsa_system_sgpr_workgroup_id_z 0
		.amdhsa_system_sgpr_workgroup_info 0
		.amdhsa_system_vgpr_workitem_id 0
		.amdhsa_next_free_vgpr 6
		.amdhsa_next_free_sgpr 8
		.amdhsa_reserve_vcc 1
		.amdhsa_reserve_flat_scratch 0
		.amdhsa_float_round_mode_32 0
		.amdhsa_float_round_mode_16_64 0
		.amdhsa_float_denorm_mode_32 3
		.amdhsa_float_denorm_mode_16_64 3
		.amdhsa_dx10_clamp 1
		.amdhsa_ieee_mode 1
		.amdhsa_fp16_overflow 0
		.amdhsa_exception_fp_ieee_invalid_op 0
		.amdhsa_exception_fp_denorm_src 0
		.amdhsa_exception_fp_ieee_div_zero 0
		.amdhsa_exception_fp_ieee_overflow 0
		.amdhsa_exception_fp_ieee_underflow 0
		.amdhsa_exception_fp_ieee_inexact 0
		.amdhsa_exception_int_div_zero 0
	.end_amdhsa_kernel
	.section	.text._Z26warp_inclusive_scan_kernelIfLj32ELj8EENSt9enable_ifIXsr10test_utilsE35device_test_enabled_for_warp_size_vIXT1_EEEvE4typeEPT_S4_,"axG",@progbits,_Z26warp_inclusive_scan_kernelIfLj32ELj8EENSt9enable_ifIXsr10test_utilsE35device_test_enabled_for_warp_size_vIXT1_EEEvE4typeEPT_S4_,comdat
.Lfunc_end41:
	.size	_Z26warp_inclusive_scan_kernelIfLj32ELj8EENSt9enable_ifIXsr10test_utilsE35device_test_enabled_for_warp_size_vIXT1_EEEvE4typeEPT_S4_, .Lfunc_end41-_Z26warp_inclusive_scan_kernelIfLj32ELj8EENSt9enable_ifIXsr10test_utilsE35device_test_enabled_for_warp_size_vIXT1_EEEvE4typeEPT_S4_
                                        ; -- End function
	.set _Z26warp_inclusive_scan_kernelIfLj32ELj8EENSt9enable_ifIXsr10test_utilsE35device_test_enabled_for_warp_size_vIXT1_EEEvE4typeEPT_S4_.num_vgpr, 6
	.set _Z26warp_inclusive_scan_kernelIfLj32ELj8EENSt9enable_ifIXsr10test_utilsE35device_test_enabled_for_warp_size_vIXT1_EEEvE4typeEPT_S4_.num_agpr, 0
	.set _Z26warp_inclusive_scan_kernelIfLj32ELj8EENSt9enable_ifIXsr10test_utilsE35device_test_enabled_for_warp_size_vIXT1_EEEvE4typeEPT_S4_.numbered_sgpr, 8
	.set _Z26warp_inclusive_scan_kernelIfLj32ELj8EENSt9enable_ifIXsr10test_utilsE35device_test_enabled_for_warp_size_vIXT1_EEEvE4typeEPT_S4_.num_named_barrier, 0
	.set _Z26warp_inclusive_scan_kernelIfLj32ELj8EENSt9enable_ifIXsr10test_utilsE35device_test_enabled_for_warp_size_vIXT1_EEEvE4typeEPT_S4_.private_seg_size, 0
	.set _Z26warp_inclusive_scan_kernelIfLj32ELj8EENSt9enable_ifIXsr10test_utilsE35device_test_enabled_for_warp_size_vIXT1_EEEvE4typeEPT_S4_.uses_vcc, 1
	.set _Z26warp_inclusive_scan_kernelIfLj32ELj8EENSt9enable_ifIXsr10test_utilsE35device_test_enabled_for_warp_size_vIXT1_EEEvE4typeEPT_S4_.uses_flat_scratch, 0
	.set _Z26warp_inclusive_scan_kernelIfLj32ELj8EENSt9enable_ifIXsr10test_utilsE35device_test_enabled_for_warp_size_vIXT1_EEEvE4typeEPT_S4_.has_dyn_sized_stack, 0
	.set _Z26warp_inclusive_scan_kernelIfLj32ELj8EENSt9enable_ifIXsr10test_utilsE35device_test_enabled_for_warp_size_vIXT1_EEEvE4typeEPT_S4_.has_recursion, 0
	.set _Z26warp_inclusive_scan_kernelIfLj32ELj8EENSt9enable_ifIXsr10test_utilsE35device_test_enabled_for_warp_size_vIXT1_EEEvE4typeEPT_S4_.has_indirect_call, 0
	.section	.AMDGPU.csdata,"",@progbits
; Kernel info:
; codeLenInByte = 184
; TotalNumSgprs: 12
; NumVgprs: 6
; ScratchSize: 0
; MemoryBound: 0
; FloatMode: 240
; IeeeMode: 1
; LDSByteSize: 0 bytes/workgroup (compile time only)
; SGPRBlocks: 1
; VGPRBlocks: 1
; NumSGPRsForWavesPerEU: 12
; NumVGPRsForWavesPerEU: 6
; Occupancy: 10
; WaveLimiterHint : 0
; COMPUTE_PGM_RSRC2:SCRATCH_EN: 0
; COMPUTE_PGM_RSRC2:USER_SGPR: 6
; COMPUTE_PGM_RSRC2:TRAP_HANDLER: 0
; COMPUTE_PGM_RSRC2:TGID_X_EN: 1
; COMPUTE_PGM_RSRC2:TGID_Y_EN: 0
; COMPUTE_PGM_RSRC2:TGID_Z_EN: 0
; COMPUTE_PGM_RSRC2:TIDIG_COMP_CNT: 0
	.section	.text._Z26warp_inclusive_scan_kernelIfLj64ELj8EENSt9enable_ifIXsr10test_utilsE35device_test_enabled_for_warp_size_vIXT1_EEEvE4typeEPT_S4_,"axG",@progbits,_Z26warp_inclusive_scan_kernelIfLj64ELj8EENSt9enable_ifIXsr10test_utilsE35device_test_enabled_for_warp_size_vIXT1_EEEvE4typeEPT_S4_,comdat
	.protected	_Z26warp_inclusive_scan_kernelIfLj64ELj8EENSt9enable_ifIXsr10test_utilsE35device_test_enabled_for_warp_size_vIXT1_EEEvE4typeEPT_S4_ ; -- Begin function _Z26warp_inclusive_scan_kernelIfLj64ELj8EENSt9enable_ifIXsr10test_utilsE35device_test_enabled_for_warp_size_vIXT1_EEEvE4typeEPT_S4_
	.globl	_Z26warp_inclusive_scan_kernelIfLj64ELj8EENSt9enable_ifIXsr10test_utilsE35device_test_enabled_for_warp_size_vIXT1_EEEvE4typeEPT_S4_
	.p2align	8
	.type	_Z26warp_inclusive_scan_kernelIfLj64ELj8EENSt9enable_ifIXsr10test_utilsE35device_test_enabled_for_warp_size_vIXT1_EEEvE4typeEPT_S4_,@function
_Z26warp_inclusive_scan_kernelIfLj64ELj8EENSt9enable_ifIXsr10test_utilsE35device_test_enabled_for_warp_size_vIXT1_EEEvE4typeEPT_S4_: ; @_Z26warp_inclusive_scan_kernelIfLj64ELj8EENSt9enable_ifIXsr10test_utilsE35device_test_enabled_for_warp_size_vIXT1_EEEvE4typeEPT_S4_
; %bb.0:
	s_load_dword s7, s[4:5], 0x1c
	s_load_dwordx4 s[0:3], s[4:5], 0x0
	v_mov_b32_e32 v1, 0
	s_waitcnt lgkmcnt(0)
	s_and_b32 s4, s7, 0xffff
	s_mul_i32 s6, s6, s4
	v_add_u32_e32 v0, s6, v0
	v_lshlrev_b64 v[0:1], 2, v[0:1]
	v_mov_b32_e32 v3, s1
	v_add_co_u32_e32 v2, vcc, s0, v0
	v_addc_co_u32_e32 v3, vcc, v3, v1, vcc
	global_load_dword v2, v[2:3], off
	v_mbcnt_lo_u32_b32 v3, -1, 0
	v_mbcnt_hi_u32_b32 v3, -1, v3
	v_and_b32_e32 v3, 7, v3
	v_cmp_eq_u32_e32 vcc, 0, v3
	v_mov_b32_e32 v4, s3
	s_waitcnt vmcnt(0)
	v_mov_b32_dpp v5, v2 row_shr:1 row_mask:0xf bank_mask:0xf
	v_add_f32_e32 v5, v2, v5
	v_cndmask_b32_e32 v2, v5, v2, vcc
	v_cmp_lt_u32_e32 vcc, 1, v3
	s_nop 0
	v_mov_b32_dpp v5, v2 row_shr:2 row_mask:0xf bank_mask:0xf
	v_add_f32_e32 v5, v2, v5
	v_cndmask_b32_e32 v2, v2, v5, vcc
	v_cmp_lt_u32_e32 vcc, 3, v3
	s_nop 0
	v_mov_b32_dpp v5, v2 row_shr:4 row_mask:0xf bank_mask:0xf
	v_add_f32_e32 v5, v2, v5
	v_cndmask_b32_e32 v2, v2, v5, vcc
	v_add_co_u32_e32 v0, vcc, s2, v0
	v_addc_co_u32_e32 v1, vcc, v4, v1, vcc
	global_store_dword v[0:1], v2, off
	s_endpgm
	.section	.rodata,"a",@progbits
	.p2align	6, 0x0
	.amdhsa_kernel _Z26warp_inclusive_scan_kernelIfLj64ELj8EENSt9enable_ifIXsr10test_utilsE35device_test_enabled_for_warp_size_vIXT1_EEEvE4typeEPT_S4_
		.amdhsa_group_segment_fixed_size 0
		.amdhsa_private_segment_fixed_size 0
		.amdhsa_kernarg_size 272
		.amdhsa_user_sgpr_count 6
		.amdhsa_user_sgpr_private_segment_buffer 1
		.amdhsa_user_sgpr_dispatch_ptr 0
		.amdhsa_user_sgpr_queue_ptr 0
		.amdhsa_user_sgpr_kernarg_segment_ptr 1
		.amdhsa_user_sgpr_dispatch_id 0
		.amdhsa_user_sgpr_flat_scratch_init 0
		.amdhsa_user_sgpr_private_segment_size 0
		.amdhsa_uses_dynamic_stack 0
		.amdhsa_system_sgpr_private_segment_wavefront_offset 0
		.amdhsa_system_sgpr_workgroup_id_x 1
		.amdhsa_system_sgpr_workgroup_id_y 0
		.amdhsa_system_sgpr_workgroup_id_z 0
		.amdhsa_system_sgpr_workgroup_info 0
		.amdhsa_system_vgpr_workitem_id 0
		.amdhsa_next_free_vgpr 6
		.amdhsa_next_free_sgpr 8
		.amdhsa_reserve_vcc 1
		.amdhsa_reserve_flat_scratch 0
		.amdhsa_float_round_mode_32 0
		.amdhsa_float_round_mode_16_64 0
		.amdhsa_float_denorm_mode_32 3
		.amdhsa_float_denorm_mode_16_64 3
		.amdhsa_dx10_clamp 1
		.amdhsa_ieee_mode 1
		.amdhsa_fp16_overflow 0
		.amdhsa_exception_fp_ieee_invalid_op 0
		.amdhsa_exception_fp_denorm_src 0
		.amdhsa_exception_fp_ieee_div_zero 0
		.amdhsa_exception_fp_ieee_overflow 0
		.amdhsa_exception_fp_ieee_underflow 0
		.amdhsa_exception_fp_ieee_inexact 0
		.amdhsa_exception_int_div_zero 0
	.end_amdhsa_kernel
	.section	.text._Z26warp_inclusive_scan_kernelIfLj64ELj8EENSt9enable_ifIXsr10test_utilsE35device_test_enabled_for_warp_size_vIXT1_EEEvE4typeEPT_S4_,"axG",@progbits,_Z26warp_inclusive_scan_kernelIfLj64ELj8EENSt9enable_ifIXsr10test_utilsE35device_test_enabled_for_warp_size_vIXT1_EEEvE4typeEPT_S4_,comdat
.Lfunc_end42:
	.size	_Z26warp_inclusive_scan_kernelIfLj64ELj8EENSt9enable_ifIXsr10test_utilsE35device_test_enabled_for_warp_size_vIXT1_EEEvE4typeEPT_S4_, .Lfunc_end42-_Z26warp_inclusive_scan_kernelIfLj64ELj8EENSt9enable_ifIXsr10test_utilsE35device_test_enabled_for_warp_size_vIXT1_EEEvE4typeEPT_S4_
                                        ; -- End function
	.set _Z26warp_inclusive_scan_kernelIfLj64ELj8EENSt9enable_ifIXsr10test_utilsE35device_test_enabled_for_warp_size_vIXT1_EEEvE4typeEPT_S4_.num_vgpr, 6
	.set _Z26warp_inclusive_scan_kernelIfLj64ELj8EENSt9enable_ifIXsr10test_utilsE35device_test_enabled_for_warp_size_vIXT1_EEEvE4typeEPT_S4_.num_agpr, 0
	.set _Z26warp_inclusive_scan_kernelIfLj64ELj8EENSt9enable_ifIXsr10test_utilsE35device_test_enabled_for_warp_size_vIXT1_EEEvE4typeEPT_S4_.numbered_sgpr, 8
	.set _Z26warp_inclusive_scan_kernelIfLj64ELj8EENSt9enable_ifIXsr10test_utilsE35device_test_enabled_for_warp_size_vIXT1_EEEvE4typeEPT_S4_.num_named_barrier, 0
	.set _Z26warp_inclusive_scan_kernelIfLj64ELj8EENSt9enable_ifIXsr10test_utilsE35device_test_enabled_for_warp_size_vIXT1_EEEvE4typeEPT_S4_.private_seg_size, 0
	.set _Z26warp_inclusive_scan_kernelIfLj64ELj8EENSt9enable_ifIXsr10test_utilsE35device_test_enabled_for_warp_size_vIXT1_EEEvE4typeEPT_S4_.uses_vcc, 1
	.set _Z26warp_inclusive_scan_kernelIfLj64ELj8EENSt9enable_ifIXsr10test_utilsE35device_test_enabled_for_warp_size_vIXT1_EEEvE4typeEPT_S4_.uses_flat_scratch, 0
	.set _Z26warp_inclusive_scan_kernelIfLj64ELj8EENSt9enable_ifIXsr10test_utilsE35device_test_enabled_for_warp_size_vIXT1_EEEvE4typeEPT_S4_.has_dyn_sized_stack, 0
	.set _Z26warp_inclusive_scan_kernelIfLj64ELj8EENSt9enable_ifIXsr10test_utilsE35device_test_enabled_for_warp_size_vIXT1_EEEvE4typeEPT_S4_.has_recursion, 0
	.set _Z26warp_inclusive_scan_kernelIfLj64ELj8EENSt9enable_ifIXsr10test_utilsE35device_test_enabled_for_warp_size_vIXT1_EEEvE4typeEPT_S4_.has_indirect_call, 0
	.section	.AMDGPU.csdata,"",@progbits
; Kernel info:
; codeLenInByte = 184
; TotalNumSgprs: 12
; NumVgprs: 6
; ScratchSize: 0
; MemoryBound: 0
; FloatMode: 240
; IeeeMode: 1
; LDSByteSize: 0 bytes/workgroup (compile time only)
; SGPRBlocks: 1
; VGPRBlocks: 1
; NumSGPRsForWavesPerEU: 12
; NumVGPRsForWavesPerEU: 6
; Occupancy: 10
; WaveLimiterHint : 0
; COMPUTE_PGM_RSRC2:SCRATCH_EN: 0
; COMPUTE_PGM_RSRC2:USER_SGPR: 6
; COMPUTE_PGM_RSRC2:TRAP_HANDLER: 0
; COMPUTE_PGM_RSRC2:TGID_X_EN: 1
; COMPUTE_PGM_RSRC2:TGID_Y_EN: 0
; COMPUTE_PGM_RSRC2:TGID_Z_EN: 0
; COMPUTE_PGM_RSRC2:TIDIG_COMP_CNT: 0
	.section	.text._Z26warp_inclusive_scan_kernelIfLj32ELj4EENSt9enable_ifIXsr10test_utilsE35device_test_enabled_for_warp_size_vIXT1_EEEvE4typeEPT_S4_,"axG",@progbits,_Z26warp_inclusive_scan_kernelIfLj32ELj4EENSt9enable_ifIXsr10test_utilsE35device_test_enabled_for_warp_size_vIXT1_EEEvE4typeEPT_S4_,comdat
	.protected	_Z26warp_inclusive_scan_kernelIfLj32ELj4EENSt9enable_ifIXsr10test_utilsE35device_test_enabled_for_warp_size_vIXT1_EEEvE4typeEPT_S4_ ; -- Begin function _Z26warp_inclusive_scan_kernelIfLj32ELj4EENSt9enable_ifIXsr10test_utilsE35device_test_enabled_for_warp_size_vIXT1_EEEvE4typeEPT_S4_
	.globl	_Z26warp_inclusive_scan_kernelIfLj32ELj4EENSt9enable_ifIXsr10test_utilsE35device_test_enabled_for_warp_size_vIXT1_EEEvE4typeEPT_S4_
	.p2align	8
	.type	_Z26warp_inclusive_scan_kernelIfLj32ELj4EENSt9enable_ifIXsr10test_utilsE35device_test_enabled_for_warp_size_vIXT1_EEEvE4typeEPT_S4_,@function
_Z26warp_inclusive_scan_kernelIfLj32ELj4EENSt9enable_ifIXsr10test_utilsE35device_test_enabled_for_warp_size_vIXT1_EEEvE4typeEPT_S4_: ; @_Z26warp_inclusive_scan_kernelIfLj32ELj4EENSt9enable_ifIXsr10test_utilsE35device_test_enabled_for_warp_size_vIXT1_EEEvE4typeEPT_S4_
; %bb.0:
	s_load_dword s7, s[4:5], 0x1c
	s_load_dwordx4 s[0:3], s[4:5], 0x0
	v_mov_b32_e32 v1, 0
	s_waitcnt lgkmcnt(0)
	s_and_b32 s4, s7, 0xffff
	s_mul_i32 s6, s6, s4
	v_add_u32_e32 v0, s6, v0
	v_lshlrev_b64 v[0:1], 2, v[0:1]
	v_mov_b32_e32 v3, s1
	v_add_co_u32_e32 v2, vcc, s0, v0
	v_addc_co_u32_e32 v3, vcc, v3, v1, vcc
	global_load_dword v2, v[2:3], off
	v_mbcnt_lo_u32_b32 v3, -1, 0
	v_mbcnt_hi_u32_b32 v3, -1, v3
	v_and_b32_e32 v3, 3, v3
	v_cmp_eq_u32_e32 vcc, 0, v3
	v_mov_b32_e32 v4, s3
	s_waitcnt vmcnt(0)
	v_mov_b32_dpp v5, v2 row_shr:1 row_mask:0xf bank_mask:0xf
	v_add_f32_e32 v5, v2, v5
	v_cndmask_b32_e32 v2, v5, v2, vcc
	v_cmp_lt_u32_e32 vcc, 1, v3
	s_nop 0
	v_mov_b32_dpp v5, v2 row_shr:2 row_mask:0xf bank_mask:0xf
	v_add_f32_e32 v5, v2, v5
	v_cndmask_b32_e32 v2, v2, v5, vcc
	v_add_co_u32_e32 v0, vcc, s2, v0
	v_addc_co_u32_e32 v1, vcc, v4, v1, vcc
	global_store_dword v[0:1], v2, off
	s_endpgm
	.section	.rodata,"a",@progbits
	.p2align	6, 0x0
	.amdhsa_kernel _Z26warp_inclusive_scan_kernelIfLj32ELj4EENSt9enable_ifIXsr10test_utilsE35device_test_enabled_for_warp_size_vIXT1_EEEvE4typeEPT_S4_
		.amdhsa_group_segment_fixed_size 0
		.amdhsa_private_segment_fixed_size 0
		.amdhsa_kernarg_size 272
		.amdhsa_user_sgpr_count 6
		.amdhsa_user_sgpr_private_segment_buffer 1
		.amdhsa_user_sgpr_dispatch_ptr 0
		.amdhsa_user_sgpr_queue_ptr 0
		.amdhsa_user_sgpr_kernarg_segment_ptr 1
		.amdhsa_user_sgpr_dispatch_id 0
		.amdhsa_user_sgpr_flat_scratch_init 0
		.amdhsa_user_sgpr_private_segment_size 0
		.amdhsa_uses_dynamic_stack 0
		.amdhsa_system_sgpr_private_segment_wavefront_offset 0
		.amdhsa_system_sgpr_workgroup_id_x 1
		.amdhsa_system_sgpr_workgroup_id_y 0
		.amdhsa_system_sgpr_workgroup_id_z 0
		.amdhsa_system_sgpr_workgroup_info 0
		.amdhsa_system_vgpr_workitem_id 0
		.amdhsa_next_free_vgpr 6
		.amdhsa_next_free_sgpr 8
		.amdhsa_reserve_vcc 1
		.amdhsa_reserve_flat_scratch 0
		.amdhsa_float_round_mode_32 0
		.amdhsa_float_round_mode_16_64 0
		.amdhsa_float_denorm_mode_32 3
		.amdhsa_float_denorm_mode_16_64 3
		.amdhsa_dx10_clamp 1
		.amdhsa_ieee_mode 1
		.amdhsa_fp16_overflow 0
		.amdhsa_exception_fp_ieee_invalid_op 0
		.amdhsa_exception_fp_denorm_src 0
		.amdhsa_exception_fp_ieee_div_zero 0
		.amdhsa_exception_fp_ieee_overflow 0
		.amdhsa_exception_fp_ieee_underflow 0
		.amdhsa_exception_fp_ieee_inexact 0
		.amdhsa_exception_int_div_zero 0
	.end_amdhsa_kernel
	.section	.text._Z26warp_inclusive_scan_kernelIfLj32ELj4EENSt9enable_ifIXsr10test_utilsE35device_test_enabled_for_warp_size_vIXT1_EEEvE4typeEPT_S4_,"axG",@progbits,_Z26warp_inclusive_scan_kernelIfLj32ELj4EENSt9enable_ifIXsr10test_utilsE35device_test_enabled_for_warp_size_vIXT1_EEEvE4typeEPT_S4_,comdat
.Lfunc_end43:
	.size	_Z26warp_inclusive_scan_kernelIfLj32ELj4EENSt9enable_ifIXsr10test_utilsE35device_test_enabled_for_warp_size_vIXT1_EEEvE4typeEPT_S4_, .Lfunc_end43-_Z26warp_inclusive_scan_kernelIfLj32ELj4EENSt9enable_ifIXsr10test_utilsE35device_test_enabled_for_warp_size_vIXT1_EEEvE4typeEPT_S4_
                                        ; -- End function
	.set _Z26warp_inclusive_scan_kernelIfLj32ELj4EENSt9enable_ifIXsr10test_utilsE35device_test_enabled_for_warp_size_vIXT1_EEEvE4typeEPT_S4_.num_vgpr, 6
	.set _Z26warp_inclusive_scan_kernelIfLj32ELj4EENSt9enable_ifIXsr10test_utilsE35device_test_enabled_for_warp_size_vIXT1_EEEvE4typeEPT_S4_.num_agpr, 0
	.set _Z26warp_inclusive_scan_kernelIfLj32ELj4EENSt9enable_ifIXsr10test_utilsE35device_test_enabled_for_warp_size_vIXT1_EEEvE4typeEPT_S4_.numbered_sgpr, 8
	.set _Z26warp_inclusive_scan_kernelIfLj32ELj4EENSt9enable_ifIXsr10test_utilsE35device_test_enabled_for_warp_size_vIXT1_EEEvE4typeEPT_S4_.num_named_barrier, 0
	.set _Z26warp_inclusive_scan_kernelIfLj32ELj4EENSt9enable_ifIXsr10test_utilsE35device_test_enabled_for_warp_size_vIXT1_EEEvE4typeEPT_S4_.private_seg_size, 0
	.set _Z26warp_inclusive_scan_kernelIfLj32ELj4EENSt9enable_ifIXsr10test_utilsE35device_test_enabled_for_warp_size_vIXT1_EEEvE4typeEPT_S4_.uses_vcc, 1
	.set _Z26warp_inclusive_scan_kernelIfLj32ELj4EENSt9enable_ifIXsr10test_utilsE35device_test_enabled_for_warp_size_vIXT1_EEEvE4typeEPT_S4_.uses_flat_scratch, 0
	.set _Z26warp_inclusive_scan_kernelIfLj32ELj4EENSt9enable_ifIXsr10test_utilsE35device_test_enabled_for_warp_size_vIXT1_EEEvE4typeEPT_S4_.has_dyn_sized_stack, 0
	.set _Z26warp_inclusive_scan_kernelIfLj32ELj4EENSt9enable_ifIXsr10test_utilsE35device_test_enabled_for_warp_size_vIXT1_EEEvE4typeEPT_S4_.has_recursion, 0
	.set _Z26warp_inclusive_scan_kernelIfLj32ELj4EENSt9enable_ifIXsr10test_utilsE35device_test_enabled_for_warp_size_vIXT1_EEEvE4typeEPT_S4_.has_indirect_call, 0
	.section	.AMDGPU.csdata,"",@progbits
; Kernel info:
; codeLenInByte = 160
; TotalNumSgprs: 12
; NumVgprs: 6
; ScratchSize: 0
; MemoryBound: 0
; FloatMode: 240
; IeeeMode: 1
; LDSByteSize: 0 bytes/workgroup (compile time only)
; SGPRBlocks: 1
; VGPRBlocks: 1
; NumSGPRsForWavesPerEU: 12
; NumVGPRsForWavesPerEU: 6
; Occupancy: 10
; WaveLimiterHint : 0
; COMPUTE_PGM_RSRC2:SCRATCH_EN: 0
; COMPUTE_PGM_RSRC2:USER_SGPR: 6
; COMPUTE_PGM_RSRC2:TRAP_HANDLER: 0
; COMPUTE_PGM_RSRC2:TGID_X_EN: 1
; COMPUTE_PGM_RSRC2:TGID_Y_EN: 0
; COMPUTE_PGM_RSRC2:TGID_Z_EN: 0
; COMPUTE_PGM_RSRC2:TIDIG_COMP_CNT: 0
	.section	.text._Z26warp_inclusive_scan_kernelIfLj64ELj4EENSt9enable_ifIXsr10test_utilsE35device_test_enabled_for_warp_size_vIXT1_EEEvE4typeEPT_S4_,"axG",@progbits,_Z26warp_inclusive_scan_kernelIfLj64ELj4EENSt9enable_ifIXsr10test_utilsE35device_test_enabled_for_warp_size_vIXT1_EEEvE4typeEPT_S4_,comdat
	.protected	_Z26warp_inclusive_scan_kernelIfLj64ELj4EENSt9enable_ifIXsr10test_utilsE35device_test_enabled_for_warp_size_vIXT1_EEEvE4typeEPT_S4_ ; -- Begin function _Z26warp_inclusive_scan_kernelIfLj64ELj4EENSt9enable_ifIXsr10test_utilsE35device_test_enabled_for_warp_size_vIXT1_EEEvE4typeEPT_S4_
	.globl	_Z26warp_inclusive_scan_kernelIfLj64ELj4EENSt9enable_ifIXsr10test_utilsE35device_test_enabled_for_warp_size_vIXT1_EEEvE4typeEPT_S4_
	.p2align	8
	.type	_Z26warp_inclusive_scan_kernelIfLj64ELj4EENSt9enable_ifIXsr10test_utilsE35device_test_enabled_for_warp_size_vIXT1_EEEvE4typeEPT_S4_,@function
_Z26warp_inclusive_scan_kernelIfLj64ELj4EENSt9enable_ifIXsr10test_utilsE35device_test_enabled_for_warp_size_vIXT1_EEEvE4typeEPT_S4_: ; @_Z26warp_inclusive_scan_kernelIfLj64ELj4EENSt9enable_ifIXsr10test_utilsE35device_test_enabled_for_warp_size_vIXT1_EEEvE4typeEPT_S4_
; %bb.0:
	s_load_dword s7, s[4:5], 0x1c
	s_load_dwordx4 s[0:3], s[4:5], 0x0
	v_mov_b32_e32 v1, 0
	s_waitcnt lgkmcnt(0)
	s_and_b32 s4, s7, 0xffff
	s_mul_i32 s6, s6, s4
	v_add_u32_e32 v0, s6, v0
	v_lshlrev_b64 v[0:1], 2, v[0:1]
	v_mov_b32_e32 v3, s1
	v_add_co_u32_e32 v2, vcc, s0, v0
	v_addc_co_u32_e32 v3, vcc, v3, v1, vcc
	global_load_dword v2, v[2:3], off
	v_mbcnt_lo_u32_b32 v3, -1, 0
	v_mbcnt_hi_u32_b32 v3, -1, v3
	v_and_b32_e32 v3, 3, v3
	v_cmp_eq_u32_e32 vcc, 0, v3
	v_mov_b32_e32 v4, s3
	s_waitcnt vmcnt(0)
	v_mov_b32_dpp v5, v2 row_shr:1 row_mask:0xf bank_mask:0xf
	v_add_f32_e32 v5, v2, v5
	v_cndmask_b32_e32 v2, v5, v2, vcc
	v_cmp_lt_u32_e32 vcc, 1, v3
	s_nop 0
	v_mov_b32_dpp v5, v2 row_shr:2 row_mask:0xf bank_mask:0xf
	v_add_f32_e32 v5, v2, v5
	v_cndmask_b32_e32 v2, v2, v5, vcc
	v_add_co_u32_e32 v0, vcc, s2, v0
	v_addc_co_u32_e32 v1, vcc, v4, v1, vcc
	global_store_dword v[0:1], v2, off
	s_endpgm
	.section	.rodata,"a",@progbits
	.p2align	6, 0x0
	.amdhsa_kernel _Z26warp_inclusive_scan_kernelIfLj64ELj4EENSt9enable_ifIXsr10test_utilsE35device_test_enabled_for_warp_size_vIXT1_EEEvE4typeEPT_S4_
		.amdhsa_group_segment_fixed_size 0
		.amdhsa_private_segment_fixed_size 0
		.amdhsa_kernarg_size 272
		.amdhsa_user_sgpr_count 6
		.amdhsa_user_sgpr_private_segment_buffer 1
		.amdhsa_user_sgpr_dispatch_ptr 0
		.amdhsa_user_sgpr_queue_ptr 0
		.amdhsa_user_sgpr_kernarg_segment_ptr 1
		.amdhsa_user_sgpr_dispatch_id 0
		.amdhsa_user_sgpr_flat_scratch_init 0
		.amdhsa_user_sgpr_private_segment_size 0
		.amdhsa_uses_dynamic_stack 0
		.amdhsa_system_sgpr_private_segment_wavefront_offset 0
		.amdhsa_system_sgpr_workgroup_id_x 1
		.amdhsa_system_sgpr_workgroup_id_y 0
		.amdhsa_system_sgpr_workgroup_id_z 0
		.amdhsa_system_sgpr_workgroup_info 0
		.amdhsa_system_vgpr_workitem_id 0
		.amdhsa_next_free_vgpr 6
		.amdhsa_next_free_sgpr 8
		.amdhsa_reserve_vcc 1
		.amdhsa_reserve_flat_scratch 0
		.amdhsa_float_round_mode_32 0
		.amdhsa_float_round_mode_16_64 0
		.amdhsa_float_denorm_mode_32 3
		.amdhsa_float_denorm_mode_16_64 3
		.amdhsa_dx10_clamp 1
		.amdhsa_ieee_mode 1
		.amdhsa_fp16_overflow 0
		.amdhsa_exception_fp_ieee_invalid_op 0
		.amdhsa_exception_fp_denorm_src 0
		.amdhsa_exception_fp_ieee_div_zero 0
		.amdhsa_exception_fp_ieee_overflow 0
		.amdhsa_exception_fp_ieee_underflow 0
		.amdhsa_exception_fp_ieee_inexact 0
		.amdhsa_exception_int_div_zero 0
	.end_amdhsa_kernel
	.section	.text._Z26warp_inclusive_scan_kernelIfLj64ELj4EENSt9enable_ifIXsr10test_utilsE35device_test_enabled_for_warp_size_vIXT1_EEEvE4typeEPT_S4_,"axG",@progbits,_Z26warp_inclusive_scan_kernelIfLj64ELj4EENSt9enable_ifIXsr10test_utilsE35device_test_enabled_for_warp_size_vIXT1_EEEvE4typeEPT_S4_,comdat
.Lfunc_end44:
	.size	_Z26warp_inclusive_scan_kernelIfLj64ELj4EENSt9enable_ifIXsr10test_utilsE35device_test_enabled_for_warp_size_vIXT1_EEEvE4typeEPT_S4_, .Lfunc_end44-_Z26warp_inclusive_scan_kernelIfLj64ELj4EENSt9enable_ifIXsr10test_utilsE35device_test_enabled_for_warp_size_vIXT1_EEEvE4typeEPT_S4_
                                        ; -- End function
	.set _Z26warp_inclusive_scan_kernelIfLj64ELj4EENSt9enable_ifIXsr10test_utilsE35device_test_enabled_for_warp_size_vIXT1_EEEvE4typeEPT_S4_.num_vgpr, 6
	.set _Z26warp_inclusive_scan_kernelIfLj64ELj4EENSt9enable_ifIXsr10test_utilsE35device_test_enabled_for_warp_size_vIXT1_EEEvE4typeEPT_S4_.num_agpr, 0
	.set _Z26warp_inclusive_scan_kernelIfLj64ELj4EENSt9enable_ifIXsr10test_utilsE35device_test_enabled_for_warp_size_vIXT1_EEEvE4typeEPT_S4_.numbered_sgpr, 8
	.set _Z26warp_inclusive_scan_kernelIfLj64ELj4EENSt9enable_ifIXsr10test_utilsE35device_test_enabled_for_warp_size_vIXT1_EEEvE4typeEPT_S4_.num_named_barrier, 0
	.set _Z26warp_inclusive_scan_kernelIfLj64ELj4EENSt9enable_ifIXsr10test_utilsE35device_test_enabled_for_warp_size_vIXT1_EEEvE4typeEPT_S4_.private_seg_size, 0
	.set _Z26warp_inclusive_scan_kernelIfLj64ELj4EENSt9enable_ifIXsr10test_utilsE35device_test_enabled_for_warp_size_vIXT1_EEEvE4typeEPT_S4_.uses_vcc, 1
	.set _Z26warp_inclusive_scan_kernelIfLj64ELj4EENSt9enable_ifIXsr10test_utilsE35device_test_enabled_for_warp_size_vIXT1_EEEvE4typeEPT_S4_.uses_flat_scratch, 0
	.set _Z26warp_inclusive_scan_kernelIfLj64ELj4EENSt9enable_ifIXsr10test_utilsE35device_test_enabled_for_warp_size_vIXT1_EEEvE4typeEPT_S4_.has_dyn_sized_stack, 0
	.set _Z26warp_inclusive_scan_kernelIfLj64ELj4EENSt9enable_ifIXsr10test_utilsE35device_test_enabled_for_warp_size_vIXT1_EEEvE4typeEPT_S4_.has_recursion, 0
	.set _Z26warp_inclusive_scan_kernelIfLj64ELj4EENSt9enable_ifIXsr10test_utilsE35device_test_enabled_for_warp_size_vIXT1_EEEvE4typeEPT_S4_.has_indirect_call, 0
	.section	.AMDGPU.csdata,"",@progbits
; Kernel info:
; codeLenInByte = 160
; TotalNumSgprs: 12
; NumVgprs: 6
; ScratchSize: 0
; MemoryBound: 0
; FloatMode: 240
; IeeeMode: 1
; LDSByteSize: 0 bytes/workgroup (compile time only)
; SGPRBlocks: 1
; VGPRBlocks: 1
; NumSGPRsForWavesPerEU: 12
; NumVGPRsForWavesPerEU: 6
; Occupancy: 10
; WaveLimiterHint : 0
; COMPUTE_PGM_RSRC2:SCRATCH_EN: 0
; COMPUTE_PGM_RSRC2:USER_SGPR: 6
; COMPUTE_PGM_RSRC2:TRAP_HANDLER: 0
; COMPUTE_PGM_RSRC2:TGID_X_EN: 1
; COMPUTE_PGM_RSRC2:TGID_Y_EN: 0
; COMPUTE_PGM_RSRC2:TGID_Z_EN: 0
; COMPUTE_PGM_RSRC2:TIDIG_COMP_CNT: 0
	.section	.text._Z26warp_inclusive_scan_kernelIfLj32ELj2EENSt9enable_ifIXsr10test_utilsE35device_test_enabled_for_warp_size_vIXT1_EEEvE4typeEPT_S4_,"axG",@progbits,_Z26warp_inclusive_scan_kernelIfLj32ELj2EENSt9enable_ifIXsr10test_utilsE35device_test_enabled_for_warp_size_vIXT1_EEEvE4typeEPT_S4_,comdat
	.protected	_Z26warp_inclusive_scan_kernelIfLj32ELj2EENSt9enable_ifIXsr10test_utilsE35device_test_enabled_for_warp_size_vIXT1_EEEvE4typeEPT_S4_ ; -- Begin function _Z26warp_inclusive_scan_kernelIfLj32ELj2EENSt9enable_ifIXsr10test_utilsE35device_test_enabled_for_warp_size_vIXT1_EEEvE4typeEPT_S4_
	.globl	_Z26warp_inclusive_scan_kernelIfLj32ELj2EENSt9enable_ifIXsr10test_utilsE35device_test_enabled_for_warp_size_vIXT1_EEEvE4typeEPT_S4_
	.p2align	8
	.type	_Z26warp_inclusive_scan_kernelIfLj32ELj2EENSt9enable_ifIXsr10test_utilsE35device_test_enabled_for_warp_size_vIXT1_EEEvE4typeEPT_S4_,@function
_Z26warp_inclusive_scan_kernelIfLj32ELj2EENSt9enable_ifIXsr10test_utilsE35device_test_enabled_for_warp_size_vIXT1_EEEvE4typeEPT_S4_: ; @_Z26warp_inclusive_scan_kernelIfLj32ELj2EENSt9enable_ifIXsr10test_utilsE35device_test_enabled_for_warp_size_vIXT1_EEEvE4typeEPT_S4_
; %bb.0:
	s_load_dword s7, s[4:5], 0x1c
	s_load_dwordx4 s[0:3], s[4:5], 0x0
	v_mov_b32_e32 v1, 0
	s_waitcnt lgkmcnt(0)
	s_and_b32 s4, s7, 0xffff
	s_mul_i32 s6, s6, s4
	v_add_u32_e32 v0, s6, v0
	v_lshlrev_b64 v[0:1], 2, v[0:1]
	v_mov_b32_e32 v3, s1
	v_add_co_u32_e32 v2, vcc, s0, v0
	v_addc_co_u32_e32 v3, vcc, v3, v1, vcc
	global_load_dword v2, v[2:3], off
	v_mbcnt_lo_u32_b32 v3, -1, 0
	v_mbcnt_hi_u32_b32 v3, -1, v3
	v_and_b32_e32 v3, 1, v3
	v_cmp_eq_u32_e32 vcc, 0, v3
	v_mov_b32_e32 v4, s3
	s_waitcnt vmcnt(0)
	v_mov_b32_dpp v5, v2 row_shr:1 row_mask:0xf bank_mask:0xf
	v_add_f32_e32 v5, v2, v5
	v_cndmask_b32_e32 v2, v5, v2, vcc
	v_add_co_u32_e32 v0, vcc, s2, v0
	v_addc_co_u32_e32 v1, vcc, v4, v1, vcc
	global_store_dword v[0:1], v2, off
	s_endpgm
	.section	.rodata,"a",@progbits
	.p2align	6, 0x0
	.amdhsa_kernel _Z26warp_inclusive_scan_kernelIfLj32ELj2EENSt9enable_ifIXsr10test_utilsE35device_test_enabled_for_warp_size_vIXT1_EEEvE4typeEPT_S4_
		.amdhsa_group_segment_fixed_size 0
		.amdhsa_private_segment_fixed_size 0
		.amdhsa_kernarg_size 272
		.amdhsa_user_sgpr_count 6
		.amdhsa_user_sgpr_private_segment_buffer 1
		.amdhsa_user_sgpr_dispatch_ptr 0
		.amdhsa_user_sgpr_queue_ptr 0
		.amdhsa_user_sgpr_kernarg_segment_ptr 1
		.amdhsa_user_sgpr_dispatch_id 0
		.amdhsa_user_sgpr_flat_scratch_init 0
		.amdhsa_user_sgpr_private_segment_size 0
		.amdhsa_uses_dynamic_stack 0
		.amdhsa_system_sgpr_private_segment_wavefront_offset 0
		.amdhsa_system_sgpr_workgroup_id_x 1
		.amdhsa_system_sgpr_workgroup_id_y 0
		.amdhsa_system_sgpr_workgroup_id_z 0
		.amdhsa_system_sgpr_workgroup_info 0
		.amdhsa_system_vgpr_workitem_id 0
		.amdhsa_next_free_vgpr 6
		.amdhsa_next_free_sgpr 8
		.amdhsa_reserve_vcc 1
		.amdhsa_reserve_flat_scratch 0
		.amdhsa_float_round_mode_32 0
		.amdhsa_float_round_mode_16_64 0
		.amdhsa_float_denorm_mode_32 3
		.amdhsa_float_denorm_mode_16_64 3
		.amdhsa_dx10_clamp 1
		.amdhsa_ieee_mode 1
		.amdhsa_fp16_overflow 0
		.amdhsa_exception_fp_ieee_invalid_op 0
		.amdhsa_exception_fp_denorm_src 0
		.amdhsa_exception_fp_ieee_div_zero 0
		.amdhsa_exception_fp_ieee_overflow 0
		.amdhsa_exception_fp_ieee_underflow 0
		.amdhsa_exception_fp_ieee_inexact 0
		.amdhsa_exception_int_div_zero 0
	.end_amdhsa_kernel
	.section	.text._Z26warp_inclusive_scan_kernelIfLj32ELj2EENSt9enable_ifIXsr10test_utilsE35device_test_enabled_for_warp_size_vIXT1_EEEvE4typeEPT_S4_,"axG",@progbits,_Z26warp_inclusive_scan_kernelIfLj32ELj2EENSt9enable_ifIXsr10test_utilsE35device_test_enabled_for_warp_size_vIXT1_EEEvE4typeEPT_S4_,comdat
.Lfunc_end45:
	.size	_Z26warp_inclusive_scan_kernelIfLj32ELj2EENSt9enable_ifIXsr10test_utilsE35device_test_enabled_for_warp_size_vIXT1_EEEvE4typeEPT_S4_, .Lfunc_end45-_Z26warp_inclusive_scan_kernelIfLj32ELj2EENSt9enable_ifIXsr10test_utilsE35device_test_enabled_for_warp_size_vIXT1_EEEvE4typeEPT_S4_
                                        ; -- End function
	.set _Z26warp_inclusive_scan_kernelIfLj32ELj2EENSt9enable_ifIXsr10test_utilsE35device_test_enabled_for_warp_size_vIXT1_EEEvE4typeEPT_S4_.num_vgpr, 6
	.set _Z26warp_inclusive_scan_kernelIfLj32ELj2EENSt9enable_ifIXsr10test_utilsE35device_test_enabled_for_warp_size_vIXT1_EEEvE4typeEPT_S4_.num_agpr, 0
	.set _Z26warp_inclusive_scan_kernelIfLj32ELj2EENSt9enable_ifIXsr10test_utilsE35device_test_enabled_for_warp_size_vIXT1_EEEvE4typeEPT_S4_.numbered_sgpr, 8
	.set _Z26warp_inclusive_scan_kernelIfLj32ELj2EENSt9enable_ifIXsr10test_utilsE35device_test_enabled_for_warp_size_vIXT1_EEEvE4typeEPT_S4_.num_named_barrier, 0
	.set _Z26warp_inclusive_scan_kernelIfLj32ELj2EENSt9enable_ifIXsr10test_utilsE35device_test_enabled_for_warp_size_vIXT1_EEEvE4typeEPT_S4_.private_seg_size, 0
	.set _Z26warp_inclusive_scan_kernelIfLj32ELj2EENSt9enable_ifIXsr10test_utilsE35device_test_enabled_for_warp_size_vIXT1_EEEvE4typeEPT_S4_.uses_vcc, 1
	.set _Z26warp_inclusive_scan_kernelIfLj32ELj2EENSt9enable_ifIXsr10test_utilsE35device_test_enabled_for_warp_size_vIXT1_EEEvE4typeEPT_S4_.uses_flat_scratch, 0
	.set _Z26warp_inclusive_scan_kernelIfLj32ELj2EENSt9enable_ifIXsr10test_utilsE35device_test_enabled_for_warp_size_vIXT1_EEEvE4typeEPT_S4_.has_dyn_sized_stack, 0
	.set _Z26warp_inclusive_scan_kernelIfLj32ELj2EENSt9enable_ifIXsr10test_utilsE35device_test_enabled_for_warp_size_vIXT1_EEEvE4typeEPT_S4_.has_recursion, 0
	.set _Z26warp_inclusive_scan_kernelIfLj32ELj2EENSt9enable_ifIXsr10test_utilsE35device_test_enabled_for_warp_size_vIXT1_EEEvE4typeEPT_S4_.has_indirect_call, 0
	.section	.AMDGPU.csdata,"",@progbits
; Kernel info:
; codeLenInByte = 136
; TotalNumSgprs: 12
; NumVgprs: 6
; ScratchSize: 0
; MemoryBound: 0
; FloatMode: 240
; IeeeMode: 1
; LDSByteSize: 0 bytes/workgroup (compile time only)
; SGPRBlocks: 1
; VGPRBlocks: 1
; NumSGPRsForWavesPerEU: 12
; NumVGPRsForWavesPerEU: 6
; Occupancy: 10
; WaveLimiterHint : 0
; COMPUTE_PGM_RSRC2:SCRATCH_EN: 0
; COMPUTE_PGM_RSRC2:USER_SGPR: 6
; COMPUTE_PGM_RSRC2:TRAP_HANDLER: 0
; COMPUTE_PGM_RSRC2:TGID_X_EN: 1
; COMPUTE_PGM_RSRC2:TGID_Y_EN: 0
; COMPUTE_PGM_RSRC2:TGID_Z_EN: 0
; COMPUTE_PGM_RSRC2:TIDIG_COMP_CNT: 0
	.section	.text._Z26warp_inclusive_scan_kernelIfLj64ELj2EENSt9enable_ifIXsr10test_utilsE35device_test_enabled_for_warp_size_vIXT1_EEEvE4typeEPT_S4_,"axG",@progbits,_Z26warp_inclusive_scan_kernelIfLj64ELj2EENSt9enable_ifIXsr10test_utilsE35device_test_enabled_for_warp_size_vIXT1_EEEvE4typeEPT_S4_,comdat
	.protected	_Z26warp_inclusive_scan_kernelIfLj64ELj2EENSt9enable_ifIXsr10test_utilsE35device_test_enabled_for_warp_size_vIXT1_EEEvE4typeEPT_S4_ ; -- Begin function _Z26warp_inclusive_scan_kernelIfLj64ELj2EENSt9enable_ifIXsr10test_utilsE35device_test_enabled_for_warp_size_vIXT1_EEEvE4typeEPT_S4_
	.globl	_Z26warp_inclusive_scan_kernelIfLj64ELj2EENSt9enable_ifIXsr10test_utilsE35device_test_enabled_for_warp_size_vIXT1_EEEvE4typeEPT_S4_
	.p2align	8
	.type	_Z26warp_inclusive_scan_kernelIfLj64ELj2EENSt9enable_ifIXsr10test_utilsE35device_test_enabled_for_warp_size_vIXT1_EEEvE4typeEPT_S4_,@function
_Z26warp_inclusive_scan_kernelIfLj64ELj2EENSt9enable_ifIXsr10test_utilsE35device_test_enabled_for_warp_size_vIXT1_EEEvE4typeEPT_S4_: ; @_Z26warp_inclusive_scan_kernelIfLj64ELj2EENSt9enable_ifIXsr10test_utilsE35device_test_enabled_for_warp_size_vIXT1_EEEvE4typeEPT_S4_
; %bb.0:
	s_load_dword s7, s[4:5], 0x1c
	s_load_dwordx4 s[0:3], s[4:5], 0x0
	v_mov_b32_e32 v1, 0
	s_waitcnt lgkmcnt(0)
	s_and_b32 s4, s7, 0xffff
	s_mul_i32 s6, s6, s4
	v_add_u32_e32 v0, s6, v0
	v_lshlrev_b64 v[0:1], 2, v[0:1]
	v_mov_b32_e32 v3, s1
	v_add_co_u32_e32 v2, vcc, s0, v0
	v_addc_co_u32_e32 v3, vcc, v3, v1, vcc
	global_load_dword v2, v[2:3], off
	v_mbcnt_lo_u32_b32 v3, -1, 0
	v_mbcnt_hi_u32_b32 v3, -1, v3
	v_and_b32_e32 v3, 1, v3
	v_cmp_eq_u32_e32 vcc, 0, v3
	v_mov_b32_e32 v4, s3
	s_waitcnt vmcnt(0)
	v_mov_b32_dpp v5, v2 row_shr:1 row_mask:0xf bank_mask:0xf
	v_add_f32_e32 v5, v2, v5
	v_cndmask_b32_e32 v2, v5, v2, vcc
	v_add_co_u32_e32 v0, vcc, s2, v0
	v_addc_co_u32_e32 v1, vcc, v4, v1, vcc
	global_store_dword v[0:1], v2, off
	s_endpgm
	.section	.rodata,"a",@progbits
	.p2align	6, 0x0
	.amdhsa_kernel _Z26warp_inclusive_scan_kernelIfLj64ELj2EENSt9enable_ifIXsr10test_utilsE35device_test_enabled_for_warp_size_vIXT1_EEEvE4typeEPT_S4_
		.amdhsa_group_segment_fixed_size 0
		.amdhsa_private_segment_fixed_size 0
		.amdhsa_kernarg_size 272
		.amdhsa_user_sgpr_count 6
		.amdhsa_user_sgpr_private_segment_buffer 1
		.amdhsa_user_sgpr_dispatch_ptr 0
		.amdhsa_user_sgpr_queue_ptr 0
		.amdhsa_user_sgpr_kernarg_segment_ptr 1
		.amdhsa_user_sgpr_dispatch_id 0
		.amdhsa_user_sgpr_flat_scratch_init 0
		.amdhsa_user_sgpr_private_segment_size 0
		.amdhsa_uses_dynamic_stack 0
		.amdhsa_system_sgpr_private_segment_wavefront_offset 0
		.amdhsa_system_sgpr_workgroup_id_x 1
		.amdhsa_system_sgpr_workgroup_id_y 0
		.amdhsa_system_sgpr_workgroup_id_z 0
		.amdhsa_system_sgpr_workgroup_info 0
		.amdhsa_system_vgpr_workitem_id 0
		.amdhsa_next_free_vgpr 6
		.amdhsa_next_free_sgpr 8
		.amdhsa_reserve_vcc 1
		.amdhsa_reserve_flat_scratch 0
		.amdhsa_float_round_mode_32 0
		.amdhsa_float_round_mode_16_64 0
		.amdhsa_float_denorm_mode_32 3
		.amdhsa_float_denorm_mode_16_64 3
		.amdhsa_dx10_clamp 1
		.amdhsa_ieee_mode 1
		.amdhsa_fp16_overflow 0
		.amdhsa_exception_fp_ieee_invalid_op 0
		.amdhsa_exception_fp_denorm_src 0
		.amdhsa_exception_fp_ieee_div_zero 0
		.amdhsa_exception_fp_ieee_overflow 0
		.amdhsa_exception_fp_ieee_underflow 0
		.amdhsa_exception_fp_ieee_inexact 0
		.amdhsa_exception_int_div_zero 0
	.end_amdhsa_kernel
	.section	.text._Z26warp_inclusive_scan_kernelIfLj64ELj2EENSt9enable_ifIXsr10test_utilsE35device_test_enabled_for_warp_size_vIXT1_EEEvE4typeEPT_S4_,"axG",@progbits,_Z26warp_inclusive_scan_kernelIfLj64ELj2EENSt9enable_ifIXsr10test_utilsE35device_test_enabled_for_warp_size_vIXT1_EEEvE4typeEPT_S4_,comdat
.Lfunc_end46:
	.size	_Z26warp_inclusive_scan_kernelIfLj64ELj2EENSt9enable_ifIXsr10test_utilsE35device_test_enabled_for_warp_size_vIXT1_EEEvE4typeEPT_S4_, .Lfunc_end46-_Z26warp_inclusive_scan_kernelIfLj64ELj2EENSt9enable_ifIXsr10test_utilsE35device_test_enabled_for_warp_size_vIXT1_EEEvE4typeEPT_S4_
                                        ; -- End function
	.set _Z26warp_inclusive_scan_kernelIfLj64ELj2EENSt9enable_ifIXsr10test_utilsE35device_test_enabled_for_warp_size_vIXT1_EEEvE4typeEPT_S4_.num_vgpr, 6
	.set _Z26warp_inclusive_scan_kernelIfLj64ELj2EENSt9enable_ifIXsr10test_utilsE35device_test_enabled_for_warp_size_vIXT1_EEEvE4typeEPT_S4_.num_agpr, 0
	.set _Z26warp_inclusive_scan_kernelIfLj64ELj2EENSt9enable_ifIXsr10test_utilsE35device_test_enabled_for_warp_size_vIXT1_EEEvE4typeEPT_S4_.numbered_sgpr, 8
	.set _Z26warp_inclusive_scan_kernelIfLj64ELj2EENSt9enable_ifIXsr10test_utilsE35device_test_enabled_for_warp_size_vIXT1_EEEvE4typeEPT_S4_.num_named_barrier, 0
	.set _Z26warp_inclusive_scan_kernelIfLj64ELj2EENSt9enable_ifIXsr10test_utilsE35device_test_enabled_for_warp_size_vIXT1_EEEvE4typeEPT_S4_.private_seg_size, 0
	.set _Z26warp_inclusive_scan_kernelIfLj64ELj2EENSt9enable_ifIXsr10test_utilsE35device_test_enabled_for_warp_size_vIXT1_EEEvE4typeEPT_S4_.uses_vcc, 1
	.set _Z26warp_inclusive_scan_kernelIfLj64ELj2EENSt9enable_ifIXsr10test_utilsE35device_test_enabled_for_warp_size_vIXT1_EEEvE4typeEPT_S4_.uses_flat_scratch, 0
	.set _Z26warp_inclusive_scan_kernelIfLj64ELj2EENSt9enable_ifIXsr10test_utilsE35device_test_enabled_for_warp_size_vIXT1_EEEvE4typeEPT_S4_.has_dyn_sized_stack, 0
	.set _Z26warp_inclusive_scan_kernelIfLj64ELj2EENSt9enable_ifIXsr10test_utilsE35device_test_enabled_for_warp_size_vIXT1_EEEvE4typeEPT_S4_.has_recursion, 0
	.set _Z26warp_inclusive_scan_kernelIfLj64ELj2EENSt9enable_ifIXsr10test_utilsE35device_test_enabled_for_warp_size_vIXT1_EEEvE4typeEPT_S4_.has_indirect_call, 0
	.section	.AMDGPU.csdata,"",@progbits
; Kernel info:
; codeLenInByte = 136
; TotalNumSgprs: 12
; NumVgprs: 6
; ScratchSize: 0
; MemoryBound: 0
; FloatMode: 240
; IeeeMode: 1
; LDSByteSize: 0 bytes/workgroup (compile time only)
; SGPRBlocks: 1
; VGPRBlocks: 1
; NumSGPRsForWavesPerEU: 12
; NumVGPRsForWavesPerEU: 6
; Occupancy: 10
; WaveLimiterHint : 0
; COMPUTE_PGM_RSRC2:SCRATCH_EN: 0
; COMPUTE_PGM_RSRC2:USER_SGPR: 6
; COMPUTE_PGM_RSRC2:TRAP_HANDLER: 0
; COMPUTE_PGM_RSRC2:TGID_X_EN: 1
; COMPUTE_PGM_RSRC2:TGID_Y_EN: 0
; COMPUTE_PGM_RSRC2:TGID_Z_EN: 0
; COMPUTE_PGM_RSRC2:TIDIG_COMP_CNT: 0
	.section	.text._Z26warp_inclusive_scan_kernelIiLj256ELj64EENSt9enable_ifIXsr10test_utilsE35device_test_enabled_for_warp_size_vIXT1_EEEvE4typeEPT_S4_,"axG",@progbits,_Z26warp_inclusive_scan_kernelIiLj256ELj64EENSt9enable_ifIXsr10test_utilsE35device_test_enabled_for_warp_size_vIXT1_EEEvE4typeEPT_S4_,comdat
	.protected	_Z26warp_inclusive_scan_kernelIiLj256ELj64EENSt9enable_ifIXsr10test_utilsE35device_test_enabled_for_warp_size_vIXT1_EEEvE4typeEPT_S4_ ; -- Begin function _Z26warp_inclusive_scan_kernelIiLj256ELj64EENSt9enable_ifIXsr10test_utilsE35device_test_enabled_for_warp_size_vIXT1_EEEvE4typeEPT_S4_
	.globl	_Z26warp_inclusive_scan_kernelIiLj256ELj64EENSt9enable_ifIXsr10test_utilsE35device_test_enabled_for_warp_size_vIXT1_EEEvE4typeEPT_S4_
	.p2align	8
	.type	_Z26warp_inclusive_scan_kernelIiLj256ELj64EENSt9enable_ifIXsr10test_utilsE35device_test_enabled_for_warp_size_vIXT1_EEEvE4typeEPT_S4_,@function
_Z26warp_inclusive_scan_kernelIiLj256ELj64EENSt9enable_ifIXsr10test_utilsE35device_test_enabled_for_warp_size_vIXT1_EEEvE4typeEPT_S4_: ; @_Z26warp_inclusive_scan_kernelIiLj256ELj64EENSt9enable_ifIXsr10test_utilsE35device_test_enabled_for_warp_size_vIXT1_EEEvE4typeEPT_S4_
; %bb.0:
	s_load_dword s7, s[4:5], 0x1c
	s_load_dwordx4 s[0:3], s[4:5], 0x0
	v_mov_b32_e32 v1, 0
	s_waitcnt lgkmcnt(0)
	s_and_b32 s4, s7, 0xffff
	s_mul_i32 s6, s6, s4
	v_add_u32_e32 v0, s6, v0
	v_lshlrev_b64 v[0:1], 2, v[0:1]
	v_mov_b32_e32 v3, s1
	v_add_co_u32_e32 v2, vcc, s0, v0
	v_addc_co_u32_e32 v3, vcc, v3, v1, vcc
	global_load_dword v2, v[2:3], off
	v_mbcnt_lo_u32_b32 v3, -1, 0
	v_mbcnt_hi_u32_b32 v3, -1, v3
	v_and_b32_e32 v4, 15, v3
	v_cmp_ne_u32_e32 vcc, 0, v4
	v_bfe_i32 v5, v3, 4, 1
	v_mov_b32_e32 v6, s3
	s_waitcnt vmcnt(0)
	v_mov_b32_dpp v7, v2 row_shr:1 row_mask:0xf bank_mask:0xf
	v_cndmask_b32_e32 v7, 0, v7, vcc
	v_add_u32_e32 v2, v7, v2
	v_cmp_lt_u32_e32 vcc, 1, v4
	s_nop 0
	v_mov_b32_dpp v7, v2 row_shr:2 row_mask:0xf bank_mask:0xf
	v_cndmask_b32_e32 v7, 0, v7, vcc
	v_add_u32_e32 v2, v2, v7
	v_cmp_lt_u32_e32 vcc, 3, v4
	s_nop 0
	;; [unrolled: 5-line block ×4, first 2 shown]
	v_mov_b32_dpp v4, v2 row_bcast:15 row_mask:0xf bank_mask:0xf
	v_and_b32_e32 v4, v5, v4
	v_add_u32_e32 v2, v2, v4
	s_nop 1
	v_mov_b32_dpp v4, v2 row_bcast:31 row_mask:0xf bank_mask:0xf
	v_cndmask_b32_e32 v3, 0, v4, vcc
	v_add_co_u32_e32 v0, vcc, s2, v0
	v_add_u32_e32 v2, v2, v3
	v_addc_co_u32_e32 v1, vcc, v6, v1, vcc
	global_store_dword v[0:1], v2, off
	s_endpgm
	.section	.rodata,"a",@progbits
	.p2align	6, 0x0
	.amdhsa_kernel _Z26warp_inclusive_scan_kernelIiLj256ELj64EENSt9enable_ifIXsr10test_utilsE35device_test_enabled_for_warp_size_vIXT1_EEEvE4typeEPT_S4_
		.amdhsa_group_segment_fixed_size 0
		.amdhsa_private_segment_fixed_size 0
		.amdhsa_kernarg_size 272
		.amdhsa_user_sgpr_count 6
		.amdhsa_user_sgpr_private_segment_buffer 1
		.amdhsa_user_sgpr_dispatch_ptr 0
		.amdhsa_user_sgpr_queue_ptr 0
		.amdhsa_user_sgpr_kernarg_segment_ptr 1
		.amdhsa_user_sgpr_dispatch_id 0
		.amdhsa_user_sgpr_flat_scratch_init 0
		.amdhsa_user_sgpr_private_segment_size 0
		.amdhsa_uses_dynamic_stack 0
		.amdhsa_system_sgpr_private_segment_wavefront_offset 0
		.amdhsa_system_sgpr_workgroup_id_x 1
		.amdhsa_system_sgpr_workgroup_id_y 0
		.amdhsa_system_sgpr_workgroup_id_z 0
		.amdhsa_system_sgpr_workgroup_info 0
		.amdhsa_system_vgpr_workitem_id 0
		.amdhsa_next_free_vgpr 8
		.amdhsa_next_free_sgpr 8
		.amdhsa_reserve_vcc 1
		.amdhsa_reserve_flat_scratch 0
		.amdhsa_float_round_mode_32 0
		.amdhsa_float_round_mode_16_64 0
		.amdhsa_float_denorm_mode_32 3
		.amdhsa_float_denorm_mode_16_64 3
		.amdhsa_dx10_clamp 1
		.amdhsa_ieee_mode 1
		.amdhsa_fp16_overflow 0
		.amdhsa_exception_fp_ieee_invalid_op 0
		.amdhsa_exception_fp_denorm_src 0
		.amdhsa_exception_fp_ieee_div_zero 0
		.amdhsa_exception_fp_ieee_overflow 0
		.amdhsa_exception_fp_ieee_underflow 0
		.amdhsa_exception_fp_ieee_inexact 0
		.amdhsa_exception_int_div_zero 0
	.end_amdhsa_kernel
	.section	.text._Z26warp_inclusive_scan_kernelIiLj256ELj64EENSt9enable_ifIXsr10test_utilsE35device_test_enabled_for_warp_size_vIXT1_EEEvE4typeEPT_S4_,"axG",@progbits,_Z26warp_inclusive_scan_kernelIiLj256ELj64EENSt9enable_ifIXsr10test_utilsE35device_test_enabled_for_warp_size_vIXT1_EEEvE4typeEPT_S4_,comdat
.Lfunc_end47:
	.size	_Z26warp_inclusive_scan_kernelIiLj256ELj64EENSt9enable_ifIXsr10test_utilsE35device_test_enabled_for_warp_size_vIXT1_EEEvE4typeEPT_S4_, .Lfunc_end47-_Z26warp_inclusive_scan_kernelIiLj256ELj64EENSt9enable_ifIXsr10test_utilsE35device_test_enabled_for_warp_size_vIXT1_EEEvE4typeEPT_S4_
                                        ; -- End function
	.set _Z26warp_inclusive_scan_kernelIiLj256ELj64EENSt9enable_ifIXsr10test_utilsE35device_test_enabled_for_warp_size_vIXT1_EEEvE4typeEPT_S4_.num_vgpr, 8
	.set _Z26warp_inclusive_scan_kernelIiLj256ELj64EENSt9enable_ifIXsr10test_utilsE35device_test_enabled_for_warp_size_vIXT1_EEEvE4typeEPT_S4_.num_agpr, 0
	.set _Z26warp_inclusive_scan_kernelIiLj256ELj64EENSt9enable_ifIXsr10test_utilsE35device_test_enabled_for_warp_size_vIXT1_EEEvE4typeEPT_S4_.numbered_sgpr, 8
	.set _Z26warp_inclusive_scan_kernelIiLj256ELj64EENSt9enable_ifIXsr10test_utilsE35device_test_enabled_for_warp_size_vIXT1_EEEvE4typeEPT_S4_.num_named_barrier, 0
	.set _Z26warp_inclusive_scan_kernelIiLj256ELj64EENSt9enable_ifIXsr10test_utilsE35device_test_enabled_for_warp_size_vIXT1_EEEvE4typeEPT_S4_.private_seg_size, 0
	.set _Z26warp_inclusive_scan_kernelIiLj256ELj64EENSt9enable_ifIXsr10test_utilsE35device_test_enabled_for_warp_size_vIXT1_EEEvE4typeEPT_S4_.uses_vcc, 1
	.set _Z26warp_inclusive_scan_kernelIiLj256ELj64EENSt9enable_ifIXsr10test_utilsE35device_test_enabled_for_warp_size_vIXT1_EEEvE4typeEPT_S4_.uses_flat_scratch, 0
	.set _Z26warp_inclusive_scan_kernelIiLj256ELj64EENSt9enable_ifIXsr10test_utilsE35device_test_enabled_for_warp_size_vIXT1_EEEvE4typeEPT_S4_.has_dyn_sized_stack, 0
	.set _Z26warp_inclusive_scan_kernelIiLj256ELj64EENSt9enable_ifIXsr10test_utilsE35device_test_enabled_for_warp_size_vIXT1_EEEvE4typeEPT_S4_.has_recursion, 0
	.set _Z26warp_inclusive_scan_kernelIiLj256ELj64EENSt9enable_ifIXsr10test_utilsE35device_test_enabled_for_warp_size_vIXT1_EEEvE4typeEPT_S4_.has_indirect_call, 0
	.section	.AMDGPU.csdata,"",@progbits
; Kernel info:
; codeLenInByte = 260
; TotalNumSgprs: 12
; NumVgprs: 8
; ScratchSize: 0
; MemoryBound: 0
; FloatMode: 240
; IeeeMode: 1
; LDSByteSize: 0 bytes/workgroup (compile time only)
; SGPRBlocks: 1
; VGPRBlocks: 1
; NumSGPRsForWavesPerEU: 12
; NumVGPRsForWavesPerEU: 8
; Occupancy: 10
; WaveLimiterHint : 0
; COMPUTE_PGM_RSRC2:SCRATCH_EN: 0
; COMPUTE_PGM_RSRC2:USER_SGPR: 6
; COMPUTE_PGM_RSRC2:TRAP_HANDLER: 0
; COMPUTE_PGM_RSRC2:TGID_X_EN: 1
; COMPUTE_PGM_RSRC2:TGID_Y_EN: 0
; COMPUTE_PGM_RSRC2:TGID_Z_EN: 0
; COMPUTE_PGM_RSRC2:TIDIG_COMP_CNT: 0
	.section	.text._Z26warp_inclusive_scan_kernelIiLj128ELj32EENSt9enable_ifIXsr10test_utilsE35device_test_enabled_for_warp_size_vIXT1_EEEvE4typeEPT_S4_,"axG",@progbits,_Z26warp_inclusive_scan_kernelIiLj128ELj32EENSt9enable_ifIXsr10test_utilsE35device_test_enabled_for_warp_size_vIXT1_EEEvE4typeEPT_S4_,comdat
	.protected	_Z26warp_inclusive_scan_kernelIiLj128ELj32EENSt9enable_ifIXsr10test_utilsE35device_test_enabled_for_warp_size_vIXT1_EEEvE4typeEPT_S4_ ; -- Begin function _Z26warp_inclusive_scan_kernelIiLj128ELj32EENSt9enable_ifIXsr10test_utilsE35device_test_enabled_for_warp_size_vIXT1_EEEvE4typeEPT_S4_
	.globl	_Z26warp_inclusive_scan_kernelIiLj128ELj32EENSt9enable_ifIXsr10test_utilsE35device_test_enabled_for_warp_size_vIXT1_EEEvE4typeEPT_S4_
	.p2align	8
	.type	_Z26warp_inclusive_scan_kernelIiLj128ELj32EENSt9enable_ifIXsr10test_utilsE35device_test_enabled_for_warp_size_vIXT1_EEEvE4typeEPT_S4_,@function
_Z26warp_inclusive_scan_kernelIiLj128ELj32EENSt9enable_ifIXsr10test_utilsE35device_test_enabled_for_warp_size_vIXT1_EEEvE4typeEPT_S4_: ; @_Z26warp_inclusive_scan_kernelIiLj128ELj32EENSt9enable_ifIXsr10test_utilsE35device_test_enabled_for_warp_size_vIXT1_EEEvE4typeEPT_S4_
; %bb.0:
	s_load_dword s7, s[4:5], 0x1c
	s_load_dwordx4 s[0:3], s[4:5], 0x0
	v_mov_b32_e32 v1, 0
	s_waitcnt lgkmcnt(0)
	s_and_b32 s4, s7, 0xffff
	s_mul_i32 s6, s6, s4
	v_add_u32_e32 v0, s6, v0
	v_lshlrev_b64 v[0:1], 2, v[0:1]
	v_mov_b32_e32 v3, s1
	v_add_co_u32_e32 v2, vcc, s0, v0
	v_addc_co_u32_e32 v3, vcc, v3, v1, vcc
	global_load_dword v2, v[2:3], off
	v_mbcnt_lo_u32_b32 v3, -1, 0
	v_mbcnt_hi_u32_b32 v3, -1, v3
	v_and_b32_e32 v4, 15, v3
	v_cmp_ne_u32_e32 vcc, 0, v4
	v_bfe_i32 v3, v3, 4, 1
	v_mov_b32_e32 v5, s3
	s_waitcnt vmcnt(0)
	v_mov_b32_dpp v6, v2 row_shr:1 row_mask:0xf bank_mask:0xf
	v_cndmask_b32_e32 v6, 0, v6, vcc
	v_add_u32_e32 v2, v6, v2
	v_cmp_lt_u32_e32 vcc, 1, v4
	s_nop 0
	v_mov_b32_dpp v6, v2 row_shr:2 row_mask:0xf bank_mask:0xf
	v_cndmask_b32_e32 v6, 0, v6, vcc
	v_add_u32_e32 v2, v2, v6
	v_cmp_lt_u32_e32 vcc, 3, v4
	s_nop 0
	;; [unrolled: 5-line block ×3, first 2 shown]
	v_mov_b32_dpp v6, v2 row_shr:8 row_mask:0xf bank_mask:0xf
	v_cndmask_b32_e32 v4, 0, v6, vcc
	v_add_u32_e32 v2, v2, v4
	v_add_co_u32_e32 v0, vcc, s2, v0
	s_nop 0
	v_mov_b32_dpp v4, v2 row_bcast:15 row_mask:0xf bank_mask:0xf
	v_and_b32_e32 v3, v3, v4
	v_add_u32_e32 v2, v2, v3
	v_addc_co_u32_e32 v1, vcc, v5, v1, vcc
	global_store_dword v[0:1], v2, off
	s_endpgm
	.section	.rodata,"a",@progbits
	.p2align	6, 0x0
	.amdhsa_kernel _Z26warp_inclusive_scan_kernelIiLj128ELj32EENSt9enable_ifIXsr10test_utilsE35device_test_enabled_for_warp_size_vIXT1_EEEvE4typeEPT_S4_
		.amdhsa_group_segment_fixed_size 0
		.amdhsa_private_segment_fixed_size 0
		.amdhsa_kernarg_size 272
		.amdhsa_user_sgpr_count 6
		.amdhsa_user_sgpr_private_segment_buffer 1
		.amdhsa_user_sgpr_dispatch_ptr 0
		.amdhsa_user_sgpr_queue_ptr 0
		.amdhsa_user_sgpr_kernarg_segment_ptr 1
		.amdhsa_user_sgpr_dispatch_id 0
		.amdhsa_user_sgpr_flat_scratch_init 0
		.amdhsa_user_sgpr_private_segment_size 0
		.amdhsa_uses_dynamic_stack 0
		.amdhsa_system_sgpr_private_segment_wavefront_offset 0
		.amdhsa_system_sgpr_workgroup_id_x 1
		.amdhsa_system_sgpr_workgroup_id_y 0
		.amdhsa_system_sgpr_workgroup_id_z 0
		.amdhsa_system_sgpr_workgroup_info 0
		.amdhsa_system_vgpr_workitem_id 0
		.amdhsa_next_free_vgpr 7
		.amdhsa_next_free_sgpr 8
		.amdhsa_reserve_vcc 1
		.amdhsa_reserve_flat_scratch 0
		.amdhsa_float_round_mode_32 0
		.amdhsa_float_round_mode_16_64 0
		.amdhsa_float_denorm_mode_32 3
		.amdhsa_float_denorm_mode_16_64 3
		.amdhsa_dx10_clamp 1
		.amdhsa_ieee_mode 1
		.amdhsa_fp16_overflow 0
		.amdhsa_exception_fp_ieee_invalid_op 0
		.amdhsa_exception_fp_denorm_src 0
		.amdhsa_exception_fp_ieee_div_zero 0
		.amdhsa_exception_fp_ieee_overflow 0
		.amdhsa_exception_fp_ieee_underflow 0
		.amdhsa_exception_fp_ieee_inexact 0
		.amdhsa_exception_int_div_zero 0
	.end_amdhsa_kernel
	.section	.text._Z26warp_inclusive_scan_kernelIiLj128ELj32EENSt9enable_ifIXsr10test_utilsE35device_test_enabled_for_warp_size_vIXT1_EEEvE4typeEPT_S4_,"axG",@progbits,_Z26warp_inclusive_scan_kernelIiLj128ELj32EENSt9enable_ifIXsr10test_utilsE35device_test_enabled_for_warp_size_vIXT1_EEEvE4typeEPT_S4_,comdat
.Lfunc_end48:
	.size	_Z26warp_inclusive_scan_kernelIiLj128ELj32EENSt9enable_ifIXsr10test_utilsE35device_test_enabled_for_warp_size_vIXT1_EEEvE4typeEPT_S4_, .Lfunc_end48-_Z26warp_inclusive_scan_kernelIiLj128ELj32EENSt9enable_ifIXsr10test_utilsE35device_test_enabled_for_warp_size_vIXT1_EEEvE4typeEPT_S4_
                                        ; -- End function
	.set _Z26warp_inclusive_scan_kernelIiLj128ELj32EENSt9enable_ifIXsr10test_utilsE35device_test_enabled_for_warp_size_vIXT1_EEEvE4typeEPT_S4_.num_vgpr, 7
	.set _Z26warp_inclusive_scan_kernelIiLj128ELj32EENSt9enable_ifIXsr10test_utilsE35device_test_enabled_for_warp_size_vIXT1_EEEvE4typeEPT_S4_.num_agpr, 0
	.set _Z26warp_inclusive_scan_kernelIiLj128ELj32EENSt9enable_ifIXsr10test_utilsE35device_test_enabled_for_warp_size_vIXT1_EEEvE4typeEPT_S4_.numbered_sgpr, 8
	.set _Z26warp_inclusive_scan_kernelIiLj128ELj32EENSt9enable_ifIXsr10test_utilsE35device_test_enabled_for_warp_size_vIXT1_EEEvE4typeEPT_S4_.num_named_barrier, 0
	.set _Z26warp_inclusive_scan_kernelIiLj128ELj32EENSt9enable_ifIXsr10test_utilsE35device_test_enabled_for_warp_size_vIXT1_EEEvE4typeEPT_S4_.private_seg_size, 0
	.set _Z26warp_inclusive_scan_kernelIiLj128ELj32EENSt9enable_ifIXsr10test_utilsE35device_test_enabled_for_warp_size_vIXT1_EEEvE4typeEPT_S4_.uses_vcc, 1
	.set _Z26warp_inclusive_scan_kernelIiLj128ELj32EENSt9enable_ifIXsr10test_utilsE35device_test_enabled_for_warp_size_vIXT1_EEEvE4typeEPT_S4_.uses_flat_scratch, 0
	.set _Z26warp_inclusive_scan_kernelIiLj128ELj32EENSt9enable_ifIXsr10test_utilsE35device_test_enabled_for_warp_size_vIXT1_EEEvE4typeEPT_S4_.has_dyn_sized_stack, 0
	.set _Z26warp_inclusive_scan_kernelIiLj128ELj32EENSt9enable_ifIXsr10test_utilsE35device_test_enabled_for_warp_size_vIXT1_EEEvE4typeEPT_S4_.has_recursion, 0
	.set _Z26warp_inclusive_scan_kernelIiLj128ELj32EENSt9enable_ifIXsr10test_utilsE35device_test_enabled_for_warp_size_vIXT1_EEEvE4typeEPT_S4_.has_indirect_call, 0
	.section	.AMDGPU.csdata,"",@progbits
; Kernel info:
; codeLenInByte = 236
; TotalNumSgprs: 12
; NumVgprs: 7
; ScratchSize: 0
; MemoryBound: 0
; FloatMode: 240
; IeeeMode: 1
; LDSByteSize: 0 bytes/workgroup (compile time only)
; SGPRBlocks: 1
; VGPRBlocks: 1
; NumSGPRsForWavesPerEU: 12
; NumVGPRsForWavesPerEU: 7
; Occupancy: 10
; WaveLimiterHint : 0
; COMPUTE_PGM_RSRC2:SCRATCH_EN: 0
; COMPUTE_PGM_RSRC2:USER_SGPR: 6
; COMPUTE_PGM_RSRC2:TRAP_HANDLER: 0
; COMPUTE_PGM_RSRC2:TGID_X_EN: 1
; COMPUTE_PGM_RSRC2:TGID_Y_EN: 0
; COMPUTE_PGM_RSRC2:TGID_Z_EN: 0
; COMPUTE_PGM_RSRC2:TIDIG_COMP_CNT: 0
	.section	.text._Z26warp_inclusive_scan_kernelIiLj64ELj16EENSt9enable_ifIXsr10test_utilsE35device_test_enabled_for_warp_size_vIXT1_EEEvE4typeEPT_S4_,"axG",@progbits,_Z26warp_inclusive_scan_kernelIiLj64ELj16EENSt9enable_ifIXsr10test_utilsE35device_test_enabled_for_warp_size_vIXT1_EEEvE4typeEPT_S4_,comdat
	.protected	_Z26warp_inclusive_scan_kernelIiLj64ELj16EENSt9enable_ifIXsr10test_utilsE35device_test_enabled_for_warp_size_vIXT1_EEEvE4typeEPT_S4_ ; -- Begin function _Z26warp_inclusive_scan_kernelIiLj64ELj16EENSt9enable_ifIXsr10test_utilsE35device_test_enabled_for_warp_size_vIXT1_EEEvE4typeEPT_S4_
	.globl	_Z26warp_inclusive_scan_kernelIiLj64ELj16EENSt9enable_ifIXsr10test_utilsE35device_test_enabled_for_warp_size_vIXT1_EEEvE4typeEPT_S4_
	.p2align	8
	.type	_Z26warp_inclusive_scan_kernelIiLj64ELj16EENSt9enable_ifIXsr10test_utilsE35device_test_enabled_for_warp_size_vIXT1_EEEvE4typeEPT_S4_,@function
_Z26warp_inclusive_scan_kernelIiLj64ELj16EENSt9enable_ifIXsr10test_utilsE35device_test_enabled_for_warp_size_vIXT1_EEEvE4typeEPT_S4_: ; @_Z26warp_inclusive_scan_kernelIiLj64ELj16EENSt9enable_ifIXsr10test_utilsE35device_test_enabled_for_warp_size_vIXT1_EEEvE4typeEPT_S4_
; %bb.0:
	s_load_dword s7, s[4:5], 0x1c
	s_load_dwordx4 s[0:3], s[4:5], 0x0
	v_mov_b32_e32 v1, 0
	s_waitcnt lgkmcnt(0)
	s_and_b32 s4, s7, 0xffff
	s_mul_i32 s6, s6, s4
	v_add_u32_e32 v0, s6, v0
	v_lshlrev_b64 v[0:1], 2, v[0:1]
	v_mov_b32_e32 v3, s1
	v_add_co_u32_e32 v2, vcc, s0, v0
	v_addc_co_u32_e32 v3, vcc, v3, v1, vcc
	global_load_dword v2, v[2:3], off
	v_mbcnt_lo_u32_b32 v3, -1, 0
	v_mbcnt_hi_u32_b32 v3, -1, v3
	v_and_b32_e32 v3, 15, v3
	v_cmp_ne_u32_e32 vcc, 0, v3
	v_mov_b32_e32 v4, s3
	s_waitcnt vmcnt(0)
	v_mov_b32_dpp v5, v2 row_shr:1 row_mask:0xf bank_mask:0xf
	v_cndmask_b32_e32 v5, 0, v5, vcc
	v_add_u32_e32 v2, v5, v2
	v_cmp_lt_u32_e32 vcc, 1, v3
	s_nop 0
	v_mov_b32_dpp v5, v2 row_shr:2 row_mask:0xf bank_mask:0xf
	v_cndmask_b32_e32 v5, 0, v5, vcc
	v_add_u32_e32 v2, v2, v5
	v_cmp_lt_u32_e32 vcc, 3, v3
	s_nop 0
	;; [unrolled: 5-line block ×3, first 2 shown]
	v_mov_b32_dpp v5, v2 row_shr:8 row_mask:0xf bank_mask:0xf
	v_cndmask_b32_e32 v3, 0, v5, vcc
	v_add_co_u32_e32 v0, vcc, s2, v0
	v_add_u32_e32 v2, v2, v3
	v_addc_co_u32_e32 v1, vcc, v4, v1, vcc
	global_store_dword v[0:1], v2, off
	s_endpgm
	.section	.rodata,"a",@progbits
	.p2align	6, 0x0
	.amdhsa_kernel _Z26warp_inclusive_scan_kernelIiLj64ELj16EENSt9enable_ifIXsr10test_utilsE35device_test_enabled_for_warp_size_vIXT1_EEEvE4typeEPT_S4_
		.amdhsa_group_segment_fixed_size 0
		.amdhsa_private_segment_fixed_size 0
		.amdhsa_kernarg_size 272
		.amdhsa_user_sgpr_count 6
		.amdhsa_user_sgpr_private_segment_buffer 1
		.amdhsa_user_sgpr_dispatch_ptr 0
		.amdhsa_user_sgpr_queue_ptr 0
		.amdhsa_user_sgpr_kernarg_segment_ptr 1
		.amdhsa_user_sgpr_dispatch_id 0
		.amdhsa_user_sgpr_flat_scratch_init 0
		.amdhsa_user_sgpr_private_segment_size 0
		.amdhsa_uses_dynamic_stack 0
		.amdhsa_system_sgpr_private_segment_wavefront_offset 0
		.amdhsa_system_sgpr_workgroup_id_x 1
		.amdhsa_system_sgpr_workgroup_id_y 0
		.amdhsa_system_sgpr_workgroup_id_z 0
		.amdhsa_system_sgpr_workgroup_info 0
		.amdhsa_system_vgpr_workitem_id 0
		.amdhsa_next_free_vgpr 6
		.amdhsa_next_free_sgpr 8
		.amdhsa_reserve_vcc 1
		.amdhsa_reserve_flat_scratch 0
		.amdhsa_float_round_mode_32 0
		.amdhsa_float_round_mode_16_64 0
		.amdhsa_float_denorm_mode_32 3
		.amdhsa_float_denorm_mode_16_64 3
		.amdhsa_dx10_clamp 1
		.amdhsa_ieee_mode 1
		.amdhsa_fp16_overflow 0
		.amdhsa_exception_fp_ieee_invalid_op 0
		.amdhsa_exception_fp_denorm_src 0
		.amdhsa_exception_fp_ieee_div_zero 0
		.amdhsa_exception_fp_ieee_overflow 0
		.amdhsa_exception_fp_ieee_underflow 0
		.amdhsa_exception_fp_ieee_inexact 0
		.amdhsa_exception_int_div_zero 0
	.end_amdhsa_kernel
	.section	.text._Z26warp_inclusive_scan_kernelIiLj64ELj16EENSt9enable_ifIXsr10test_utilsE35device_test_enabled_for_warp_size_vIXT1_EEEvE4typeEPT_S4_,"axG",@progbits,_Z26warp_inclusive_scan_kernelIiLj64ELj16EENSt9enable_ifIXsr10test_utilsE35device_test_enabled_for_warp_size_vIXT1_EEEvE4typeEPT_S4_,comdat
.Lfunc_end49:
	.size	_Z26warp_inclusive_scan_kernelIiLj64ELj16EENSt9enable_ifIXsr10test_utilsE35device_test_enabled_for_warp_size_vIXT1_EEEvE4typeEPT_S4_, .Lfunc_end49-_Z26warp_inclusive_scan_kernelIiLj64ELj16EENSt9enable_ifIXsr10test_utilsE35device_test_enabled_for_warp_size_vIXT1_EEEvE4typeEPT_S4_
                                        ; -- End function
	.set _Z26warp_inclusive_scan_kernelIiLj64ELj16EENSt9enable_ifIXsr10test_utilsE35device_test_enabled_for_warp_size_vIXT1_EEEvE4typeEPT_S4_.num_vgpr, 6
	.set _Z26warp_inclusive_scan_kernelIiLj64ELj16EENSt9enable_ifIXsr10test_utilsE35device_test_enabled_for_warp_size_vIXT1_EEEvE4typeEPT_S4_.num_agpr, 0
	.set _Z26warp_inclusive_scan_kernelIiLj64ELj16EENSt9enable_ifIXsr10test_utilsE35device_test_enabled_for_warp_size_vIXT1_EEEvE4typeEPT_S4_.numbered_sgpr, 8
	.set _Z26warp_inclusive_scan_kernelIiLj64ELj16EENSt9enable_ifIXsr10test_utilsE35device_test_enabled_for_warp_size_vIXT1_EEEvE4typeEPT_S4_.num_named_barrier, 0
	.set _Z26warp_inclusive_scan_kernelIiLj64ELj16EENSt9enable_ifIXsr10test_utilsE35device_test_enabled_for_warp_size_vIXT1_EEEvE4typeEPT_S4_.private_seg_size, 0
	.set _Z26warp_inclusive_scan_kernelIiLj64ELj16EENSt9enable_ifIXsr10test_utilsE35device_test_enabled_for_warp_size_vIXT1_EEEvE4typeEPT_S4_.uses_vcc, 1
	.set _Z26warp_inclusive_scan_kernelIiLj64ELj16EENSt9enable_ifIXsr10test_utilsE35device_test_enabled_for_warp_size_vIXT1_EEEvE4typeEPT_S4_.uses_flat_scratch, 0
	.set _Z26warp_inclusive_scan_kernelIiLj64ELj16EENSt9enable_ifIXsr10test_utilsE35device_test_enabled_for_warp_size_vIXT1_EEEvE4typeEPT_S4_.has_dyn_sized_stack, 0
	.set _Z26warp_inclusive_scan_kernelIiLj64ELj16EENSt9enable_ifIXsr10test_utilsE35device_test_enabled_for_warp_size_vIXT1_EEEvE4typeEPT_S4_.has_recursion, 0
	.set _Z26warp_inclusive_scan_kernelIiLj64ELj16EENSt9enable_ifIXsr10test_utilsE35device_test_enabled_for_warp_size_vIXT1_EEEvE4typeEPT_S4_.has_indirect_call, 0
	.section	.AMDGPU.csdata,"",@progbits
; Kernel info:
; codeLenInByte = 208
; TotalNumSgprs: 12
; NumVgprs: 6
; ScratchSize: 0
; MemoryBound: 0
; FloatMode: 240
; IeeeMode: 1
; LDSByteSize: 0 bytes/workgroup (compile time only)
; SGPRBlocks: 1
; VGPRBlocks: 1
; NumSGPRsForWavesPerEU: 12
; NumVGPRsForWavesPerEU: 6
; Occupancy: 10
; WaveLimiterHint : 0
; COMPUTE_PGM_RSRC2:SCRATCH_EN: 0
; COMPUTE_PGM_RSRC2:USER_SGPR: 6
; COMPUTE_PGM_RSRC2:TRAP_HANDLER: 0
; COMPUTE_PGM_RSRC2:TGID_X_EN: 1
; COMPUTE_PGM_RSRC2:TGID_Y_EN: 0
; COMPUTE_PGM_RSRC2:TGID_Z_EN: 0
; COMPUTE_PGM_RSRC2:TIDIG_COMP_CNT: 0
	.section	.text._Z26warp_inclusive_scan_kernelIiLj32ELj8EENSt9enable_ifIXsr10test_utilsE35device_test_enabled_for_warp_size_vIXT1_EEEvE4typeEPT_S4_,"axG",@progbits,_Z26warp_inclusive_scan_kernelIiLj32ELj8EENSt9enable_ifIXsr10test_utilsE35device_test_enabled_for_warp_size_vIXT1_EEEvE4typeEPT_S4_,comdat
	.protected	_Z26warp_inclusive_scan_kernelIiLj32ELj8EENSt9enable_ifIXsr10test_utilsE35device_test_enabled_for_warp_size_vIXT1_EEEvE4typeEPT_S4_ ; -- Begin function _Z26warp_inclusive_scan_kernelIiLj32ELj8EENSt9enable_ifIXsr10test_utilsE35device_test_enabled_for_warp_size_vIXT1_EEEvE4typeEPT_S4_
	.globl	_Z26warp_inclusive_scan_kernelIiLj32ELj8EENSt9enable_ifIXsr10test_utilsE35device_test_enabled_for_warp_size_vIXT1_EEEvE4typeEPT_S4_
	.p2align	8
	.type	_Z26warp_inclusive_scan_kernelIiLj32ELj8EENSt9enable_ifIXsr10test_utilsE35device_test_enabled_for_warp_size_vIXT1_EEEvE4typeEPT_S4_,@function
_Z26warp_inclusive_scan_kernelIiLj32ELj8EENSt9enable_ifIXsr10test_utilsE35device_test_enabled_for_warp_size_vIXT1_EEEvE4typeEPT_S4_: ; @_Z26warp_inclusive_scan_kernelIiLj32ELj8EENSt9enable_ifIXsr10test_utilsE35device_test_enabled_for_warp_size_vIXT1_EEEvE4typeEPT_S4_
; %bb.0:
	s_load_dword s7, s[4:5], 0x1c
	s_load_dwordx4 s[0:3], s[4:5], 0x0
	v_mov_b32_e32 v1, 0
	s_waitcnt lgkmcnt(0)
	s_and_b32 s4, s7, 0xffff
	s_mul_i32 s6, s6, s4
	v_add_u32_e32 v0, s6, v0
	v_lshlrev_b64 v[0:1], 2, v[0:1]
	v_mov_b32_e32 v3, s1
	v_add_co_u32_e32 v2, vcc, s0, v0
	v_addc_co_u32_e32 v3, vcc, v3, v1, vcc
	global_load_dword v2, v[2:3], off
	v_mbcnt_lo_u32_b32 v3, -1, 0
	v_mbcnt_hi_u32_b32 v3, -1, v3
	v_and_b32_e32 v3, 7, v3
	v_cmp_ne_u32_e32 vcc, 0, v3
	v_mov_b32_e32 v4, s3
	s_waitcnt vmcnt(0)
	v_mov_b32_dpp v5, v2 row_shr:1 row_mask:0xf bank_mask:0xf
	v_cndmask_b32_e32 v5, 0, v5, vcc
	v_add_u32_e32 v2, v5, v2
	v_cmp_lt_u32_e32 vcc, 1, v3
	s_nop 0
	v_mov_b32_dpp v5, v2 row_shr:2 row_mask:0xf bank_mask:0xf
	v_cndmask_b32_e32 v5, 0, v5, vcc
	v_add_u32_e32 v2, v2, v5
	v_cmp_lt_u32_e32 vcc, 3, v3
	s_nop 0
	v_mov_b32_dpp v5, v2 row_shr:4 row_mask:0xf bank_mask:0xf
	v_cndmask_b32_e32 v3, 0, v5, vcc
	v_add_co_u32_e32 v0, vcc, s2, v0
	v_add_u32_e32 v2, v2, v3
	v_addc_co_u32_e32 v1, vcc, v4, v1, vcc
	global_store_dword v[0:1], v2, off
	s_endpgm
	.section	.rodata,"a",@progbits
	.p2align	6, 0x0
	.amdhsa_kernel _Z26warp_inclusive_scan_kernelIiLj32ELj8EENSt9enable_ifIXsr10test_utilsE35device_test_enabled_for_warp_size_vIXT1_EEEvE4typeEPT_S4_
		.amdhsa_group_segment_fixed_size 0
		.amdhsa_private_segment_fixed_size 0
		.amdhsa_kernarg_size 272
		.amdhsa_user_sgpr_count 6
		.amdhsa_user_sgpr_private_segment_buffer 1
		.amdhsa_user_sgpr_dispatch_ptr 0
		.amdhsa_user_sgpr_queue_ptr 0
		.amdhsa_user_sgpr_kernarg_segment_ptr 1
		.amdhsa_user_sgpr_dispatch_id 0
		.amdhsa_user_sgpr_flat_scratch_init 0
		.amdhsa_user_sgpr_private_segment_size 0
		.amdhsa_uses_dynamic_stack 0
		.amdhsa_system_sgpr_private_segment_wavefront_offset 0
		.amdhsa_system_sgpr_workgroup_id_x 1
		.amdhsa_system_sgpr_workgroup_id_y 0
		.amdhsa_system_sgpr_workgroup_id_z 0
		.amdhsa_system_sgpr_workgroup_info 0
		.amdhsa_system_vgpr_workitem_id 0
		.amdhsa_next_free_vgpr 6
		.amdhsa_next_free_sgpr 8
		.amdhsa_reserve_vcc 1
		.amdhsa_reserve_flat_scratch 0
		.amdhsa_float_round_mode_32 0
		.amdhsa_float_round_mode_16_64 0
		.amdhsa_float_denorm_mode_32 3
		.amdhsa_float_denorm_mode_16_64 3
		.amdhsa_dx10_clamp 1
		.amdhsa_ieee_mode 1
		.amdhsa_fp16_overflow 0
		.amdhsa_exception_fp_ieee_invalid_op 0
		.amdhsa_exception_fp_denorm_src 0
		.amdhsa_exception_fp_ieee_div_zero 0
		.amdhsa_exception_fp_ieee_overflow 0
		.amdhsa_exception_fp_ieee_underflow 0
		.amdhsa_exception_fp_ieee_inexact 0
		.amdhsa_exception_int_div_zero 0
	.end_amdhsa_kernel
	.section	.text._Z26warp_inclusive_scan_kernelIiLj32ELj8EENSt9enable_ifIXsr10test_utilsE35device_test_enabled_for_warp_size_vIXT1_EEEvE4typeEPT_S4_,"axG",@progbits,_Z26warp_inclusive_scan_kernelIiLj32ELj8EENSt9enable_ifIXsr10test_utilsE35device_test_enabled_for_warp_size_vIXT1_EEEvE4typeEPT_S4_,comdat
.Lfunc_end50:
	.size	_Z26warp_inclusive_scan_kernelIiLj32ELj8EENSt9enable_ifIXsr10test_utilsE35device_test_enabled_for_warp_size_vIXT1_EEEvE4typeEPT_S4_, .Lfunc_end50-_Z26warp_inclusive_scan_kernelIiLj32ELj8EENSt9enable_ifIXsr10test_utilsE35device_test_enabled_for_warp_size_vIXT1_EEEvE4typeEPT_S4_
                                        ; -- End function
	.set _Z26warp_inclusive_scan_kernelIiLj32ELj8EENSt9enable_ifIXsr10test_utilsE35device_test_enabled_for_warp_size_vIXT1_EEEvE4typeEPT_S4_.num_vgpr, 6
	.set _Z26warp_inclusive_scan_kernelIiLj32ELj8EENSt9enable_ifIXsr10test_utilsE35device_test_enabled_for_warp_size_vIXT1_EEEvE4typeEPT_S4_.num_agpr, 0
	.set _Z26warp_inclusive_scan_kernelIiLj32ELj8EENSt9enable_ifIXsr10test_utilsE35device_test_enabled_for_warp_size_vIXT1_EEEvE4typeEPT_S4_.numbered_sgpr, 8
	.set _Z26warp_inclusive_scan_kernelIiLj32ELj8EENSt9enable_ifIXsr10test_utilsE35device_test_enabled_for_warp_size_vIXT1_EEEvE4typeEPT_S4_.num_named_barrier, 0
	.set _Z26warp_inclusive_scan_kernelIiLj32ELj8EENSt9enable_ifIXsr10test_utilsE35device_test_enabled_for_warp_size_vIXT1_EEEvE4typeEPT_S4_.private_seg_size, 0
	.set _Z26warp_inclusive_scan_kernelIiLj32ELj8EENSt9enable_ifIXsr10test_utilsE35device_test_enabled_for_warp_size_vIXT1_EEEvE4typeEPT_S4_.uses_vcc, 1
	.set _Z26warp_inclusive_scan_kernelIiLj32ELj8EENSt9enable_ifIXsr10test_utilsE35device_test_enabled_for_warp_size_vIXT1_EEEvE4typeEPT_S4_.uses_flat_scratch, 0
	.set _Z26warp_inclusive_scan_kernelIiLj32ELj8EENSt9enable_ifIXsr10test_utilsE35device_test_enabled_for_warp_size_vIXT1_EEEvE4typeEPT_S4_.has_dyn_sized_stack, 0
	.set _Z26warp_inclusive_scan_kernelIiLj32ELj8EENSt9enable_ifIXsr10test_utilsE35device_test_enabled_for_warp_size_vIXT1_EEEvE4typeEPT_S4_.has_recursion, 0
	.set _Z26warp_inclusive_scan_kernelIiLj32ELj8EENSt9enable_ifIXsr10test_utilsE35device_test_enabled_for_warp_size_vIXT1_EEEvE4typeEPT_S4_.has_indirect_call, 0
	.section	.AMDGPU.csdata,"",@progbits
; Kernel info:
; codeLenInByte = 184
; TotalNumSgprs: 12
; NumVgprs: 6
; ScratchSize: 0
; MemoryBound: 0
; FloatMode: 240
; IeeeMode: 1
; LDSByteSize: 0 bytes/workgroup (compile time only)
; SGPRBlocks: 1
; VGPRBlocks: 1
; NumSGPRsForWavesPerEU: 12
; NumVGPRsForWavesPerEU: 6
; Occupancy: 10
; WaveLimiterHint : 0
; COMPUTE_PGM_RSRC2:SCRATCH_EN: 0
; COMPUTE_PGM_RSRC2:USER_SGPR: 6
; COMPUTE_PGM_RSRC2:TRAP_HANDLER: 0
; COMPUTE_PGM_RSRC2:TGID_X_EN: 1
; COMPUTE_PGM_RSRC2:TGID_Y_EN: 0
; COMPUTE_PGM_RSRC2:TGID_Z_EN: 0
; COMPUTE_PGM_RSRC2:TIDIG_COMP_CNT: 0
	.section	.text._Z26warp_inclusive_scan_kernelIiLj64ELj8EENSt9enable_ifIXsr10test_utilsE35device_test_enabled_for_warp_size_vIXT1_EEEvE4typeEPT_S4_,"axG",@progbits,_Z26warp_inclusive_scan_kernelIiLj64ELj8EENSt9enable_ifIXsr10test_utilsE35device_test_enabled_for_warp_size_vIXT1_EEEvE4typeEPT_S4_,comdat
	.protected	_Z26warp_inclusive_scan_kernelIiLj64ELj8EENSt9enable_ifIXsr10test_utilsE35device_test_enabled_for_warp_size_vIXT1_EEEvE4typeEPT_S4_ ; -- Begin function _Z26warp_inclusive_scan_kernelIiLj64ELj8EENSt9enable_ifIXsr10test_utilsE35device_test_enabled_for_warp_size_vIXT1_EEEvE4typeEPT_S4_
	.globl	_Z26warp_inclusive_scan_kernelIiLj64ELj8EENSt9enable_ifIXsr10test_utilsE35device_test_enabled_for_warp_size_vIXT1_EEEvE4typeEPT_S4_
	.p2align	8
	.type	_Z26warp_inclusive_scan_kernelIiLj64ELj8EENSt9enable_ifIXsr10test_utilsE35device_test_enabled_for_warp_size_vIXT1_EEEvE4typeEPT_S4_,@function
_Z26warp_inclusive_scan_kernelIiLj64ELj8EENSt9enable_ifIXsr10test_utilsE35device_test_enabled_for_warp_size_vIXT1_EEEvE4typeEPT_S4_: ; @_Z26warp_inclusive_scan_kernelIiLj64ELj8EENSt9enable_ifIXsr10test_utilsE35device_test_enabled_for_warp_size_vIXT1_EEEvE4typeEPT_S4_
; %bb.0:
	s_load_dword s7, s[4:5], 0x1c
	s_load_dwordx4 s[0:3], s[4:5], 0x0
	v_mov_b32_e32 v1, 0
	s_waitcnt lgkmcnt(0)
	s_and_b32 s4, s7, 0xffff
	s_mul_i32 s6, s6, s4
	v_add_u32_e32 v0, s6, v0
	v_lshlrev_b64 v[0:1], 2, v[0:1]
	v_mov_b32_e32 v3, s1
	v_add_co_u32_e32 v2, vcc, s0, v0
	v_addc_co_u32_e32 v3, vcc, v3, v1, vcc
	global_load_dword v2, v[2:3], off
	v_mbcnt_lo_u32_b32 v3, -1, 0
	v_mbcnt_hi_u32_b32 v3, -1, v3
	v_and_b32_e32 v3, 7, v3
	v_cmp_ne_u32_e32 vcc, 0, v3
	v_mov_b32_e32 v4, s3
	s_waitcnt vmcnt(0)
	v_mov_b32_dpp v5, v2 row_shr:1 row_mask:0xf bank_mask:0xf
	v_cndmask_b32_e32 v5, 0, v5, vcc
	v_add_u32_e32 v2, v5, v2
	v_cmp_lt_u32_e32 vcc, 1, v3
	s_nop 0
	v_mov_b32_dpp v5, v2 row_shr:2 row_mask:0xf bank_mask:0xf
	v_cndmask_b32_e32 v5, 0, v5, vcc
	v_add_u32_e32 v2, v2, v5
	v_cmp_lt_u32_e32 vcc, 3, v3
	s_nop 0
	v_mov_b32_dpp v5, v2 row_shr:4 row_mask:0xf bank_mask:0xf
	v_cndmask_b32_e32 v3, 0, v5, vcc
	v_add_co_u32_e32 v0, vcc, s2, v0
	v_add_u32_e32 v2, v2, v3
	v_addc_co_u32_e32 v1, vcc, v4, v1, vcc
	global_store_dword v[0:1], v2, off
	s_endpgm
	.section	.rodata,"a",@progbits
	.p2align	6, 0x0
	.amdhsa_kernel _Z26warp_inclusive_scan_kernelIiLj64ELj8EENSt9enable_ifIXsr10test_utilsE35device_test_enabled_for_warp_size_vIXT1_EEEvE4typeEPT_S4_
		.amdhsa_group_segment_fixed_size 0
		.amdhsa_private_segment_fixed_size 0
		.amdhsa_kernarg_size 272
		.amdhsa_user_sgpr_count 6
		.amdhsa_user_sgpr_private_segment_buffer 1
		.amdhsa_user_sgpr_dispatch_ptr 0
		.amdhsa_user_sgpr_queue_ptr 0
		.amdhsa_user_sgpr_kernarg_segment_ptr 1
		.amdhsa_user_sgpr_dispatch_id 0
		.amdhsa_user_sgpr_flat_scratch_init 0
		.amdhsa_user_sgpr_private_segment_size 0
		.amdhsa_uses_dynamic_stack 0
		.amdhsa_system_sgpr_private_segment_wavefront_offset 0
		.amdhsa_system_sgpr_workgroup_id_x 1
		.amdhsa_system_sgpr_workgroup_id_y 0
		.amdhsa_system_sgpr_workgroup_id_z 0
		.amdhsa_system_sgpr_workgroup_info 0
		.amdhsa_system_vgpr_workitem_id 0
		.amdhsa_next_free_vgpr 6
		.amdhsa_next_free_sgpr 8
		.amdhsa_reserve_vcc 1
		.amdhsa_reserve_flat_scratch 0
		.amdhsa_float_round_mode_32 0
		.amdhsa_float_round_mode_16_64 0
		.amdhsa_float_denorm_mode_32 3
		.amdhsa_float_denorm_mode_16_64 3
		.amdhsa_dx10_clamp 1
		.amdhsa_ieee_mode 1
		.amdhsa_fp16_overflow 0
		.amdhsa_exception_fp_ieee_invalid_op 0
		.amdhsa_exception_fp_denorm_src 0
		.amdhsa_exception_fp_ieee_div_zero 0
		.amdhsa_exception_fp_ieee_overflow 0
		.amdhsa_exception_fp_ieee_underflow 0
		.amdhsa_exception_fp_ieee_inexact 0
		.amdhsa_exception_int_div_zero 0
	.end_amdhsa_kernel
	.section	.text._Z26warp_inclusive_scan_kernelIiLj64ELj8EENSt9enable_ifIXsr10test_utilsE35device_test_enabled_for_warp_size_vIXT1_EEEvE4typeEPT_S4_,"axG",@progbits,_Z26warp_inclusive_scan_kernelIiLj64ELj8EENSt9enable_ifIXsr10test_utilsE35device_test_enabled_for_warp_size_vIXT1_EEEvE4typeEPT_S4_,comdat
.Lfunc_end51:
	.size	_Z26warp_inclusive_scan_kernelIiLj64ELj8EENSt9enable_ifIXsr10test_utilsE35device_test_enabled_for_warp_size_vIXT1_EEEvE4typeEPT_S4_, .Lfunc_end51-_Z26warp_inclusive_scan_kernelIiLj64ELj8EENSt9enable_ifIXsr10test_utilsE35device_test_enabled_for_warp_size_vIXT1_EEEvE4typeEPT_S4_
                                        ; -- End function
	.set _Z26warp_inclusive_scan_kernelIiLj64ELj8EENSt9enable_ifIXsr10test_utilsE35device_test_enabled_for_warp_size_vIXT1_EEEvE4typeEPT_S4_.num_vgpr, 6
	.set _Z26warp_inclusive_scan_kernelIiLj64ELj8EENSt9enable_ifIXsr10test_utilsE35device_test_enabled_for_warp_size_vIXT1_EEEvE4typeEPT_S4_.num_agpr, 0
	.set _Z26warp_inclusive_scan_kernelIiLj64ELj8EENSt9enable_ifIXsr10test_utilsE35device_test_enabled_for_warp_size_vIXT1_EEEvE4typeEPT_S4_.numbered_sgpr, 8
	.set _Z26warp_inclusive_scan_kernelIiLj64ELj8EENSt9enable_ifIXsr10test_utilsE35device_test_enabled_for_warp_size_vIXT1_EEEvE4typeEPT_S4_.num_named_barrier, 0
	.set _Z26warp_inclusive_scan_kernelIiLj64ELj8EENSt9enable_ifIXsr10test_utilsE35device_test_enabled_for_warp_size_vIXT1_EEEvE4typeEPT_S4_.private_seg_size, 0
	.set _Z26warp_inclusive_scan_kernelIiLj64ELj8EENSt9enable_ifIXsr10test_utilsE35device_test_enabled_for_warp_size_vIXT1_EEEvE4typeEPT_S4_.uses_vcc, 1
	.set _Z26warp_inclusive_scan_kernelIiLj64ELj8EENSt9enable_ifIXsr10test_utilsE35device_test_enabled_for_warp_size_vIXT1_EEEvE4typeEPT_S4_.uses_flat_scratch, 0
	.set _Z26warp_inclusive_scan_kernelIiLj64ELj8EENSt9enable_ifIXsr10test_utilsE35device_test_enabled_for_warp_size_vIXT1_EEEvE4typeEPT_S4_.has_dyn_sized_stack, 0
	.set _Z26warp_inclusive_scan_kernelIiLj64ELj8EENSt9enable_ifIXsr10test_utilsE35device_test_enabled_for_warp_size_vIXT1_EEEvE4typeEPT_S4_.has_recursion, 0
	.set _Z26warp_inclusive_scan_kernelIiLj64ELj8EENSt9enable_ifIXsr10test_utilsE35device_test_enabled_for_warp_size_vIXT1_EEEvE4typeEPT_S4_.has_indirect_call, 0
	.section	.AMDGPU.csdata,"",@progbits
; Kernel info:
; codeLenInByte = 184
; TotalNumSgprs: 12
; NumVgprs: 6
; ScratchSize: 0
; MemoryBound: 0
; FloatMode: 240
; IeeeMode: 1
; LDSByteSize: 0 bytes/workgroup (compile time only)
; SGPRBlocks: 1
; VGPRBlocks: 1
; NumSGPRsForWavesPerEU: 12
; NumVGPRsForWavesPerEU: 6
; Occupancy: 10
; WaveLimiterHint : 0
; COMPUTE_PGM_RSRC2:SCRATCH_EN: 0
; COMPUTE_PGM_RSRC2:USER_SGPR: 6
; COMPUTE_PGM_RSRC2:TRAP_HANDLER: 0
; COMPUTE_PGM_RSRC2:TGID_X_EN: 1
; COMPUTE_PGM_RSRC2:TGID_Y_EN: 0
; COMPUTE_PGM_RSRC2:TGID_Z_EN: 0
; COMPUTE_PGM_RSRC2:TIDIG_COMP_CNT: 0
	.section	.text._Z26warp_inclusive_scan_kernelIiLj32ELj4EENSt9enable_ifIXsr10test_utilsE35device_test_enabled_for_warp_size_vIXT1_EEEvE4typeEPT_S4_,"axG",@progbits,_Z26warp_inclusive_scan_kernelIiLj32ELj4EENSt9enable_ifIXsr10test_utilsE35device_test_enabled_for_warp_size_vIXT1_EEEvE4typeEPT_S4_,comdat
	.protected	_Z26warp_inclusive_scan_kernelIiLj32ELj4EENSt9enable_ifIXsr10test_utilsE35device_test_enabled_for_warp_size_vIXT1_EEEvE4typeEPT_S4_ ; -- Begin function _Z26warp_inclusive_scan_kernelIiLj32ELj4EENSt9enable_ifIXsr10test_utilsE35device_test_enabled_for_warp_size_vIXT1_EEEvE4typeEPT_S4_
	.globl	_Z26warp_inclusive_scan_kernelIiLj32ELj4EENSt9enable_ifIXsr10test_utilsE35device_test_enabled_for_warp_size_vIXT1_EEEvE4typeEPT_S4_
	.p2align	8
	.type	_Z26warp_inclusive_scan_kernelIiLj32ELj4EENSt9enable_ifIXsr10test_utilsE35device_test_enabled_for_warp_size_vIXT1_EEEvE4typeEPT_S4_,@function
_Z26warp_inclusive_scan_kernelIiLj32ELj4EENSt9enable_ifIXsr10test_utilsE35device_test_enabled_for_warp_size_vIXT1_EEEvE4typeEPT_S4_: ; @_Z26warp_inclusive_scan_kernelIiLj32ELj4EENSt9enable_ifIXsr10test_utilsE35device_test_enabled_for_warp_size_vIXT1_EEEvE4typeEPT_S4_
; %bb.0:
	s_load_dword s7, s[4:5], 0x1c
	s_load_dwordx4 s[0:3], s[4:5], 0x0
	v_mov_b32_e32 v1, 0
	s_waitcnt lgkmcnt(0)
	s_and_b32 s4, s7, 0xffff
	s_mul_i32 s6, s6, s4
	v_add_u32_e32 v0, s6, v0
	v_lshlrev_b64 v[0:1], 2, v[0:1]
	v_mov_b32_e32 v3, s1
	v_add_co_u32_e32 v2, vcc, s0, v0
	v_addc_co_u32_e32 v3, vcc, v3, v1, vcc
	global_load_dword v2, v[2:3], off
	v_mbcnt_lo_u32_b32 v3, -1, 0
	v_mbcnt_hi_u32_b32 v3, -1, v3
	v_and_b32_e32 v3, 3, v3
	v_cmp_ne_u32_e32 vcc, 0, v3
	v_mov_b32_e32 v4, s3
	s_waitcnt vmcnt(0)
	v_mov_b32_dpp v5, v2 row_shr:1 row_mask:0xf bank_mask:0xf
	v_cndmask_b32_e32 v5, 0, v5, vcc
	v_add_u32_e32 v2, v5, v2
	v_cmp_lt_u32_e32 vcc, 1, v3
	s_nop 0
	v_mov_b32_dpp v5, v2 row_shr:2 row_mask:0xf bank_mask:0xf
	v_cndmask_b32_e32 v3, 0, v5, vcc
	v_add_co_u32_e32 v0, vcc, s2, v0
	v_add_u32_e32 v2, v2, v3
	v_addc_co_u32_e32 v1, vcc, v4, v1, vcc
	global_store_dword v[0:1], v2, off
	s_endpgm
	.section	.rodata,"a",@progbits
	.p2align	6, 0x0
	.amdhsa_kernel _Z26warp_inclusive_scan_kernelIiLj32ELj4EENSt9enable_ifIXsr10test_utilsE35device_test_enabled_for_warp_size_vIXT1_EEEvE4typeEPT_S4_
		.amdhsa_group_segment_fixed_size 0
		.amdhsa_private_segment_fixed_size 0
		.amdhsa_kernarg_size 272
		.amdhsa_user_sgpr_count 6
		.amdhsa_user_sgpr_private_segment_buffer 1
		.amdhsa_user_sgpr_dispatch_ptr 0
		.amdhsa_user_sgpr_queue_ptr 0
		.amdhsa_user_sgpr_kernarg_segment_ptr 1
		.amdhsa_user_sgpr_dispatch_id 0
		.amdhsa_user_sgpr_flat_scratch_init 0
		.amdhsa_user_sgpr_private_segment_size 0
		.amdhsa_uses_dynamic_stack 0
		.amdhsa_system_sgpr_private_segment_wavefront_offset 0
		.amdhsa_system_sgpr_workgroup_id_x 1
		.amdhsa_system_sgpr_workgroup_id_y 0
		.amdhsa_system_sgpr_workgroup_id_z 0
		.amdhsa_system_sgpr_workgroup_info 0
		.amdhsa_system_vgpr_workitem_id 0
		.amdhsa_next_free_vgpr 6
		.amdhsa_next_free_sgpr 8
		.amdhsa_reserve_vcc 1
		.amdhsa_reserve_flat_scratch 0
		.amdhsa_float_round_mode_32 0
		.amdhsa_float_round_mode_16_64 0
		.amdhsa_float_denorm_mode_32 3
		.amdhsa_float_denorm_mode_16_64 3
		.amdhsa_dx10_clamp 1
		.amdhsa_ieee_mode 1
		.amdhsa_fp16_overflow 0
		.amdhsa_exception_fp_ieee_invalid_op 0
		.amdhsa_exception_fp_denorm_src 0
		.amdhsa_exception_fp_ieee_div_zero 0
		.amdhsa_exception_fp_ieee_overflow 0
		.amdhsa_exception_fp_ieee_underflow 0
		.amdhsa_exception_fp_ieee_inexact 0
		.amdhsa_exception_int_div_zero 0
	.end_amdhsa_kernel
	.section	.text._Z26warp_inclusive_scan_kernelIiLj32ELj4EENSt9enable_ifIXsr10test_utilsE35device_test_enabled_for_warp_size_vIXT1_EEEvE4typeEPT_S4_,"axG",@progbits,_Z26warp_inclusive_scan_kernelIiLj32ELj4EENSt9enable_ifIXsr10test_utilsE35device_test_enabled_for_warp_size_vIXT1_EEEvE4typeEPT_S4_,comdat
.Lfunc_end52:
	.size	_Z26warp_inclusive_scan_kernelIiLj32ELj4EENSt9enable_ifIXsr10test_utilsE35device_test_enabled_for_warp_size_vIXT1_EEEvE4typeEPT_S4_, .Lfunc_end52-_Z26warp_inclusive_scan_kernelIiLj32ELj4EENSt9enable_ifIXsr10test_utilsE35device_test_enabled_for_warp_size_vIXT1_EEEvE4typeEPT_S4_
                                        ; -- End function
	.set _Z26warp_inclusive_scan_kernelIiLj32ELj4EENSt9enable_ifIXsr10test_utilsE35device_test_enabled_for_warp_size_vIXT1_EEEvE4typeEPT_S4_.num_vgpr, 6
	.set _Z26warp_inclusive_scan_kernelIiLj32ELj4EENSt9enable_ifIXsr10test_utilsE35device_test_enabled_for_warp_size_vIXT1_EEEvE4typeEPT_S4_.num_agpr, 0
	.set _Z26warp_inclusive_scan_kernelIiLj32ELj4EENSt9enable_ifIXsr10test_utilsE35device_test_enabled_for_warp_size_vIXT1_EEEvE4typeEPT_S4_.numbered_sgpr, 8
	.set _Z26warp_inclusive_scan_kernelIiLj32ELj4EENSt9enable_ifIXsr10test_utilsE35device_test_enabled_for_warp_size_vIXT1_EEEvE4typeEPT_S4_.num_named_barrier, 0
	.set _Z26warp_inclusive_scan_kernelIiLj32ELj4EENSt9enable_ifIXsr10test_utilsE35device_test_enabled_for_warp_size_vIXT1_EEEvE4typeEPT_S4_.private_seg_size, 0
	.set _Z26warp_inclusive_scan_kernelIiLj32ELj4EENSt9enable_ifIXsr10test_utilsE35device_test_enabled_for_warp_size_vIXT1_EEEvE4typeEPT_S4_.uses_vcc, 1
	.set _Z26warp_inclusive_scan_kernelIiLj32ELj4EENSt9enable_ifIXsr10test_utilsE35device_test_enabled_for_warp_size_vIXT1_EEEvE4typeEPT_S4_.uses_flat_scratch, 0
	.set _Z26warp_inclusive_scan_kernelIiLj32ELj4EENSt9enable_ifIXsr10test_utilsE35device_test_enabled_for_warp_size_vIXT1_EEEvE4typeEPT_S4_.has_dyn_sized_stack, 0
	.set _Z26warp_inclusive_scan_kernelIiLj32ELj4EENSt9enable_ifIXsr10test_utilsE35device_test_enabled_for_warp_size_vIXT1_EEEvE4typeEPT_S4_.has_recursion, 0
	.set _Z26warp_inclusive_scan_kernelIiLj32ELj4EENSt9enable_ifIXsr10test_utilsE35device_test_enabled_for_warp_size_vIXT1_EEEvE4typeEPT_S4_.has_indirect_call, 0
	.section	.AMDGPU.csdata,"",@progbits
; Kernel info:
; codeLenInByte = 160
; TotalNumSgprs: 12
; NumVgprs: 6
; ScratchSize: 0
; MemoryBound: 0
; FloatMode: 240
; IeeeMode: 1
; LDSByteSize: 0 bytes/workgroup (compile time only)
; SGPRBlocks: 1
; VGPRBlocks: 1
; NumSGPRsForWavesPerEU: 12
; NumVGPRsForWavesPerEU: 6
; Occupancy: 10
; WaveLimiterHint : 0
; COMPUTE_PGM_RSRC2:SCRATCH_EN: 0
; COMPUTE_PGM_RSRC2:USER_SGPR: 6
; COMPUTE_PGM_RSRC2:TRAP_HANDLER: 0
; COMPUTE_PGM_RSRC2:TGID_X_EN: 1
; COMPUTE_PGM_RSRC2:TGID_Y_EN: 0
; COMPUTE_PGM_RSRC2:TGID_Z_EN: 0
; COMPUTE_PGM_RSRC2:TIDIG_COMP_CNT: 0
	.section	.text._Z26warp_inclusive_scan_kernelIiLj64ELj4EENSt9enable_ifIXsr10test_utilsE35device_test_enabled_for_warp_size_vIXT1_EEEvE4typeEPT_S4_,"axG",@progbits,_Z26warp_inclusive_scan_kernelIiLj64ELj4EENSt9enable_ifIXsr10test_utilsE35device_test_enabled_for_warp_size_vIXT1_EEEvE4typeEPT_S4_,comdat
	.protected	_Z26warp_inclusive_scan_kernelIiLj64ELj4EENSt9enable_ifIXsr10test_utilsE35device_test_enabled_for_warp_size_vIXT1_EEEvE4typeEPT_S4_ ; -- Begin function _Z26warp_inclusive_scan_kernelIiLj64ELj4EENSt9enable_ifIXsr10test_utilsE35device_test_enabled_for_warp_size_vIXT1_EEEvE4typeEPT_S4_
	.globl	_Z26warp_inclusive_scan_kernelIiLj64ELj4EENSt9enable_ifIXsr10test_utilsE35device_test_enabled_for_warp_size_vIXT1_EEEvE4typeEPT_S4_
	.p2align	8
	.type	_Z26warp_inclusive_scan_kernelIiLj64ELj4EENSt9enable_ifIXsr10test_utilsE35device_test_enabled_for_warp_size_vIXT1_EEEvE4typeEPT_S4_,@function
_Z26warp_inclusive_scan_kernelIiLj64ELj4EENSt9enable_ifIXsr10test_utilsE35device_test_enabled_for_warp_size_vIXT1_EEEvE4typeEPT_S4_: ; @_Z26warp_inclusive_scan_kernelIiLj64ELj4EENSt9enable_ifIXsr10test_utilsE35device_test_enabled_for_warp_size_vIXT1_EEEvE4typeEPT_S4_
; %bb.0:
	s_load_dword s7, s[4:5], 0x1c
	s_load_dwordx4 s[0:3], s[4:5], 0x0
	v_mov_b32_e32 v1, 0
	s_waitcnt lgkmcnt(0)
	s_and_b32 s4, s7, 0xffff
	s_mul_i32 s6, s6, s4
	v_add_u32_e32 v0, s6, v0
	v_lshlrev_b64 v[0:1], 2, v[0:1]
	v_mov_b32_e32 v3, s1
	v_add_co_u32_e32 v2, vcc, s0, v0
	v_addc_co_u32_e32 v3, vcc, v3, v1, vcc
	global_load_dword v2, v[2:3], off
	v_mbcnt_lo_u32_b32 v3, -1, 0
	v_mbcnt_hi_u32_b32 v3, -1, v3
	v_and_b32_e32 v3, 3, v3
	v_cmp_ne_u32_e32 vcc, 0, v3
	v_mov_b32_e32 v4, s3
	s_waitcnt vmcnt(0)
	v_mov_b32_dpp v5, v2 row_shr:1 row_mask:0xf bank_mask:0xf
	v_cndmask_b32_e32 v5, 0, v5, vcc
	v_add_u32_e32 v2, v5, v2
	v_cmp_lt_u32_e32 vcc, 1, v3
	s_nop 0
	v_mov_b32_dpp v5, v2 row_shr:2 row_mask:0xf bank_mask:0xf
	v_cndmask_b32_e32 v3, 0, v5, vcc
	v_add_co_u32_e32 v0, vcc, s2, v0
	v_add_u32_e32 v2, v2, v3
	v_addc_co_u32_e32 v1, vcc, v4, v1, vcc
	global_store_dword v[0:1], v2, off
	s_endpgm
	.section	.rodata,"a",@progbits
	.p2align	6, 0x0
	.amdhsa_kernel _Z26warp_inclusive_scan_kernelIiLj64ELj4EENSt9enable_ifIXsr10test_utilsE35device_test_enabled_for_warp_size_vIXT1_EEEvE4typeEPT_S4_
		.amdhsa_group_segment_fixed_size 0
		.amdhsa_private_segment_fixed_size 0
		.amdhsa_kernarg_size 272
		.amdhsa_user_sgpr_count 6
		.amdhsa_user_sgpr_private_segment_buffer 1
		.amdhsa_user_sgpr_dispatch_ptr 0
		.amdhsa_user_sgpr_queue_ptr 0
		.amdhsa_user_sgpr_kernarg_segment_ptr 1
		.amdhsa_user_sgpr_dispatch_id 0
		.amdhsa_user_sgpr_flat_scratch_init 0
		.amdhsa_user_sgpr_private_segment_size 0
		.amdhsa_uses_dynamic_stack 0
		.amdhsa_system_sgpr_private_segment_wavefront_offset 0
		.amdhsa_system_sgpr_workgroup_id_x 1
		.amdhsa_system_sgpr_workgroup_id_y 0
		.amdhsa_system_sgpr_workgroup_id_z 0
		.amdhsa_system_sgpr_workgroup_info 0
		.amdhsa_system_vgpr_workitem_id 0
		.amdhsa_next_free_vgpr 6
		.amdhsa_next_free_sgpr 8
		.amdhsa_reserve_vcc 1
		.amdhsa_reserve_flat_scratch 0
		.amdhsa_float_round_mode_32 0
		.amdhsa_float_round_mode_16_64 0
		.amdhsa_float_denorm_mode_32 3
		.amdhsa_float_denorm_mode_16_64 3
		.amdhsa_dx10_clamp 1
		.amdhsa_ieee_mode 1
		.amdhsa_fp16_overflow 0
		.amdhsa_exception_fp_ieee_invalid_op 0
		.amdhsa_exception_fp_denorm_src 0
		.amdhsa_exception_fp_ieee_div_zero 0
		.amdhsa_exception_fp_ieee_overflow 0
		.amdhsa_exception_fp_ieee_underflow 0
		.amdhsa_exception_fp_ieee_inexact 0
		.amdhsa_exception_int_div_zero 0
	.end_amdhsa_kernel
	.section	.text._Z26warp_inclusive_scan_kernelIiLj64ELj4EENSt9enable_ifIXsr10test_utilsE35device_test_enabled_for_warp_size_vIXT1_EEEvE4typeEPT_S4_,"axG",@progbits,_Z26warp_inclusive_scan_kernelIiLj64ELj4EENSt9enable_ifIXsr10test_utilsE35device_test_enabled_for_warp_size_vIXT1_EEEvE4typeEPT_S4_,comdat
.Lfunc_end53:
	.size	_Z26warp_inclusive_scan_kernelIiLj64ELj4EENSt9enable_ifIXsr10test_utilsE35device_test_enabled_for_warp_size_vIXT1_EEEvE4typeEPT_S4_, .Lfunc_end53-_Z26warp_inclusive_scan_kernelIiLj64ELj4EENSt9enable_ifIXsr10test_utilsE35device_test_enabled_for_warp_size_vIXT1_EEEvE4typeEPT_S4_
                                        ; -- End function
	.set _Z26warp_inclusive_scan_kernelIiLj64ELj4EENSt9enable_ifIXsr10test_utilsE35device_test_enabled_for_warp_size_vIXT1_EEEvE4typeEPT_S4_.num_vgpr, 6
	.set _Z26warp_inclusive_scan_kernelIiLj64ELj4EENSt9enable_ifIXsr10test_utilsE35device_test_enabled_for_warp_size_vIXT1_EEEvE4typeEPT_S4_.num_agpr, 0
	.set _Z26warp_inclusive_scan_kernelIiLj64ELj4EENSt9enable_ifIXsr10test_utilsE35device_test_enabled_for_warp_size_vIXT1_EEEvE4typeEPT_S4_.numbered_sgpr, 8
	.set _Z26warp_inclusive_scan_kernelIiLj64ELj4EENSt9enable_ifIXsr10test_utilsE35device_test_enabled_for_warp_size_vIXT1_EEEvE4typeEPT_S4_.num_named_barrier, 0
	.set _Z26warp_inclusive_scan_kernelIiLj64ELj4EENSt9enable_ifIXsr10test_utilsE35device_test_enabled_for_warp_size_vIXT1_EEEvE4typeEPT_S4_.private_seg_size, 0
	.set _Z26warp_inclusive_scan_kernelIiLj64ELj4EENSt9enable_ifIXsr10test_utilsE35device_test_enabled_for_warp_size_vIXT1_EEEvE4typeEPT_S4_.uses_vcc, 1
	.set _Z26warp_inclusive_scan_kernelIiLj64ELj4EENSt9enable_ifIXsr10test_utilsE35device_test_enabled_for_warp_size_vIXT1_EEEvE4typeEPT_S4_.uses_flat_scratch, 0
	.set _Z26warp_inclusive_scan_kernelIiLj64ELj4EENSt9enable_ifIXsr10test_utilsE35device_test_enabled_for_warp_size_vIXT1_EEEvE4typeEPT_S4_.has_dyn_sized_stack, 0
	.set _Z26warp_inclusive_scan_kernelIiLj64ELj4EENSt9enable_ifIXsr10test_utilsE35device_test_enabled_for_warp_size_vIXT1_EEEvE4typeEPT_S4_.has_recursion, 0
	.set _Z26warp_inclusive_scan_kernelIiLj64ELj4EENSt9enable_ifIXsr10test_utilsE35device_test_enabled_for_warp_size_vIXT1_EEEvE4typeEPT_S4_.has_indirect_call, 0
	.section	.AMDGPU.csdata,"",@progbits
; Kernel info:
; codeLenInByte = 160
; TotalNumSgprs: 12
; NumVgprs: 6
; ScratchSize: 0
; MemoryBound: 0
; FloatMode: 240
; IeeeMode: 1
; LDSByteSize: 0 bytes/workgroup (compile time only)
; SGPRBlocks: 1
; VGPRBlocks: 1
; NumSGPRsForWavesPerEU: 12
; NumVGPRsForWavesPerEU: 6
; Occupancy: 10
; WaveLimiterHint : 0
; COMPUTE_PGM_RSRC2:SCRATCH_EN: 0
; COMPUTE_PGM_RSRC2:USER_SGPR: 6
; COMPUTE_PGM_RSRC2:TRAP_HANDLER: 0
; COMPUTE_PGM_RSRC2:TGID_X_EN: 1
; COMPUTE_PGM_RSRC2:TGID_Y_EN: 0
; COMPUTE_PGM_RSRC2:TGID_Z_EN: 0
; COMPUTE_PGM_RSRC2:TIDIG_COMP_CNT: 0
	.section	.text._Z26warp_inclusive_scan_kernelIiLj32ELj2EENSt9enable_ifIXsr10test_utilsE35device_test_enabled_for_warp_size_vIXT1_EEEvE4typeEPT_S4_,"axG",@progbits,_Z26warp_inclusive_scan_kernelIiLj32ELj2EENSt9enable_ifIXsr10test_utilsE35device_test_enabled_for_warp_size_vIXT1_EEEvE4typeEPT_S4_,comdat
	.protected	_Z26warp_inclusive_scan_kernelIiLj32ELj2EENSt9enable_ifIXsr10test_utilsE35device_test_enabled_for_warp_size_vIXT1_EEEvE4typeEPT_S4_ ; -- Begin function _Z26warp_inclusive_scan_kernelIiLj32ELj2EENSt9enable_ifIXsr10test_utilsE35device_test_enabled_for_warp_size_vIXT1_EEEvE4typeEPT_S4_
	.globl	_Z26warp_inclusive_scan_kernelIiLj32ELj2EENSt9enable_ifIXsr10test_utilsE35device_test_enabled_for_warp_size_vIXT1_EEEvE4typeEPT_S4_
	.p2align	8
	.type	_Z26warp_inclusive_scan_kernelIiLj32ELj2EENSt9enable_ifIXsr10test_utilsE35device_test_enabled_for_warp_size_vIXT1_EEEvE4typeEPT_S4_,@function
_Z26warp_inclusive_scan_kernelIiLj32ELj2EENSt9enable_ifIXsr10test_utilsE35device_test_enabled_for_warp_size_vIXT1_EEEvE4typeEPT_S4_: ; @_Z26warp_inclusive_scan_kernelIiLj32ELj2EENSt9enable_ifIXsr10test_utilsE35device_test_enabled_for_warp_size_vIXT1_EEEvE4typeEPT_S4_
; %bb.0:
	s_load_dword s7, s[4:5], 0x1c
	s_load_dwordx4 s[0:3], s[4:5], 0x0
	v_mov_b32_e32 v1, 0
	s_waitcnt lgkmcnt(0)
	s_and_b32 s4, s7, 0xffff
	s_mul_i32 s6, s6, s4
	v_add_u32_e32 v0, s6, v0
	v_lshlrev_b64 v[0:1], 2, v[0:1]
	v_mov_b32_e32 v3, s1
	v_add_co_u32_e32 v2, vcc, s0, v0
	v_addc_co_u32_e32 v3, vcc, v3, v1, vcc
	global_load_dword v2, v[2:3], off
	v_mbcnt_lo_u32_b32 v3, -1, 0
	v_mbcnt_hi_u32_b32 v3, -1, v3
	v_bfe_i32 v3, v3, 0, 1
	v_mov_b32_e32 v4, s3
	v_add_co_u32_e32 v0, vcc, s2, v0
	v_addc_co_u32_e32 v1, vcc, v4, v1, vcc
	s_waitcnt vmcnt(0)
	v_mov_b32_dpp v5, v2 row_shr:1 row_mask:0xf bank_mask:0xf
	v_and_b32_e32 v3, v3, v5
	v_add_u32_e32 v2, v3, v2
	global_store_dword v[0:1], v2, off
	s_endpgm
	.section	.rodata,"a",@progbits
	.p2align	6, 0x0
	.amdhsa_kernel _Z26warp_inclusive_scan_kernelIiLj32ELj2EENSt9enable_ifIXsr10test_utilsE35device_test_enabled_for_warp_size_vIXT1_EEEvE4typeEPT_S4_
		.amdhsa_group_segment_fixed_size 0
		.amdhsa_private_segment_fixed_size 0
		.amdhsa_kernarg_size 272
		.amdhsa_user_sgpr_count 6
		.amdhsa_user_sgpr_private_segment_buffer 1
		.amdhsa_user_sgpr_dispatch_ptr 0
		.amdhsa_user_sgpr_queue_ptr 0
		.amdhsa_user_sgpr_kernarg_segment_ptr 1
		.amdhsa_user_sgpr_dispatch_id 0
		.amdhsa_user_sgpr_flat_scratch_init 0
		.amdhsa_user_sgpr_private_segment_size 0
		.amdhsa_uses_dynamic_stack 0
		.amdhsa_system_sgpr_private_segment_wavefront_offset 0
		.amdhsa_system_sgpr_workgroup_id_x 1
		.amdhsa_system_sgpr_workgroup_id_y 0
		.amdhsa_system_sgpr_workgroup_id_z 0
		.amdhsa_system_sgpr_workgroup_info 0
		.amdhsa_system_vgpr_workitem_id 0
		.amdhsa_next_free_vgpr 6
		.amdhsa_next_free_sgpr 8
		.amdhsa_reserve_vcc 1
		.amdhsa_reserve_flat_scratch 0
		.amdhsa_float_round_mode_32 0
		.amdhsa_float_round_mode_16_64 0
		.amdhsa_float_denorm_mode_32 3
		.amdhsa_float_denorm_mode_16_64 3
		.amdhsa_dx10_clamp 1
		.amdhsa_ieee_mode 1
		.amdhsa_fp16_overflow 0
		.amdhsa_exception_fp_ieee_invalid_op 0
		.amdhsa_exception_fp_denorm_src 0
		.amdhsa_exception_fp_ieee_div_zero 0
		.amdhsa_exception_fp_ieee_overflow 0
		.amdhsa_exception_fp_ieee_underflow 0
		.amdhsa_exception_fp_ieee_inexact 0
		.amdhsa_exception_int_div_zero 0
	.end_amdhsa_kernel
	.section	.text._Z26warp_inclusive_scan_kernelIiLj32ELj2EENSt9enable_ifIXsr10test_utilsE35device_test_enabled_for_warp_size_vIXT1_EEEvE4typeEPT_S4_,"axG",@progbits,_Z26warp_inclusive_scan_kernelIiLj32ELj2EENSt9enable_ifIXsr10test_utilsE35device_test_enabled_for_warp_size_vIXT1_EEEvE4typeEPT_S4_,comdat
.Lfunc_end54:
	.size	_Z26warp_inclusive_scan_kernelIiLj32ELj2EENSt9enable_ifIXsr10test_utilsE35device_test_enabled_for_warp_size_vIXT1_EEEvE4typeEPT_S4_, .Lfunc_end54-_Z26warp_inclusive_scan_kernelIiLj32ELj2EENSt9enable_ifIXsr10test_utilsE35device_test_enabled_for_warp_size_vIXT1_EEEvE4typeEPT_S4_
                                        ; -- End function
	.set _Z26warp_inclusive_scan_kernelIiLj32ELj2EENSt9enable_ifIXsr10test_utilsE35device_test_enabled_for_warp_size_vIXT1_EEEvE4typeEPT_S4_.num_vgpr, 6
	.set _Z26warp_inclusive_scan_kernelIiLj32ELj2EENSt9enable_ifIXsr10test_utilsE35device_test_enabled_for_warp_size_vIXT1_EEEvE4typeEPT_S4_.num_agpr, 0
	.set _Z26warp_inclusive_scan_kernelIiLj32ELj2EENSt9enable_ifIXsr10test_utilsE35device_test_enabled_for_warp_size_vIXT1_EEEvE4typeEPT_S4_.numbered_sgpr, 8
	.set _Z26warp_inclusive_scan_kernelIiLj32ELj2EENSt9enable_ifIXsr10test_utilsE35device_test_enabled_for_warp_size_vIXT1_EEEvE4typeEPT_S4_.num_named_barrier, 0
	.set _Z26warp_inclusive_scan_kernelIiLj32ELj2EENSt9enable_ifIXsr10test_utilsE35device_test_enabled_for_warp_size_vIXT1_EEEvE4typeEPT_S4_.private_seg_size, 0
	.set _Z26warp_inclusive_scan_kernelIiLj32ELj2EENSt9enable_ifIXsr10test_utilsE35device_test_enabled_for_warp_size_vIXT1_EEEvE4typeEPT_S4_.uses_vcc, 1
	.set _Z26warp_inclusive_scan_kernelIiLj32ELj2EENSt9enable_ifIXsr10test_utilsE35device_test_enabled_for_warp_size_vIXT1_EEEvE4typeEPT_S4_.uses_flat_scratch, 0
	.set _Z26warp_inclusive_scan_kernelIiLj32ELj2EENSt9enable_ifIXsr10test_utilsE35device_test_enabled_for_warp_size_vIXT1_EEEvE4typeEPT_S4_.has_dyn_sized_stack, 0
	.set _Z26warp_inclusive_scan_kernelIiLj32ELj2EENSt9enable_ifIXsr10test_utilsE35device_test_enabled_for_warp_size_vIXT1_EEEvE4typeEPT_S4_.has_recursion, 0
	.set _Z26warp_inclusive_scan_kernelIiLj32ELj2EENSt9enable_ifIXsr10test_utilsE35device_test_enabled_for_warp_size_vIXT1_EEEvE4typeEPT_S4_.has_indirect_call, 0
	.section	.AMDGPU.csdata,"",@progbits
; Kernel info:
; codeLenInByte = 136
; TotalNumSgprs: 12
; NumVgprs: 6
; ScratchSize: 0
; MemoryBound: 0
; FloatMode: 240
; IeeeMode: 1
; LDSByteSize: 0 bytes/workgroup (compile time only)
; SGPRBlocks: 1
; VGPRBlocks: 1
; NumSGPRsForWavesPerEU: 12
; NumVGPRsForWavesPerEU: 6
; Occupancy: 10
; WaveLimiterHint : 0
; COMPUTE_PGM_RSRC2:SCRATCH_EN: 0
; COMPUTE_PGM_RSRC2:USER_SGPR: 6
; COMPUTE_PGM_RSRC2:TRAP_HANDLER: 0
; COMPUTE_PGM_RSRC2:TGID_X_EN: 1
; COMPUTE_PGM_RSRC2:TGID_Y_EN: 0
; COMPUTE_PGM_RSRC2:TGID_Z_EN: 0
; COMPUTE_PGM_RSRC2:TIDIG_COMP_CNT: 0
	.section	.text._Z26warp_inclusive_scan_kernelIiLj64ELj2EENSt9enable_ifIXsr10test_utilsE35device_test_enabled_for_warp_size_vIXT1_EEEvE4typeEPT_S4_,"axG",@progbits,_Z26warp_inclusive_scan_kernelIiLj64ELj2EENSt9enable_ifIXsr10test_utilsE35device_test_enabled_for_warp_size_vIXT1_EEEvE4typeEPT_S4_,comdat
	.protected	_Z26warp_inclusive_scan_kernelIiLj64ELj2EENSt9enable_ifIXsr10test_utilsE35device_test_enabled_for_warp_size_vIXT1_EEEvE4typeEPT_S4_ ; -- Begin function _Z26warp_inclusive_scan_kernelIiLj64ELj2EENSt9enable_ifIXsr10test_utilsE35device_test_enabled_for_warp_size_vIXT1_EEEvE4typeEPT_S4_
	.globl	_Z26warp_inclusive_scan_kernelIiLj64ELj2EENSt9enable_ifIXsr10test_utilsE35device_test_enabled_for_warp_size_vIXT1_EEEvE4typeEPT_S4_
	.p2align	8
	.type	_Z26warp_inclusive_scan_kernelIiLj64ELj2EENSt9enable_ifIXsr10test_utilsE35device_test_enabled_for_warp_size_vIXT1_EEEvE4typeEPT_S4_,@function
_Z26warp_inclusive_scan_kernelIiLj64ELj2EENSt9enable_ifIXsr10test_utilsE35device_test_enabled_for_warp_size_vIXT1_EEEvE4typeEPT_S4_: ; @_Z26warp_inclusive_scan_kernelIiLj64ELj2EENSt9enable_ifIXsr10test_utilsE35device_test_enabled_for_warp_size_vIXT1_EEEvE4typeEPT_S4_
; %bb.0:
	s_load_dword s7, s[4:5], 0x1c
	s_load_dwordx4 s[0:3], s[4:5], 0x0
	v_mov_b32_e32 v1, 0
	s_waitcnt lgkmcnt(0)
	s_and_b32 s4, s7, 0xffff
	s_mul_i32 s6, s6, s4
	v_add_u32_e32 v0, s6, v0
	v_lshlrev_b64 v[0:1], 2, v[0:1]
	v_mov_b32_e32 v3, s1
	v_add_co_u32_e32 v2, vcc, s0, v0
	v_addc_co_u32_e32 v3, vcc, v3, v1, vcc
	global_load_dword v2, v[2:3], off
	v_mbcnt_lo_u32_b32 v3, -1, 0
	v_mbcnt_hi_u32_b32 v3, -1, v3
	v_bfe_i32 v3, v3, 0, 1
	v_mov_b32_e32 v4, s3
	v_add_co_u32_e32 v0, vcc, s2, v0
	v_addc_co_u32_e32 v1, vcc, v4, v1, vcc
	s_waitcnt vmcnt(0)
	v_mov_b32_dpp v5, v2 row_shr:1 row_mask:0xf bank_mask:0xf
	v_and_b32_e32 v3, v3, v5
	v_add_u32_e32 v2, v3, v2
	global_store_dword v[0:1], v2, off
	s_endpgm
	.section	.rodata,"a",@progbits
	.p2align	6, 0x0
	.amdhsa_kernel _Z26warp_inclusive_scan_kernelIiLj64ELj2EENSt9enable_ifIXsr10test_utilsE35device_test_enabled_for_warp_size_vIXT1_EEEvE4typeEPT_S4_
		.amdhsa_group_segment_fixed_size 0
		.amdhsa_private_segment_fixed_size 0
		.amdhsa_kernarg_size 272
		.amdhsa_user_sgpr_count 6
		.amdhsa_user_sgpr_private_segment_buffer 1
		.amdhsa_user_sgpr_dispatch_ptr 0
		.amdhsa_user_sgpr_queue_ptr 0
		.amdhsa_user_sgpr_kernarg_segment_ptr 1
		.amdhsa_user_sgpr_dispatch_id 0
		.amdhsa_user_sgpr_flat_scratch_init 0
		.amdhsa_user_sgpr_private_segment_size 0
		.amdhsa_uses_dynamic_stack 0
		.amdhsa_system_sgpr_private_segment_wavefront_offset 0
		.amdhsa_system_sgpr_workgroup_id_x 1
		.amdhsa_system_sgpr_workgroup_id_y 0
		.amdhsa_system_sgpr_workgroup_id_z 0
		.amdhsa_system_sgpr_workgroup_info 0
		.amdhsa_system_vgpr_workitem_id 0
		.amdhsa_next_free_vgpr 6
		.amdhsa_next_free_sgpr 8
		.amdhsa_reserve_vcc 1
		.amdhsa_reserve_flat_scratch 0
		.amdhsa_float_round_mode_32 0
		.amdhsa_float_round_mode_16_64 0
		.amdhsa_float_denorm_mode_32 3
		.amdhsa_float_denorm_mode_16_64 3
		.amdhsa_dx10_clamp 1
		.amdhsa_ieee_mode 1
		.amdhsa_fp16_overflow 0
		.amdhsa_exception_fp_ieee_invalid_op 0
		.amdhsa_exception_fp_denorm_src 0
		.amdhsa_exception_fp_ieee_div_zero 0
		.amdhsa_exception_fp_ieee_overflow 0
		.amdhsa_exception_fp_ieee_underflow 0
		.amdhsa_exception_fp_ieee_inexact 0
		.amdhsa_exception_int_div_zero 0
	.end_amdhsa_kernel
	.section	.text._Z26warp_inclusive_scan_kernelIiLj64ELj2EENSt9enable_ifIXsr10test_utilsE35device_test_enabled_for_warp_size_vIXT1_EEEvE4typeEPT_S4_,"axG",@progbits,_Z26warp_inclusive_scan_kernelIiLj64ELj2EENSt9enable_ifIXsr10test_utilsE35device_test_enabled_for_warp_size_vIXT1_EEEvE4typeEPT_S4_,comdat
.Lfunc_end55:
	.size	_Z26warp_inclusive_scan_kernelIiLj64ELj2EENSt9enable_ifIXsr10test_utilsE35device_test_enabled_for_warp_size_vIXT1_EEEvE4typeEPT_S4_, .Lfunc_end55-_Z26warp_inclusive_scan_kernelIiLj64ELj2EENSt9enable_ifIXsr10test_utilsE35device_test_enabled_for_warp_size_vIXT1_EEEvE4typeEPT_S4_
                                        ; -- End function
	.set _Z26warp_inclusive_scan_kernelIiLj64ELj2EENSt9enable_ifIXsr10test_utilsE35device_test_enabled_for_warp_size_vIXT1_EEEvE4typeEPT_S4_.num_vgpr, 6
	.set _Z26warp_inclusive_scan_kernelIiLj64ELj2EENSt9enable_ifIXsr10test_utilsE35device_test_enabled_for_warp_size_vIXT1_EEEvE4typeEPT_S4_.num_agpr, 0
	.set _Z26warp_inclusive_scan_kernelIiLj64ELj2EENSt9enable_ifIXsr10test_utilsE35device_test_enabled_for_warp_size_vIXT1_EEEvE4typeEPT_S4_.numbered_sgpr, 8
	.set _Z26warp_inclusive_scan_kernelIiLj64ELj2EENSt9enable_ifIXsr10test_utilsE35device_test_enabled_for_warp_size_vIXT1_EEEvE4typeEPT_S4_.num_named_barrier, 0
	.set _Z26warp_inclusive_scan_kernelIiLj64ELj2EENSt9enable_ifIXsr10test_utilsE35device_test_enabled_for_warp_size_vIXT1_EEEvE4typeEPT_S4_.private_seg_size, 0
	.set _Z26warp_inclusive_scan_kernelIiLj64ELj2EENSt9enable_ifIXsr10test_utilsE35device_test_enabled_for_warp_size_vIXT1_EEEvE4typeEPT_S4_.uses_vcc, 1
	.set _Z26warp_inclusive_scan_kernelIiLj64ELj2EENSt9enable_ifIXsr10test_utilsE35device_test_enabled_for_warp_size_vIXT1_EEEvE4typeEPT_S4_.uses_flat_scratch, 0
	.set _Z26warp_inclusive_scan_kernelIiLj64ELj2EENSt9enable_ifIXsr10test_utilsE35device_test_enabled_for_warp_size_vIXT1_EEEvE4typeEPT_S4_.has_dyn_sized_stack, 0
	.set _Z26warp_inclusive_scan_kernelIiLj64ELj2EENSt9enable_ifIXsr10test_utilsE35device_test_enabled_for_warp_size_vIXT1_EEEvE4typeEPT_S4_.has_recursion, 0
	.set _Z26warp_inclusive_scan_kernelIiLj64ELj2EENSt9enable_ifIXsr10test_utilsE35device_test_enabled_for_warp_size_vIXT1_EEEvE4typeEPT_S4_.has_indirect_call, 0
	.section	.AMDGPU.csdata,"",@progbits
; Kernel info:
; codeLenInByte = 136
; TotalNumSgprs: 12
; NumVgprs: 6
; ScratchSize: 0
; MemoryBound: 0
; FloatMode: 240
; IeeeMode: 1
; LDSByteSize: 0 bytes/workgroup (compile time only)
; SGPRBlocks: 1
; VGPRBlocks: 1
; NumSGPRsForWavesPerEU: 12
; NumVGPRsForWavesPerEU: 6
; Occupancy: 10
; WaveLimiterHint : 0
; COMPUTE_PGM_RSRC2:SCRATCH_EN: 0
; COMPUTE_PGM_RSRC2:USER_SGPR: 6
; COMPUTE_PGM_RSRC2:TRAP_HANDLER: 0
; COMPUTE_PGM_RSRC2:TGID_X_EN: 1
; COMPUTE_PGM_RSRC2:TGID_Y_EN: 0
; COMPUTE_PGM_RSRC2:TGID_Z_EN: 0
; COMPUTE_PGM_RSRC2:TIDIG_COMP_CNT: 0
	.section	.text._Z33warp_inclusive_scan_reduce_kernelIfLj1ELj61EENSt9enable_ifIXsr10test_utilsE35device_test_enabled_for_warp_size_vIXT1_EEEvE4typeEPT_S4_S4_,"axG",@progbits,_Z33warp_inclusive_scan_reduce_kernelIfLj1ELj61EENSt9enable_ifIXsr10test_utilsE35device_test_enabled_for_warp_size_vIXT1_EEEvE4typeEPT_S4_S4_,comdat
	.protected	_Z33warp_inclusive_scan_reduce_kernelIfLj1ELj61EENSt9enable_ifIXsr10test_utilsE35device_test_enabled_for_warp_size_vIXT1_EEEvE4typeEPT_S4_S4_ ; -- Begin function _Z33warp_inclusive_scan_reduce_kernelIfLj1ELj61EENSt9enable_ifIXsr10test_utilsE35device_test_enabled_for_warp_size_vIXT1_EEEvE4typeEPT_S4_S4_
	.globl	_Z33warp_inclusive_scan_reduce_kernelIfLj1ELj61EENSt9enable_ifIXsr10test_utilsE35device_test_enabled_for_warp_size_vIXT1_EEEvE4typeEPT_S4_S4_
	.p2align	8
	.type	_Z33warp_inclusive_scan_reduce_kernelIfLj1ELj61EENSt9enable_ifIXsr10test_utilsE35device_test_enabled_for_warp_size_vIXT1_EEEvE4typeEPT_S4_S4_,@function
_Z33warp_inclusive_scan_reduce_kernelIfLj1ELj61EENSt9enable_ifIXsr10test_utilsE35device_test_enabled_for_warp_size_vIXT1_EEEvE4typeEPT_S4_S4_: ; @_Z33warp_inclusive_scan_reduce_kernelIfLj1ELj61EENSt9enable_ifIXsr10test_utilsE35device_test_enabled_for_warp_size_vIXT1_EEEvE4typeEPT_S4_S4_
; %bb.0:
	s_load_dwordx4 s[0:3], s[4:5], 0x0
	s_mov_b32 s7, 0
	v_mbcnt_lo_u32_b32 v0, -1, 0
	s_lshl_b64 s[8:9], s[6:7], 2
	v_mbcnt_hi_u32_b32 v0, -1, v0
	s_mov_b32 s7, 0x4325c54
	v_mul_hi_u32 v1, v0, s7
	s_waitcnt lgkmcnt(0)
	s_add_u32 s0, s0, s8
	s_addc_u32 s1, s1, s9
	s_load_dword s12, s[0:1], 0x0
	s_bitcmp1_b32 s6, 0
	s_load_dwordx2 s[4:5], s[4:5], 0x10
	v_mul_u32_u24_e32 v1, 61, v1
	s_cselect_b64 s[0:1], -1, 0
	v_sub_u32_e32 v1, v0, v1
	s_and_b64 vcc, exec, s[0:1]
	v_cmp_ne_u32_e64 s[0:1], 0, v1
	v_readfirstlane_b32 s7, v1
	v_lshlrev_b32_e32 v0, 2, v1
	v_cndmask_b32_e64 v1, 0, 1, s[0:1]
	s_waitcnt lgkmcnt(0)
	v_mov_b32_e32 v2, s12
	v_cmp_ne_u32_e64 s[0:1], 1, v1
	ds_write_b32 v0, v2
	s_cbranch_vccz .LBB56_3
; %bb.1:
	s_and_b64 vcc, exec, s[0:1]
	; wave barrier
	s_cbranch_vccnz .LBB56_4
; %bb.2:
	v_add_u32_e32 v1, -4, v0
	ds_read_b32 v1, v1
	s_waitcnt lgkmcnt(0)
	v_add_f32_e32 v1, s12, v1
	s_branch .LBB56_5
.LBB56_3:
                                        ; implicit-def: $vgpr1
	s_cbranch_execnz .LBB56_28
	s_branch .LBB56_54
.LBB56_4:
	v_mov_b32_e32 v1, s12
.LBB56_5:
	s_and_b64 vcc, exec, s[0:1]
	; wave barrier
	s_cbranch_vccnz .LBB56_7
; %bb.6:
	ds_write_b32 v0, v1
.LBB56_7:
	s_cmp_gt_u32 s7, 1
	s_cselect_b64 s[10:11], -1, 0
	s_cmp_lt_u32 s7, 2
	; wave barrier
	s_cbranch_scc1 .LBB56_9
; %bb.8:
	v_add_u32_e32 v2, -8, v0
	ds_read_b32 v2, v2
	s_waitcnt lgkmcnt(0)
	v_add_f32_e32 v1, v1, v2
.LBB56_9:
	s_andn2_b64 vcc, exec, s[10:11]
	; wave barrier
	s_cbranch_vccnz .LBB56_11
; %bb.10:
	ds_write_b32 v0, v1
.LBB56_11:
	s_cmp_gt_u32 s7, 3
	s_cselect_b64 s[10:11], -1, 0
	s_cmp_lt_u32 s7, 4
	; wave barrier
	s_cbranch_scc1 .LBB56_13
; %bb.12:
	v_add_u32_e32 v2, -16, v0
	ds_read_b32 v2, v2
	s_waitcnt lgkmcnt(0)
	v_add_f32_e32 v1, v1, v2
.LBB56_13:
	s_andn2_b64 vcc, exec, s[10:11]
	; wave barrier
	s_cbranch_vccnz .LBB56_15
; %bb.14:
	ds_write_b32 v0, v1
.LBB56_15:
	s_cmp_gt_u32 s7, 7
	s_cselect_b64 s[10:11], -1, 0
	s_cmp_lt_u32 s7, 8
	; wave barrier
	s_cbranch_scc1 .LBB56_17
; %bb.16:
	v_subrev_u32_e32 v2, 32, v0
	ds_read_b32 v2, v2
	s_waitcnt lgkmcnt(0)
	v_add_f32_e32 v1, v1, v2
.LBB56_17:
	s_andn2_b64 vcc, exec, s[10:11]
	; wave barrier
	s_cbranch_vccnz .LBB56_19
; %bb.18:
	ds_write_b32 v0, v1
.LBB56_19:
	s_cmp_gt_u32 s7, 15
	s_cselect_b64 s[10:11], -1, 0
	s_cmp_lt_u32 s7, 16
	; wave barrier
	s_cbranch_scc1 .LBB56_21
; %bb.20:
	v_subrev_u32_e32 v2, 64, v0
	ds_read_b32 v2, v2
	s_waitcnt lgkmcnt(0)
	v_add_f32_e32 v1, v1, v2
.LBB56_21:
	s_andn2_b64 vcc, exec, s[10:11]
	; wave barrier
	s_cbranch_vccnz .LBB56_23
; %bb.22:
	ds_write_b32 v0, v1
.LBB56_23:
	s_cmp_gt_u32 s7, 31
	s_cselect_b64 s[10:11], -1, 0
	s_cmp_lt_u32 s7, 32
	; wave barrier
	s_cbranch_scc1 .LBB56_25
; %bb.24:
	v_add_u32_e32 v2, 0xffffff80, v0
	ds_read_b32 v2, v2
	s_waitcnt lgkmcnt(0)
	v_add_f32_e32 v1, v1, v2
.LBB56_25:
	s_andn2_b64 vcc, exec, s[10:11]
	; wave barrier
	s_cbranch_vccnz .LBB56_27
; %bb.26:
	ds_write_b32 v0, v1
.LBB56_27:
	; wave barrier
	s_branch .LBB56_54
.LBB56_28:
	s_and_b64 vcc, exec, s[0:1]
	; wave barrier
	s_cbranch_vccnz .LBB56_30
; %bb.29:
	v_add_u32_e32 v1, -4, v0
	ds_read_b32 v1, v1
	s_waitcnt lgkmcnt(0)
	v_add_f32_e32 v1, s12, v1
	s_branch .LBB56_31
.LBB56_30:
	v_mov_b32_e32 v1, s12
.LBB56_31:
	s_and_b64 vcc, exec, s[0:1]
	; wave barrier
	s_cbranch_vccnz .LBB56_33
; %bb.32:
	ds_write_b32 v0, v1
.LBB56_33:
	s_cmp_gt_u32 s7, 1
	s_cselect_b64 s[0:1], -1, 0
	s_cmp_lt_u32 s7, 2
	; wave barrier
	s_cbranch_scc1 .LBB56_35
; %bb.34:
	v_add_u32_e32 v2, -8, v0
	ds_read_b32 v2, v2
	s_waitcnt lgkmcnt(0)
	v_add_f32_e32 v1, v1, v2
.LBB56_35:
	s_andn2_b64 vcc, exec, s[0:1]
	; wave barrier
	s_cbranch_vccnz .LBB56_37
; %bb.36:
	ds_write_b32 v0, v1
.LBB56_37:
	s_cmp_gt_u32 s7, 3
	s_cselect_b64 s[0:1], -1, 0
	s_cmp_lt_u32 s7, 4
	; wave barrier
	s_cbranch_scc1 .LBB56_39
; %bb.38:
	v_add_u32_e32 v2, -16, v0
	ds_read_b32 v2, v2
	s_waitcnt lgkmcnt(0)
	v_add_f32_e32 v1, v1, v2
.LBB56_39:
	s_andn2_b64 vcc, exec, s[0:1]
	; wave barrier
	s_cbranch_vccnz .LBB56_41
; %bb.40:
	ds_write_b32 v0, v1
.LBB56_41:
	s_cmp_gt_u32 s7, 7
	s_cselect_b64 s[0:1], -1, 0
	s_cmp_lt_u32 s7, 8
	; wave barrier
	s_cbranch_scc1 .LBB56_43
; %bb.42:
	v_subrev_u32_e32 v2, 32, v0
	ds_read_b32 v2, v2
	s_waitcnt lgkmcnt(0)
	v_add_f32_e32 v1, v1, v2
.LBB56_43:
	s_andn2_b64 vcc, exec, s[0:1]
	; wave barrier
	s_cbranch_vccnz .LBB56_45
; %bb.44:
	ds_write_b32 v0, v1
.LBB56_45:
	s_cmp_gt_u32 s7, 15
	s_cselect_b64 s[0:1], -1, 0
	s_cmp_lt_u32 s7, 16
	; wave barrier
	s_cbranch_scc1 .LBB56_47
; %bb.46:
	v_subrev_u32_e32 v2, 64, v0
	ds_read_b32 v2, v2
	s_waitcnt lgkmcnt(0)
	v_add_f32_e32 v1, v1, v2
.LBB56_47:
	s_andn2_b64 vcc, exec, s[0:1]
	; wave barrier
	s_cbranch_vccnz .LBB56_49
; %bb.48:
	ds_write_b32 v0, v1
.LBB56_49:
	s_cmp_gt_u32 s7, 31
	s_cselect_b64 s[0:1], -1, 0
	s_cmp_lt_u32 s7, 32
	; wave barrier
	s_cbranch_scc1 .LBB56_51
; %bb.50:
	v_add_u32_e32 v2, 0xffffff80, v0
	ds_read_b32 v2, v2
	s_waitcnt lgkmcnt(0)
	v_add_f32_e32 v1, v1, v2
.LBB56_51:
	s_andn2_b64 vcc, exec, s[0:1]
	; wave barrier
	s_cbranch_vccnz .LBB56_53
; %bb.52:
	ds_write_b32 v0, v1
.LBB56_53:
	; wave barrier
.LBB56_54:
	s_add_u32 s0, s2, s8
	s_addc_u32 s1, s3, s9
	v_mov_b32_e32 v0, 0
	global_store_dword v0, v1, s[0:1]
	s_branch .LBB56_56
; %bb.55:
	s_endpgm
.LBB56_56:
	ds_read_b32 v0, v0 offset:240
	s_mul_hi_u32 s0, s6, 0x4325c53f
	s_lshr_b32 s0, s0, 2
	s_and_b32 s0, s0, 0x1ffffffc
	v_mov_b32_e32 v1, s0
	s_waitcnt lgkmcnt(0)
	global_store_dword v1, v0, s[4:5]
	s_endpgm
	.section	.rodata,"a",@progbits
	.p2align	6, 0x0
	.amdhsa_kernel _Z33warp_inclusive_scan_reduce_kernelIfLj1ELj61EENSt9enable_ifIXsr10test_utilsE35device_test_enabled_for_warp_size_vIXT1_EEEvE4typeEPT_S4_S4_
		.amdhsa_group_segment_fixed_size 244
		.amdhsa_private_segment_fixed_size 0
		.amdhsa_kernarg_size 24
		.amdhsa_user_sgpr_count 6
		.amdhsa_user_sgpr_private_segment_buffer 1
		.amdhsa_user_sgpr_dispatch_ptr 0
		.amdhsa_user_sgpr_queue_ptr 0
		.amdhsa_user_sgpr_kernarg_segment_ptr 1
		.amdhsa_user_sgpr_dispatch_id 0
		.amdhsa_user_sgpr_flat_scratch_init 0
		.amdhsa_user_sgpr_private_segment_size 0
		.amdhsa_uses_dynamic_stack 0
		.amdhsa_system_sgpr_private_segment_wavefront_offset 0
		.amdhsa_system_sgpr_workgroup_id_x 1
		.amdhsa_system_sgpr_workgroup_id_y 0
		.amdhsa_system_sgpr_workgroup_id_z 0
		.amdhsa_system_sgpr_workgroup_info 0
		.amdhsa_system_vgpr_workitem_id 0
		.amdhsa_next_free_vgpr 3
		.amdhsa_next_free_sgpr 13
		.amdhsa_reserve_vcc 1
		.amdhsa_reserve_flat_scratch 0
		.amdhsa_float_round_mode_32 0
		.amdhsa_float_round_mode_16_64 0
		.amdhsa_float_denorm_mode_32 3
		.amdhsa_float_denorm_mode_16_64 3
		.amdhsa_dx10_clamp 1
		.amdhsa_ieee_mode 1
		.amdhsa_fp16_overflow 0
		.amdhsa_exception_fp_ieee_invalid_op 0
		.amdhsa_exception_fp_denorm_src 0
		.amdhsa_exception_fp_ieee_div_zero 0
		.amdhsa_exception_fp_ieee_overflow 0
		.amdhsa_exception_fp_ieee_underflow 0
		.amdhsa_exception_fp_ieee_inexact 0
		.amdhsa_exception_int_div_zero 0
	.end_amdhsa_kernel
	.section	.text._Z33warp_inclusive_scan_reduce_kernelIfLj1ELj61EENSt9enable_ifIXsr10test_utilsE35device_test_enabled_for_warp_size_vIXT1_EEEvE4typeEPT_S4_S4_,"axG",@progbits,_Z33warp_inclusive_scan_reduce_kernelIfLj1ELj61EENSt9enable_ifIXsr10test_utilsE35device_test_enabled_for_warp_size_vIXT1_EEEvE4typeEPT_S4_S4_,comdat
.Lfunc_end56:
	.size	_Z33warp_inclusive_scan_reduce_kernelIfLj1ELj61EENSt9enable_ifIXsr10test_utilsE35device_test_enabled_for_warp_size_vIXT1_EEEvE4typeEPT_S4_S4_, .Lfunc_end56-_Z33warp_inclusive_scan_reduce_kernelIfLj1ELj61EENSt9enable_ifIXsr10test_utilsE35device_test_enabled_for_warp_size_vIXT1_EEEvE4typeEPT_S4_S4_
                                        ; -- End function
	.set _Z33warp_inclusive_scan_reduce_kernelIfLj1ELj61EENSt9enable_ifIXsr10test_utilsE35device_test_enabled_for_warp_size_vIXT1_EEEvE4typeEPT_S4_S4_.num_vgpr, 3
	.set _Z33warp_inclusive_scan_reduce_kernelIfLj1ELj61EENSt9enable_ifIXsr10test_utilsE35device_test_enabled_for_warp_size_vIXT1_EEEvE4typeEPT_S4_S4_.num_agpr, 0
	.set _Z33warp_inclusive_scan_reduce_kernelIfLj1ELj61EENSt9enable_ifIXsr10test_utilsE35device_test_enabled_for_warp_size_vIXT1_EEEvE4typeEPT_S4_S4_.numbered_sgpr, 13
	.set _Z33warp_inclusive_scan_reduce_kernelIfLj1ELj61EENSt9enable_ifIXsr10test_utilsE35device_test_enabled_for_warp_size_vIXT1_EEEvE4typeEPT_S4_S4_.num_named_barrier, 0
	.set _Z33warp_inclusive_scan_reduce_kernelIfLj1ELj61EENSt9enable_ifIXsr10test_utilsE35device_test_enabled_for_warp_size_vIXT1_EEEvE4typeEPT_S4_S4_.private_seg_size, 0
	.set _Z33warp_inclusive_scan_reduce_kernelIfLj1ELj61EENSt9enable_ifIXsr10test_utilsE35device_test_enabled_for_warp_size_vIXT1_EEEvE4typeEPT_S4_S4_.uses_vcc, 1
	.set _Z33warp_inclusive_scan_reduce_kernelIfLj1ELj61EENSt9enable_ifIXsr10test_utilsE35device_test_enabled_for_warp_size_vIXT1_EEEvE4typeEPT_S4_S4_.uses_flat_scratch, 0
	.set _Z33warp_inclusive_scan_reduce_kernelIfLj1ELj61EENSt9enable_ifIXsr10test_utilsE35device_test_enabled_for_warp_size_vIXT1_EEEvE4typeEPT_S4_S4_.has_dyn_sized_stack, 0
	.set _Z33warp_inclusive_scan_reduce_kernelIfLj1ELj61EENSt9enable_ifIXsr10test_utilsE35device_test_enabled_for_warp_size_vIXT1_EEEvE4typeEPT_S4_S4_.has_recursion, 0
	.set _Z33warp_inclusive_scan_reduce_kernelIfLj1ELj61EENSt9enable_ifIXsr10test_utilsE35device_test_enabled_for_warp_size_vIXT1_EEEvE4typeEPT_S4_S4_.has_indirect_call, 0
	.section	.AMDGPU.csdata,"",@progbits
; Kernel info:
; codeLenInByte = 868
; TotalNumSgprs: 17
; NumVgprs: 3
; ScratchSize: 0
; MemoryBound: 0
; FloatMode: 240
; IeeeMode: 1
; LDSByteSize: 244 bytes/workgroup (compile time only)
; SGPRBlocks: 2
; VGPRBlocks: 0
; NumSGPRsForWavesPerEU: 17
; NumVGPRsForWavesPerEU: 3
; Occupancy: 10
; WaveLimiterHint : 0
; COMPUTE_PGM_RSRC2:SCRATCH_EN: 0
; COMPUTE_PGM_RSRC2:USER_SGPR: 6
; COMPUTE_PGM_RSRC2:TRAP_HANDLER: 0
; COMPUTE_PGM_RSRC2:TGID_X_EN: 1
; COMPUTE_PGM_RSRC2:TGID_Y_EN: 0
; COMPUTE_PGM_RSRC2:TGID_Z_EN: 0
; COMPUTE_PGM_RSRC2:TIDIG_COMP_CNT: 0
	.section	.text._Z33warp_inclusive_scan_reduce_kernelIfLj61ELj61EENSt9enable_ifIXsr10test_utilsE35device_test_enabled_for_warp_size_vIXT1_EEEvE4typeEPT_S4_S4_,"axG",@progbits,_Z33warp_inclusive_scan_reduce_kernelIfLj61ELj61EENSt9enable_ifIXsr10test_utilsE35device_test_enabled_for_warp_size_vIXT1_EEEvE4typeEPT_S4_S4_,comdat
	.protected	_Z33warp_inclusive_scan_reduce_kernelIfLj61ELj61EENSt9enable_ifIXsr10test_utilsE35device_test_enabled_for_warp_size_vIXT1_EEEvE4typeEPT_S4_S4_ ; -- Begin function _Z33warp_inclusive_scan_reduce_kernelIfLj61ELj61EENSt9enable_ifIXsr10test_utilsE35device_test_enabled_for_warp_size_vIXT1_EEEvE4typeEPT_S4_S4_
	.globl	_Z33warp_inclusive_scan_reduce_kernelIfLj61ELj61EENSt9enable_ifIXsr10test_utilsE35device_test_enabled_for_warp_size_vIXT1_EEEvE4typeEPT_S4_S4_
	.p2align	8
	.type	_Z33warp_inclusive_scan_reduce_kernelIfLj61ELj61EENSt9enable_ifIXsr10test_utilsE35device_test_enabled_for_warp_size_vIXT1_EEEvE4typeEPT_S4_S4_,@function
_Z33warp_inclusive_scan_reduce_kernelIfLj61ELj61EENSt9enable_ifIXsr10test_utilsE35device_test_enabled_for_warp_size_vIXT1_EEEvE4typeEPT_S4_S4_: ; @_Z33warp_inclusive_scan_reduce_kernelIfLj61ELj61EENSt9enable_ifIXsr10test_utilsE35device_test_enabled_for_warp_size_vIXT1_EEEvE4typeEPT_S4_S4_
; %bb.0:
	v_mad_u64_u32 v[1:2], s[0:1], s6, 61, v[0:1]
	s_load_dwordx4 s[0:3], s[4:5], 0x0
	s_load_dwordx2 s[8:9], s[4:5], 0x10
	v_mov_b32_e32 v2, 0
	v_lshlrev_b64 v[2:3], 2, v[1:2]
	v_mul_u32_u24_e32 v6, 0x433, v0
	s_waitcnt lgkmcnt(0)
	v_mov_b32_e32 v5, s1
	v_add_co_u32_e32 v4, vcc, s0, v2
	v_addc_co_u32_e32 v5, vcc, v5, v3, vcc
	global_load_dword v5, v[4:5], off
	v_mbcnt_lo_u32_b32 v4, -1, 0
	s_mov_b32 s0, 0x4325c54
	v_mbcnt_hi_u32_b32 v7, -1, v4
	v_mul_hi_u32 v8, v7, s0
	v_lshrrev_b32_e32 v4, 16, v6
	s_bitcmp1_b32 s6, 0
	s_movk_i32 s4, 0xf4
	v_mul_u32_u24_e32 v6, 61, v8
	v_sub_u32_e32 v7, v7, v6
	s_cselect_b64 s[0:1], -1, 0
	v_lshlrev_b32_e32 v6, 2, v7
	s_and_b64 vcc, exec, s[0:1]
	v_cmp_ne_u32_e64 s[0:1], 0, v7
	v_mad_u32_u24 v6, v4, s4, v6
	s_waitcnt vmcnt(0)
	ds_write_b32 v6, v5
	s_cbranch_vccz .LBB57_26
; %bb.1:
	v_mov_b32_e32 v8, v5
	; wave barrier
	s_and_saveexec_b64 s[4:5], s[0:1]
	s_cbranch_execz .LBB57_3
; %bb.2:
	v_add_u32_e32 v8, -4, v6
	ds_read_b32 v8, v8
	s_waitcnt lgkmcnt(0)
	v_add_f32_e32 v8, v5, v8
.LBB57_3:
	s_or_b64 exec, exec, s[4:5]
	; wave barrier
	s_and_saveexec_b64 s[4:5], s[0:1]
; %bb.4:
	ds_write_b32 v6, v8
; %bb.5:
	s_or_b64 exec, exec, s[4:5]
	v_cmp_lt_u32_e32 vcc, 1, v7
	; wave barrier
	s_and_saveexec_b64 s[4:5], vcc
	s_cbranch_execz .LBB57_7
; %bb.6:
	v_add_u32_e32 v9, -8, v6
	ds_read_b32 v9, v9
	s_waitcnt lgkmcnt(0)
	v_add_f32_e32 v8, v8, v9
.LBB57_7:
	s_or_b64 exec, exec, s[4:5]
	; wave barrier
	s_and_saveexec_b64 s[4:5], vcc
; %bb.8:
	ds_write_b32 v6, v8
; %bb.9:
	s_or_b64 exec, exec, s[4:5]
	v_cmp_lt_u32_e32 vcc, 3, v7
	; wave barrier
	s_and_saveexec_b64 s[4:5], vcc
	s_cbranch_execz .LBB57_11
; %bb.10:
	v_add_u32_e32 v9, -16, v6
	ds_read_b32 v9, v9
	s_waitcnt lgkmcnt(0)
	v_add_f32_e32 v8, v8, v9
.LBB57_11:
	s_or_b64 exec, exec, s[4:5]
	; wave barrier
	s_and_saveexec_b64 s[4:5], vcc
; %bb.12:
	ds_write_b32 v6, v8
; %bb.13:
	s_or_b64 exec, exec, s[4:5]
	v_cmp_lt_u32_e32 vcc, 7, v7
	; wave barrier
	s_and_saveexec_b64 s[4:5], vcc
	s_cbranch_execz .LBB57_15
; %bb.14:
	v_subrev_u32_e32 v9, 32, v6
	ds_read_b32 v9, v9
	s_waitcnt lgkmcnt(0)
	v_add_f32_e32 v8, v8, v9
.LBB57_15:
	s_or_b64 exec, exec, s[4:5]
	; wave barrier
	s_and_saveexec_b64 s[4:5], vcc
; %bb.16:
	ds_write_b32 v6, v8
; %bb.17:
	s_or_b64 exec, exec, s[4:5]
	v_cmp_lt_u32_e32 vcc, 15, v7
	; wave barrier
	s_and_saveexec_b64 s[4:5], vcc
	s_cbranch_execz .LBB57_19
; %bb.18:
	v_subrev_u32_e32 v9, 64, v6
	ds_read_b32 v9, v9
	s_waitcnt lgkmcnt(0)
	v_add_f32_e32 v8, v8, v9
.LBB57_19:
	s_or_b64 exec, exec, s[4:5]
	; wave barrier
	s_and_saveexec_b64 s[4:5], vcc
; %bb.20:
	ds_write_b32 v6, v8
; %bb.21:
	s_or_b64 exec, exec, s[4:5]
	v_cmp_lt_u32_e32 vcc, 31, v7
	; wave barrier
	s_and_saveexec_b64 s[4:5], vcc
	s_cbranch_execz .LBB57_23
; %bb.22:
	v_add_u32_e32 v9, 0xffffff80, v6
	ds_read_b32 v9, v9
	s_waitcnt lgkmcnt(0)
	v_add_f32_e32 v8, v8, v9
.LBB57_23:
	s_or_b64 exec, exec, s[4:5]
	; wave barrier
	s_and_saveexec_b64 s[4:5], vcc
; %bb.24:
	ds_write_b32 v6, v8
; %bb.25:
	s_or_b64 exec, exec, s[4:5]
	; wave barrier
	s_branch .LBB57_52
.LBB57_26:
                                        ; implicit-def: $vgpr8
	s_cbranch_execz .LBB57_52
; %bb.27:
	; wave barrier
	s_and_saveexec_b64 s[4:5], s[0:1]
	s_cbranch_execz .LBB57_29
; %bb.28:
	v_add_u32_e32 v8, -4, v6
	ds_read_b32 v8, v8
	s_waitcnt lgkmcnt(0)
	v_add_f32_e32 v5, v5, v8
.LBB57_29:
	s_or_b64 exec, exec, s[4:5]
	; wave barrier
	s_and_saveexec_b64 s[4:5], s[0:1]
; %bb.30:
	ds_write_b32 v6, v5
; %bb.31:
	s_or_b64 exec, exec, s[4:5]
	v_cmp_lt_u32_e32 vcc, 1, v7
	; wave barrier
	s_and_saveexec_b64 s[0:1], vcc
	s_cbranch_execz .LBB57_33
; %bb.32:
	v_add_u32_e32 v8, -8, v6
	ds_read_b32 v8, v8
	s_waitcnt lgkmcnt(0)
	v_add_f32_e32 v5, v5, v8
.LBB57_33:
	s_or_b64 exec, exec, s[0:1]
	; wave barrier
	s_and_saveexec_b64 s[0:1], vcc
; %bb.34:
	ds_write_b32 v6, v5
; %bb.35:
	s_or_b64 exec, exec, s[0:1]
	v_cmp_lt_u32_e32 vcc, 3, v7
	; wave barrier
	s_and_saveexec_b64 s[0:1], vcc
	s_cbranch_execz .LBB57_37
; %bb.36:
	v_add_u32_e32 v8, -16, v6
	ds_read_b32 v8, v8
	s_waitcnt lgkmcnt(0)
	v_add_f32_e32 v5, v5, v8
.LBB57_37:
	s_or_b64 exec, exec, s[0:1]
	; wave barrier
	s_and_saveexec_b64 s[0:1], vcc
; %bb.38:
	ds_write_b32 v6, v5
; %bb.39:
	s_or_b64 exec, exec, s[0:1]
	v_cmp_lt_u32_e32 vcc, 7, v7
	; wave barrier
	s_and_saveexec_b64 s[0:1], vcc
	s_cbranch_execz .LBB57_41
; %bb.40:
	v_subrev_u32_e32 v8, 32, v6
	ds_read_b32 v8, v8
	s_waitcnt lgkmcnt(0)
	v_add_f32_e32 v5, v5, v8
.LBB57_41:
	s_or_b64 exec, exec, s[0:1]
	; wave barrier
	s_and_saveexec_b64 s[0:1], vcc
; %bb.42:
	ds_write_b32 v6, v5
; %bb.43:
	s_or_b64 exec, exec, s[0:1]
	v_cmp_lt_u32_e32 vcc, 15, v7
	; wave barrier
	s_and_saveexec_b64 s[0:1], vcc
	s_cbranch_execz .LBB57_45
; %bb.44:
	v_subrev_u32_e32 v8, 64, v6
	ds_read_b32 v8, v8
	s_waitcnt lgkmcnt(0)
	v_add_f32_e32 v5, v5, v8
.LBB57_45:
	s_or_b64 exec, exec, s[0:1]
	; wave barrier
	s_and_saveexec_b64 s[0:1], vcc
; %bb.46:
	ds_write_b32 v6, v5
; %bb.47:
	s_or_b64 exec, exec, s[0:1]
	v_cmp_lt_u32_e32 vcc, 31, v7
	; wave barrier
	s_and_saveexec_b64 s[0:1], vcc
	s_cbranch_execz .LBB57_49
; %bb.48:
	v_add_u32_e32 v7, 0xffffff80, v6
	ds_read_b32 v7, v7
	s_waitcnt lgkmcnt(0)
	v_add_f32_e32 v5, v5, v7
.LBB57_49:
	s_or_b64 exec, exec, s[0:1]
	; wave barrier
	s_and_saveexec_b64 s[0:1], vcc
; %bb.50:
	ds_write_b32 v6, v5
; %bb.51:
	s_or_b64 exec, exec, s[0:1]
	v_mov_b32_e32 v8, v5
	; wave barrier
.LBB57_52:
	v_mov_b32_e32 v6, s3
	v_add_co_u32_e32 v2, vcc, s2, v2
	v_addc_co_u32_e32 v3, vcc, v6, v3, vcc
	global_store_dword v[2:3], v8, off
	v_mul_lo_u16_e32 v2, 61, v4
	v_sub_u16_e32 v0, v0, v2
	v_mul_u32_u24_e32 v5, 0xf4, v4
	v_cmp_eq_u16_e32 vcc, 0, v0
	s_and_saveexec_b64 s[0:1], vcc
	s_cbranch_execz .LBB57_54
; %bb.53:
	s_mov_b32 s0, 0x4325c53f
	v_mul_hi_u32 v0, v1, s0
	ds_read_b32 v1, v5 offset:240
	v_lshrrev_b32_e32 v0, 2, v0
	v_and_b32_e32 v0, 0x1ffffffc, v0
	s_waitcnt lgkmcnt(0)
	global_store_dword v0, v1, s[8:9]
.LBB57_54:
	s_endpgm
	.section	.rodata,"a",@progbits
	.p2align	6, 0x0
	.amdhsa_kernel _Z33warp_inclusive_scan_reduce_kernelIfLj61ELj61EENSt9enable_ifIXsr10test_utilsE35device_test_enabled_for_warp_size_vIXT1_EEEvE4typeEPT_S4_S4_
		.amdhsa_group_segment_fixed_size 244
		.amdhsa_private_segment_fixed_size 0
		.amdhsa_kernarg_size 24
		.amdhsa_user_sgpr_count 6
		.amdhsa_user_sgpr_private_segment_buffer 1
		.amdhsa_user_sgpr_dispatch_ptr 0
		.amdhsa_user_sgpr_queue_ptr 0
		.amdhsa_user_sgpr_kernarg_segment_ptr 1
		.amdhsa_user_sgpr_dispatch_id 0
		.amdhsa_user_sgpr_flat_scratch_init 0
		.amdhsa_user_sgpr_private_segment_size 0
		.amdhsa_uses_dynamic_stack 0
		.amdhsa_system_sgpr_private_segment_wavefront_offset 0
		.amdhsa_system_sgpr_workgroup_id_x 1
		.amdhsa_system_sgpr_workgroup_id_y 0
		.amdhsa_system_sgpr_workgroup_id_z 0
		.amdhsa_system_sgpr_workgroup_info 0
		.amdhsa_system_vgpr_workitem_id 0
		.amdhsa_next_free_vgpr 10
		.amdhsa_next_free_sgpr 10
		.amdhsa_reserve_vcc 1
		.amdhsa_reserve_flat_scratch 0
		.amdhsa_float_round_mode_32 0
		.amdhsa_float_round_mode_16_64 0
		.amdhsa_float_denorm_mode_32 3
		.amdhsa_float_denorm_mode_16_64 3
		.amdhsa_dx10_clamp 1
		.amdhsa_ieee_mode 1
		.amdhsa_fp16_overflow 0
		.amdhsa_exception_fp_ieee_invalid_op 0
		.amdhsa_exception_fp_denorm_src 0
		.amdhsa_exception_fp_ieee_div_zero 0
		.amdhsa_exception_fp_ieee_overflow 0
		.amdhsa_exception_fp_ieee_underflow 0
		.amdhsa_exception_fp_ieee_inexact 0
		.amdhsa_exception_int_div_zero 0
	.end_amdhsa_kernel
	.section	.text._Z33warp_inclusive_scan_reduce_kernelIfLj61ELj61EENSt9enable_ifIXsr10test_utilsE35device_test_enabled_for_warp_size_vIXT1_EEEvE4typeEPT_S4_S4_,"axG",@progbits,_Z33warp_inclusive_scan_reduce_kernelIfLj61ELj61EENSt9enable_ifIXsr10test_utilsE35device_test_enabled_for_warp_size_vIXT1_EEEvE4typeEPT_S4_S4_,comdat
.Lfunc_end57:
	.size	_Z33warp_inclusive_scan_reduce_kernelIfLj61ELj61EENSt9enable_ifIXsr10test_utilsE35device_test_enabled_for_warp_size_vIXT1_EEEvE4typeEPT_S4_S4_, .Lfunc_end57-_Z33warp_inclusive_scan_reduce_kernelIfLj61ELj61EENSt9enable_ifIXsr10test_utilsE35device_test_enabled_for_warp_size_vIXT1_EEEvE4typeEPT_S4_S4_
                                        ; -- End function
	.set _Z33warp_inclusive_scan_reduce_kernelIfLj61ELj61EENSt9enable_ifIXsr10test_utilsE35device_test_enabled_for_warp_size_vIXT1_EEEvE4typeEPT_S4_S4_.num_vgpr, 10
	.set _Z33warp_inclusive_scan_reduce_kernelIfLj61ELj61EENSt9enable_ifIXsr10test_utilsE35device_test_enabled_for_warp_size_vIXT1_EEEvE4typeEPT_S4_S4_.num_agpr, 0
	.set _Z33warp_inclusive_scan_reduce_kernelIfLj61ELj61EENSt9enable_ifIXsr10test_utilsE35device_test_enabled_for_warp_size_vIXT1_EEEvE4typeEPT_S4_S4_.numbered_sgpr, 10
	.set _Z33warp_inclusive_scan_reduce_kernelIfLj61ELj61EENSt9enable_ifIXsr10test_utilsE35device_test_enabled_for_warp_size_vIXT1_EEEvE4typeEPT_S4_S4_.num_named_barrier, 0
	.set _Z33warp_inclusive_scan_reduce_kernelIfLj61ELj61EENSt9enable_ifIXsr10test_utilsE35device_test_enabled_for_warp_size_vIXT1_EEEvE4typeEPT_S4_S4_.private_seg_size, 0
	.set _Z33warp_inclusive_scan_reduce_kernelIfLj61ELj61EENSt9enable_ifIXsr10test_utilsE35device_test_enabled_for_warp_size_vIXT1_EEEvE4typeEPT_S4_S4_.uses_vcc, 1
	.set _Z33warp_inclusive_scan_reduce_kernelIfLj61ELj61EENSt9enable_ifIXsr10test_utilsE35device_test_enabled_for_warp_size_vIXT1_EEEvE4typeEPT_S4_S4_.uses_flat_scratch, 0
	.set _Z33warp_inclusive_scan_reduce_kernelIfLj61ELj61EENSt9enable_ifIXsr10test_utilsE35device_test_enabled_for_warp_size_vIXT1_EEEvE4typeEPT_S4_S4_.has_dyn_sized_stack, 0
	.set _Z33warp_inclusive_scan_reduce_kernelIfLj61ELj61EENSt9enable_ifIXsr10test_utilsE35device_test_enabled_for_warp_size_vIXT1_EEEvE4typeEPT_S4_S4_.has_recursion, 0
	.set _Z33warp_inclusive_scan_reduce_kernelIfLj61ELj61EENSt9enable_ifIXsr10test_utilsE35device_test_enabled_for_warp_size_vIXT1_EEEvE4typeEPT_S4_S4_.has_indirect_call, 0
	.section	.AMDGPU.csdata,"",@progbits
; Kernel info:
; codeLenInByte = 904
; TotalNumSgprs: 14
; NumVgprs: 10
; ScratchSize: 0
; MemoryBound: 0
; FloatMode: 240
; IeeeMode: 1
; LDSByteSize: 244 bytes/workgroup (compile time only)
; SGPRBlocks: 1
; VGPRBlocks: 2
; NumSGPRsForWavesPerEU: 14
; NumVGPRsForWavesPerEU: 10
; Occupancy: 10
; WaveLimiterHint : 0
; COMPUTE_PGM_RSRC2:SCRATCH_EN: 0
; COMPUTE_PGM_RSRC2:USER_SGPR: 6
; COMPUTE_PGM_RSRC2:TRAP_HANDLER: 0
; COMPUTE_PGM_RSRC2:TGID_X_EN: 1
; COMPUTE_PGM_RSRC2:TGID_Y_EN: 0
; COMPUTE_PGM_RSRC2:TGID_Z_EN: 0
; COMPUTE_PGM_RSRC2:TIDIG_COMP_CNT: 0
	.section	.text._Z33warp_inclusive_scan_reduce_kernelIfLj1ELj37EENSt9enable_ifIXsr10test_utilsE35device_test_enabled_for_warp_size_vIXT1_EEEvE4typeEPT_S4_S4_,"axG",@progbits,_Z33warp_inclusive_scan_reduce_kernelIfLj1ELj37EENSt9enable_ifIXsr10test_utilsE35device_test_enabled_for_warp_size_vIXT1_EEEvE4typeEPT_S4_S4_,comdat
	.protected	_Z33warp_inclusive_scan_reduce_kernelIfLj1ELj37EENSt9enable_ifIXsr10test_utilsE35device_test_enabled_for_warp_size_vIXT1_EEEvE4typeEPT_S4_S4_ ; -- Begin function _Z33warp_inclusive_scan_reduce_kernelIfLj1ELj37EENSt9enable_ifIXsr10test_utilsE35device_test_enabled_for_warp_size_vIXT1_EEEvE4typeEPT_S4_S4_
	.globl	_Z33warp_inclusive_scan_reduce_kernelIfLj1ELj37EENSt9enable_ifIXsr10test_utilsE35device_test_enabled_for_warp_size_vIXT1_EEEvE4typeEPT_S4_S4_
	.p2align	8
	.type	_Z33warp_inclusive_scan_reduce_kernelIfLj1ELj37EENSt9enable_ifIXsr10test_utilsE35device_test_enabled_for_warp_size_vIXT1_EEEvE4typeEPT_S4_S4_,@function
_Z33warp_inclusive_scan_reduce_kernelIfLj1ELj37EENSt9enable_ifIXsr10test_utilsE35device_test_enabled_for_warp_size_vIXT1_EEEvE4typeEPT_S4_S4_: ; @_Z33warp_inclusive_scan_reduce_kernelIfLj1ELj37EENSt9enable_ifIXsr10test_utilsE35device_test_enabled_for_warp_size_vIXT1_EEEvE4typeEPT_S4_S4_
; %bb.0:
	s_load_dwordx4 s[0:3], s[4:5], 0x0
	s_mov_b32 s7, 0
	v_mbcnt_lo_u32_b32 v0, -1, 0
	s_lshl_b64 s[8:9], s[6:7], 2
	v_mbcnt_hi_u32_b32 v0, -1, v0
	s_mov_b32 s7, 0x6eb3e46
	v_mul_hi_u32 v1, v0, s7
	s_waitcnt lgkmcnt(0)
	s_add_u32 s0, s0, s8
	s_addc_u32 s1, s1, s9
	s_load_dword s12, s[0:1], 0x0
	s_bitcmp1_b32 s6, 0
	s_load_dwordx2 s[4:5], s[4:5], 0x10
	v_mul_u32_u24_e32 v1, 37, v1
	s_cselect_b64 s[0:1], -1, 0
	v_sub_u32_e32 v1, v0, v1
	s_and_b64 vcc, exec, s[0:1]
	v_cmp_ne_u32_e64 s[0:1], 0, v1
	v_readfirstlane_b32 s7, v1
	v_lshlrev_b32_e32 v0, 2, v1
	v_cndmask_b32_e64 v1, 0, 1, s[0:1]
	s_waitcnt lgkmcnt(0)
	v_mov_b32_e32 v2, s12
	v_cmp_ne_u32_e64 s[0:1], 1, v1
	ds_write_b32 v0, v2
	s_cbranch_vccz .LBB58_3
; %bb.1:
	s_and_b64 vcc, exec, s[0:1]
	; wave barrier
	s_cbranch_vccnz .LBB58_4
; %bb.2:
	v_add_u32_e32 v1, -4, v0
	ds_read_b32 v1, v1
	s_waitcnt lgkmcnt(0)
	v_add_f32_e32 v1, s12, v1
	s_branch .LBB58_5
.LBB58_3:
                                        ; implicit-def: $vgpr1
	s_cbranch_execnz .LBB58_28
	s_branch .LBB58_54
.LBB58_4:
	v_mov_b32_e32 v1, s12
.LBB58_5:
	s_and_b64 vcc, exec, s[0:1]
	; wave barrier
	s_cbranch_vccnz .LBB58_7
; %bb.6:
	ds_write_b32 v0, v1
.LBB58_7:
	s_cmp_gt_u32 s7, 1
	s_cselect_b64 s[10:11], -1, 0
	s_cmp_lt_u32 s7, 2
	; wave barrier
	s_cbranch_scc1 .LBB58_9
; %bb.8:
	v_add_u32_e32 v2, -8, v0
	ds_read_b32 v2, v2
	s_waitcnt lgkmcnt(0)
	v_add_f32_e32 v1, v1, v2
.LBB58_9:
	s_andn2_b64 vcc, exec, s[10:11]
	; wave barrier
	s_cbranch_vccnz .LBB58_11
; %bb.10:
	ds_write_b32 v0, v1
.LBB58_11:
	s_cmp_gt_u32 s7, 3
	s_cselect_b64 s[10:11], -1, 0
	s_cmp_lt_u32 s7, 4
	; wave barrier
	s_cbranch_scc1 .LBB58_13
; %bb.12:
	v_add_u32_e32 v2, -16, v0
	ds_read_b32 v2, v2
	s_waitcnt lgkmcnt(0)
	v_add_f32_e32 v1, v1, v2
.LBB58_13:
	s_andn2_b64 vcc, exec, s[10:11]
	; wave barrier
	s_cbranch_vccnz .LBB58_15
; %bb.14:
	ds_write_b32 v0, v1
.LBB58_15:
	s_cmp_gt_u32 s7, 7
	s_cselect_b64 s[10:11], -1, 0
	s_cmp_lt_u32 s7, 8
	; wave barrier
	s_cbranch_scc1 .LBB58_17
; %bb.16:
	v_subrev_u32_e32 v2, 32, v0
	ds_read_b32 v2, v2
	s_waitcnt lgkmcnt(0)
	v_add_f32_e32 v1, v1, v2
.LBB58_17:
	s_andn2_b64 vcc, exec, s[10:11]
	; wave barrier
	s_cbranch_vccnz .LBB58_19
; %bb.18:
	ds_write_b32 v0, v1
.LBB58_19:
	s_cmp_gt_u32 s7, 15
	s_cselect_b64 s[10:11], -1, 0
	s_cmp_lt_u32 s7, 16
	; wave barrier
	s_cbranch_scc1 .LBB58_21
; %bb.20:
	v_subrev_u32_e32 v2, 64, v0
	ds_read_b32 v2, v2
	s_waitcnt lgkmcnt(0)
	v_add_f32_e32 v1, v1, v2
.LBB58_21:
	s_andn2_b64 vcc, exec, s[10:11]
	; wave barrier
	s_cbranch_vccnz .LBB58_23
; %bb.22:
	ds_write_b32 v0, v1
.LBB58_23:
	s_cmp_gt_u32 s7, 31
	s_cselect_b64 s[10:11], -1, 0
	s_cmp_lt_u32 s7, 32
	; wave barrier
	s_cbranch_scc1 .LBB58_25
; %bb.24:
	v_add_u32_e32 v2, 0xffffff80, v0
	ds_read_b32 v2, v2
	s_waitcnt lgkmcnt(0)
	v_add_f32_e32 v1, v1, v2
.LBB58_25:
	s_andn2_b64 vcc, exec, s[10:11]
	; wave barrier
	s_cbranch_vccnz .LBB58_27
; %bb.26:
	ds_write_b32 v0, v1
.LBB58_27:
	; wave barrier
	s_branch .LBB58_54
.LBB58_28:
	s_and_b64 vcc, exec, s[0:1]
	; wave barrier
	s_cbranch_vccnz .LBB58_30
; %bb.29:
	v_add_u32_e32 v1, -4, v0
	ds_read_b32 v1, v1
	s_waitcnt lgkmcnt(0)
	v_add_f32_e32 v1, s12, v1
	s_branch .LBB58_31
.LBB58_30:
	v_mov_b32_e32 v1, s12
.LBB58_31:
	s_and_b64 vcc, exec, s[0:1]
	; wave barrier
	s_cbranch_vccnz .LBB58_33
; %bb.32:
	ds_write_b32 v0, v1
.LBB58_33:
	s_cmp_gt_u32 s7, 1
	s_cselect_b64 s[0:1], -1, 0
	s_cmp_lt_u32 s7, 2
	; wave barrier
	s_cbranch_scc1 .LBB58_35
; %bb.34:
	v_add_u32_e32 v2, -8, v0
	ds_read_b32 v2, v2
	s_waitcnt lgkmcnt(0)
	v_add_f32_e32 v1, v1, v2
.LBB58_35:
	s_andn2_b64 vcc, exec, s[0:1]
	; wave barrier
	s_cbranch_vccnz .LBB58_37
; %bb.36:
	ds_write_b32 v0, v1
.LBB58_37:
	s_cmp_gt_u32 s7, 3
	s_cselect_b64 s[0:1], -1, 0
	s_cmp_lt_u32 s7, 4
	; wave barrier
	s_cbranch_scc1 .LBB58_39
; %bb.38:
	v_add_u32_e32 v2, -16, v0
	ds_read_b32 v2, v2
	s_waitcnt lgkmcnt(0)
	v_add_f32_e32 v1, v1, v2
.LBB58_39:
	s_andn2_b64 vcc, exec, s[0:1]
	; wave barrier
	s_cbranch_vccnz .LBB58_41
; %bb.40:
	ds_write_b32 v0, v1
.LBB58_41:
	s_cmp_gt_u32 s7, 7
	s_cselect_b64 s[0:1], -1, 0
	s_cmp_lt_u32 s7, 8
	; wave barrier
	s_cbranch_scc1 .LBB58_43
; %bb.42:
	v_subrev_u32_e32 v2, 32, v0
	ds_read_b32 v2, v2
	s_waitcnt lgkmcnt(0)
	v_add_f32_e32 v1, v1, v2
.LBB58_43:
	s_andn2_b64 vcc, exec, s[0:1]
	; wave barrier
	s_cbranch_vccnz .LBB58_45
; %bb.44:
	ds_write_b32 v0, v1
.LBB58_45:
	s_cmp_gt_u32 s7, 15
	s_cselect_b64 s[0:1], -1, 0
	s_cmp_lt_u32 s7, 16
	; wave barrier
	s_cbranch_scc1 .LBB58_47
; %bb.46:
	v_subrev_u32_e32 v2, 64, v0
	ds_read_b32 v2, v2
	s_waitcnt lgkmcnt(0)
	v_add_f32_e32 v1, v1, v2
.LBB58_47:
	s_andn2_b64 vcc, exec, s[0:1]
	; wave barrier
	s_cbranch_vccnz .LBB58_49
; %bb.48:
	ds_write_b32 v0, v1
.LBB58_49:
	s_cmp_gt_u32 s7, 31
	s_cselect_b64 s[0:1], -1, 0
	s_cmp_lt_u32 s7, 32
	; wave barrier
	s_cbranch_scc1 .LBB58_51
; %bb.50:
	v_add_u32_e32 v2, 0xffffff80, v0
	ds_read_b32 v2, v2
	s_waitcnt lgkmcnt(0)
	v_add_f32_e32 v1, v1, v2
.LBB58_51:
	s_andn2_b64 vcc, exec, s[0:1]
	; wave barrier
	s_cbranch_vccnz .LBB58_53
; %bb.52:
	ds_write_b32 v0, v1
.LBB58_53:
	; wave barrier
.LBB58_54:
	s_add_u32 s0, s2, s8
	s_addc_u32 s1, s3, s9
	v_mov_b32_e32 v0, 0
	global_store_dword v0, v1, s[0:1]
	s_branch .LBB58_56
; %bb.55:
	s_endpgm
.LBB58_56:
	s_mul_hi_u32 s0, s6, 0xbacf914d
	s_sub_i32 s1, s6, s0
	ds_read_b32 v0, v0 offset:144
	s_lshr_b32 s1, s1, 1
	s_add_i32 s1, s1, s0
	s_lshr_b32 s0, s1, 3
	s_and_b32 s0, s0, 0x1ffffffc
	v_mov_b32_e32 v1, s0
	s_waitcnt lgkmcnt(0)
	global_store_dword v1, v0, s[4:5]
	s_endpgm
	.section	.rodata,"a",@progbits
	.p2align	6, 0x0
	.amdhsa_kernel _Z33warp_inclusive_scan_reduce_kernelIfLj1ELj37EENSt9enable_ifIXsr10test_utilsE35device_test_enabled_for_warp_size_vIXT1_EEEvE4typeEPT_S4_S4_
		.amdhsa_group_segment_fixed_size 148
		.amdhsa_private_segment_fixed_size 0
		.amdhsa_kernarg_size 24
		.amdhsa_user_sgpr_count 6
		.amdhsa_user_sgpr_private_segment_buffer 1
		.amdhsa_user_sgpr_dispatch_ptr 0
		.amdhsa_user_sgpr_queue_ptr 0
		.amdhsa_user_sgpr_kernarg_segment_ptr 1
		.amdhsa_user_sgpr_dispatch_id 0
		.amdhsa_user_sgpr_flat_scratch_init 0
		.amdhsa_user_sgpr_private_segment_size 0
		.amdhsa_uses_dynamic_stack 0
		.amdhsa_system_sgpr_private_segment_wavefront_offset 0
		.amdhsa_system_sgpr_workgroup_id_x 1
		.amdhsa_system_sgpr_workgroup_id_y 0
		.amdhsa_system_sgpr_workgroup_id_z 0
		.amdhsa_system_sgpr_workgroup_info 0
		.amdhsa_system_vgpr_workitem_id 0
		.amdhsa_next_free_vgpr 3
		.amdhsa_next_free_sgpr 13
		.amdhsa_reserve_vcc 1
		.amdhsa_reserve_flat_scratch 0
		.amdhsa_float_round_mode_32 0
		.amdhsa_float_round_mode_16_64 0
		.amdhsa_float_denorm_mode_32 3
		.amdhsa_float_denorm_mode_16_64 3
		.amdhsa_dx10_clamp 1
		.amdhsa_ieee_mode 1
		.amdhsa_fp16_overflow 0
		.amdhsa_exception_fp_ieee_invalid_op 0
		.amdhsa_exception_fp_denorm_src 0
		.amdhsa_exception_fp_ieee_div_zero 0
		.amdhsa_exception_fp_ieee_overflow 0
		.amdhsa_exception_fp_ieee_underflow 0
		.amdhsa_exception_fp_ieee_inexact 0
		.amdhsa_exception_int_div_zero 0
	.end_amdhsa_kernel
	.section	.text._Z33warp_inclusive_scan_reduce_kernelIfLj1ELj37EENSt9enable_ifIXsr10test_utilsE35device_test_enabled_for_warp_size_vIXT1_EEEvE4typeEPT_S4_S4_,"axG",@progbits,_Z33warp_inclusive_scan_reduce_kernelIfLj1ELj37EENSt9enable_ifIXsr10test_utilsE35device_test_enabled_for_warp_size_vIXT1_EEEvE4typeEPT_S4_S4_,comdat
.Lfunc_end58:
	.size	_Z33warp_inclusive_scan_reduce_kernelIfLj1ELj37EENSt9enable_ifIXsr10test_utilsE35device_test_enabled_for_warp_size_vIXT1_EEEvE4typeEPT_S4_S4_, .Lfunc_end58-_Z33warp_inclusive_scan_reduce_kernelIfLj1ELj37EENSt9enable_ifIXsr10test_utilsE35device_test_enabled_for_warp_size_vIXT1_EEEvE4typeEPT_S4_S4_
                                        ; -- End function
	.set _Z33warp_inclusive_scan_reduce_kernelIfLj1ELj37EENSt9enable_ifIXsr10test_utilsE35device_test_enabled_for_warp_size_vIXT1_EEEvE4typeEPT_S4_S4_.num_vgpr, 3
	.set _Z33warp_inclusive_scan_reduce_kernelIfLj1ELj37EENSt9enable_ifIXsr10test_utilsE35device_test_enabled_for_warp_size_vIXT1_EEEvE4typeEPT_S4_S4_.num_agpr, 0
	.set _Z33warp_inclusive_scan_reduce_kernelIfLj1ELj37EENSt9enable_ifIXsr10test_utilsE35device_test_enabled_for_warp_size_vIXT1_EEEvE4typeEPT_S4_S4_.numbered_sgpr, 13
	.set _Z33warp_inclusive_scan_reduce_kernelIfLj1ELj37EENSt9enable_ifIXsr10test_utilsE35device_test_enabled_for_warp_size_vIXT1_EEEvE4typeEPT_S4_S4_.num_named_barrier, 0
	.set _Z33warp_inclusive_scan_reduce_kernelIfLj1ELj37EENSt9enable_ifIXsr10test_utilsE35device_test_enabled_for_warp_size_vIXT1_EEEvE4typeEPT_S4_S4_.private_seg_size, 0
	.set _Z33warp_inclusive_scan_reduce_kernelIfLj1ELj37EENSt9enable_ifIXsr10test_utilsE35device_test_enabled_for_warp_size_vIXT1_EEEvE4typeEPT_S4_S4_.uses_vcc, 1
	.set _Z33warp_inclusive_scan_reduce_kernelIfLj1ELj37EENSt9enable_ifIXsr10test_utilsE35device_test_enabled_for_warp_size_vIXT1_EEEvE4typeEPT_S4_S4_.uses_flat_scratch, 0
	.set _Z33warp_inclusive_scan_reduce_kernelIfLj1ELj37EENSt9enable_ifIXsr10test_utilsE35device_test_enabled_for_warp_size_vIXT1_EEEvE4typeEPT_S4_S4_.has_dyn_sized_stack, 0
	.set _Z33warp_inclusive_scan_reduce_kernelIfLj1ELj37EENSt9enable_ifIXsr10test_utilsE35device_test_enabled_for_warp_size_vIXT1_EEEvE4typeEPT_S4_S4_.has_recursion, 0
	.set _Z33warp_inclusive_scan_reduce_kernelIfLj1ELj37EENSt9enable_ifIXsr10test_utilsE35device_test_enabled_for_warp_size_vIXT1_EEEvE4typeEPT_S4_S4_.has_indirect_call, 0
	.section	.AMDGPU.csdata,"",@progbits
; Kernel info:
; codeLenInByte = 880
; TotalNumSgprs: 17
; NumVgprs: 3
; ScratchSize: 0
; MemoryBound: 0
; FloatMode: 240
; IeeeMode: 1
; LDSByteSize: 148 bytes/workgroup (compile time only)
; SGPRBlocks: 2
; VGPRBlocks: 0
; NumSGPRsForWavesPerEU: 17
; NumVGPRsForWavesPerEU: 3
; Occupancy: 10
; WaveLimiterHint : 0
; COMPUTE_PGM_RSRC2:SCRATCH_EN: 0
; COMPUTE_PGM_RSRC2:USER_SGPR: 6
; COMPUTE_PGM_RSRC2:TRAP_HANDLER: 0
; COMPUTE_PGM_RSRC2:TGID_X_EN: 1
; COMPUTE_PGM_RSRC2:TGID_Y_EN: 0
; COMPUTE_PGM_RSRC2:TGID_Z_EN: 0
; COMPUTE_PGM_RSRC2:TIDIG_COMP_CNT: 0
	.section	.text._Z33warp_inclusive_scan_reduce_kernelIfLj37ELj37EENSt9enable_ifIXsr10test_utilsE35device_test_enabled_for_warp_size_vIXT1_EEEvE4typeEPT_S4_S4_,"axG",@progbits,_Z33warp_inclusive_scan_reduce_kernelIfLj37ELj37EENSt9enable_ifIXsr10test_utilsE35device_test_enabled_for_warp_size_vIXT1_EEEvE4typeEPT_S4_S4_,comdat
	.protected	_Z33warp_inclusive_scan_reduce_kernelIfLj37ELj37EENSt9enable_ifIXsr10test_utilsE35device_test_enabled_for_warp_size_vIXT1_EEEvE4typeEPT_S4_S4_ ; -- Begin function _Z33warp_inclusive_scan_reduce_kernelIfLj37ELj37EENSt9enable_ifIXsr10test_utilsE35device_test_enabled_for_warp_size_vIXT1_EEEvE4typeEPT_S4_S4_
	.globl	_Z33warp_inclusive_scan_reduce_kernelIfLj37ELj37EENSt9enable_ifIXsr10test_utilsE35device_test_enabled_for_warp_size_vIXT1_EEEvE4typeEPT_S4_S4_
	.p2align	8
	.type	_Z33warp_inclusive_scan_reduce_kernelIfLj37ELj37EENSt9enable_ifIXsr10test_utilsE35device_test_enabled_for_warp_size_vIXT1_EEEvE4typeEPT_S4_S4_,@function
_Z33warp_inclusive_scan_reduce_kernelIfLj37ELj37EENSt9enable_ifIXsr10test_utilsE35device_test_enabled_for_warp_size_vIXT1_EEEvE4typeEPT_S4_S4_: ; @_Z33warp_inclusive_scan_reduce_kernelIfLj37ELj37EENSt9enable_ifIXsr10test_utilsE35device_test_enabled_for_warp_size_vIXT1_EEEvE4typeEPT_S4_S4_
; %bb.0:
	v_mad_u64_u32 v[1:2], s[0:1], s6, 37, v[0:1]
	s_load_dwordx4 s[0:3], s[4:5], 0x0
	s_load_dwordx2 s[8:9], s[4:5], 0x10
	v_mov_b32_e32 v2, 0
	v_lshlrev_b64 v[2:3], 2, v[1:2]
	v_mul_u32_u24_e32 v6, 0x6ec, v0
	s_waitcnt lgkmcnt(0)
	v_mov_b32_e32 v5, s1
	v_add_co_u32_e32 v4, vcc, s0, v2
	v_addc_co_u32_e32 v5, vcc, v5, v3, vcc
	global_load_dword v5, v[4:5], off
	v_mbcnt_lo_u32_b32 v4, -1, 0
	s_mov_b32 s0, 0x6eb3e46
	v_mbcnt_hi_u32_b32 v7, -1, v4
	v_mul_hi_u32 v8, v7, s0
	v_lshrrev_b32_e32 v4, 16, v6
	s_bitcmp1_b32 s6, 0
	s_movk_i32 s4, 0x94
	v_mul_u32_u24_e32 v6, 37, v8
	v_sub_u32_e32 v7, v7, v6
	s_cselect_b64 s[0:1], -1, 0
	v_lshlrev_b32_e32 v6, 2, v7
	s_and_b64 vcc, exec, s[0:1]
	v_cmp_ne_u32_e64 s[0:1], 0, v7
	v_mad_u32_u24 v6, v4, s4, v6
	s_waitcnt vmcnt(0)
	ds_write_b32 v6, v5
	s_cbranch_vccz .LBB59_26
; %bb.1:
	v_mov_b32_e32 v8, v5
	; wave barrier
	s_and_saveexec_b64 s[4:5], s[0:1]
	s_cbranch_execz .LBB59_3
; %bb.2:
	v_add_u32_e32 v8, -4, v6
	ds_read_b32 v8, v8
	s_waitcnt lgkmcnt(0)
	v_add_f32_e32 v8, v5, v8
.LBB59_3:
	s_or_b64 exec, exec, s[4:5]
	; wave barrier
	s_and_saveexec_b64 s[4:5], s[0:1]
; %bb.4:
	ds_write_b32 v6, v8
; %bb.5:
	s_or_b64 exec, exec, s[4:5]
	v_cmp_lt_u32_e32 vcc, 1, v7
	; wave barrier
	s_and_saveexec_b64 s[4:5], vcc
	s_cbranch_execz .LBB59_7
; %bb.6:
	v_add_u32_e32 v9, -8, v6
	ds_read_b32 v9, v9
	s_waitcnt lgkmcnt(0)
	v_add_f32_e32 v8, v8, v9
.LBB59_7:
	s_or_b64 exec, exec, s[4:5]
	; wave barrier
	s_and_saveexec_b64 s[4:5], vcc
; %bb.8:
	ds_write_b32 v6, v8
; %bb.9:
	s_or_b64 exec, exec, s[4:5]
	v_cmp_lt_u32_e32 vcc, 3, v7
	; wave barrier
	s_and_saveexec_b64 s[4:5], vcc
	s_cbranch_execz .LBB59_11
; %bb.10:
	v_add_u32_e32 v9, -16, v6
	ds_read_b32 v9, v9
	s_waitcnt lgkmcnt(0)
	v_add_f32_e32 v8, v8, v9
.LBB59_11:
	s_or_b64 exec, exec, s[4:5]
	; wave barrier
	s_and_saveexec_b64 s[4:5], vcc
; %bb.12:
	ds_write_b32 v6, v8
; %bb.13:
	s_or_b64 exec, exec, s[4:5]
	v_cmp_lt_u32_e32 vcc, 7, v7
	; wave barrier
	s_and_saveexec_b64 s[4:5], vcc
	s_cbranch_execz .LBB59_15
; %bb.14:
	v_subrev_u32_e32 v9, 32, v6
	ds_read_b32 v9, v9
	s_waitcnt lgkmcnt(0)
	v_add_f32_e32 v8, v8, v9
.LBB59_15:
	s_or_b64 exec, exec, s[4:5]
	; wave barrier
	s_and_saveexec_b64 s[4:5], vcc
; %bb.16:
	ds_write_b32 v6, v8
; %bb.17:
	s_or_b64 exec, exec, s[4:5]
	v_cmp_lt_u32_e32 vcc, 15, v7
	; wave barrier
	s_and_saveexec_b64 s[4:5], vcc
	s_cbranch_execz .LBB59_19
; %bb.18:
	v_subrev_u32_e32 v9, 64, v6
	ds_read_b32 v9, v9
	s_waitcnt lgkmcnt(0)
	v_add_f32_e32 v8, v8, v9
.LBB59_19:
	s_or_b64 exec, exec, s[4:5]
	; wave barrier
	s_and_saveexec_b64 s[4:5], vcc
; %bb.20:
	ds_write_b32 v6, v8
; %bb.21:
	s_or_b64 exec, exec, s[4:5]
	v_cmp_lt_u32_e32 vcc, 31, v7
	; wave barrier
	s_and_saveexec_b64 s[4:5], vcc
	s_cbranch_execz .LBB59_23
; %bb.22:
	v_add_u32_e32 v9, 0xffffff80, v6
	ds_read_b32 v9, v9
	s_waitcnt lgkmcnt(0)
	v_add_f32_e32 v8, v8, v9
.LBB59_23:
	s_or_b64 exec, exec, s[4:5]
	; wave barrier
	s_and_saveexec_b64 s[4:5], vcc
; %bb.24:
	ds_write_b32 v6, v8
; %bb.25:
	s_or_b64 exec, exec, s[4:5]
	; wave barrier
	s_branch .LBB59_52
.LBB59_26:
                                        ; implicit-def: $vgpr8
	s_cbranch_execz .LBB59_52
; %bb.27:
	; wave barrier
	s_and_saveexec_b64 s[4:5], s[0:1]
	s_cbranch_execz .LBB59_29
; %bb.28:
	v_add_u32_e32 v8, -4, v6
	ds_read_b32 v8, v8
	s_waitcnt lgkmcnt(0)
	v_add_f32_e32 v5, v5, v8
.LBB59_29:
	s_or_b64 exec, exec, s[4:5]
	; wave barrier
	s_and_saveexec_b64 s[4:5], s[0:1]
; %bb.30:
	ds_write_b32 v6, v5
; %bb.31:
	s_or_b64 exec, exec, s[4:5]
	v_cmp_lt_u32_e32 vcc, 1, v7
	; wave barrier
	s_and_saveexec_b64 s[0:1], vcc
	s_cbranch_execz .LBB59_33
; %bb.32:
	v_add_u32_e32 v8, -8, v6
	ds_read_b32 v8, v8
	s_waitcnt lgkmcnt(0)
	v_add_f32_e32 v5, v5, v8
.LBB59_33:
	s_or_b64 exec, exec, s[0:1]
	; wave barrier
	s_and_saveexec_b64 s[0:1], vcc
; %bb.34:
	ds_write_b32 v6, v5
; %bb.35:
	s_or_b64 exec, exec, s[0:1]
	v_cmp_lt_u32_e32 vcc, 3, v7
	; wave barrier
	s_and_saveexec_b64 s[0:1], vcc
	s_cbranch_execz .LBB59_37
; %bb.36:
	v_add_u32_e32 v8, -16, v6
	ds_read_b32 v8, v8
	s_waitcnt lgkmcnt(0)
	v_add_f32_e32 v5, v5, v8
.LBB59_37:
	s_or_b64 exec, exec, s[0:1]
	; wave barrier
	s_and_saveexec_b64 s[0:1], vcc
; %bb.38:
	ds_write_b32 v6, v5
; %bb.39:
	s_or_b64 exec, exec, s[0:1]
	v_cmp_lt_u32_e32 vcc, 7, v7
	; wave barrier
	s_and_saveexec_b64 s[0:1], vcc
	s_cbranch_execz .LBB59_41
; %bb.40:
	v_subrev_u32_e32 v8, 32, v6
	ds_read_b32 v8, v8
	s_waitcnt lgkmcnt(0)
	v_add_f32_e32 v5, v5, v8
.LBB59_41:
	s_or_b64 exec, exec, s[0:1]
	; wave barrier
	s_and_saveexec_b64 s[0:1], vcc
; %bb.42:
	ds_write_b32 v6, v5
; %bb.43:
	s_or_b64 exec, exec, s[0:1]
	v_cmp_lt_u32_e32 vcc, 15, v7
	; wave barrier
	s_and_saveexec_b64 s[0:1], vcc
	s_cbranch_execz .LBB59_45
; %bb.44:
	v_subrev_u32_e32 v8, 64, v6
	ds_read_b32 v8, v8
	s_waitcnt lgkmcnt(0)
	v_add_f32_e32 v5, v5, v8
.LBB59_45:
	s_or_b64 exec, exec, s[0:1]
	; wave barrier
	s_and_saveexec_b64 s[0:1], vcc
; %bb.46:
	ds_write_b32 v6, v5
; %bb.47:
	s_or_b64 exec, exec, s[0:1]
	v_cmp_lt_u32_e32 vcc, 31, v7
	; wave barrier
	s_and_saveexec_b64 s[0:1], vcc
	s_cbranch_execz .LBB59_49
; %bb.48:
	v_add_u32_e32 v7, 0xffffff80, v6
	ds_read_b32 v7, v7
	s_waitcnt lgkmcnt(0)
	v_add_f32_e32 v5, v5, v7
.LBB59_49:
	s_or_b64 exec, exec, s[0:1]
	; wave barrier
	s_and_saveexec_b64 s[0:1], vcc
; %bb.50:
	ds_write_b32 v6, v5
; %bb.51:
	s_or_b64 exec, exec, s[0:1]
	v_mov_b32_e32 v8, v5
	; wave barrier
.LBB59_52:
	v_mov_b32_e32 v6, s3
	v_add_co_u32_e32 v2, vcc, s2, v2
	v_addc_co_u32_e32 v3, vcc, v6, v3, vcc
	global_store_dword v[2:3], v8, off
	v_mul_lo_u16_e32 v2, 37, v4
	v_sub_u16_e32 v0, v0, v2
	v_mul_u32_u24_e32 v5, 0x94, v4
	v_cmp_eq_u16_e32 vcc, 0, v0
	s_and_saveexec_b64 s[0:1], vcc
	s_cbranch_execz .LBB59_54
; %bb.53:
	s_mov_b32 s0, 0xbacf914d
	v_mul_hi_u32 v0, v1, s0
	ds_read_b32 v2, v5 offset:144
	v_sub_u32_e32 v1, v1, v0
	v_lshrrev_b32_e32 v1, 1, v1
	v_add_u32_e32 v0, v1, v0
	v_lshrrev_b32_e32 v0, 3, v0
	v_and_b32_e32 v0, 0x1ffffffc, v0
	s_waitcnt lgkmcnt(0)
	global_store_dword v0, v2, s[8:9]
.LBB59_54:
	s_endpgm
	.section	.rodata,"a",@progbits
	.p2align	6, 0x0
	.amdhsa_kernel _Z33warp_inclusive_scan_reduce_kernelIfLj37ELj37EENSt9enable_ifIXsr10test_utilsE35device_test_enabled_for_warp_size_vIXT1_EEEvE4typeEPT_S4_S4_
		.amdhsa_group_segment_fixed_size 148
		.amdhsa_private_segment_fixed_size 0
		.amdhsa_kernarg_size 24
		.amdhsa_user_sgpr_count 6
		.amdhsa_user_sgpr_private_segment_buffer 1
		.amdhsa_user_sgpr_dispatch_ptr 0
		.amdhsa_user_sgpr_queue_ptr 0
		.amdhsa_user_sgpr_kernarg_segment_ptr 1
		.amdhsa_user_sgpr_dispatch_id 0
		.amdhsa_user_sgpr_flat_scratch_init 0
		.amdhsa_user_sgpr_private_segment_size 0
		.amdhsa_uses_dynamic_stack 0
		.amdhsa_system_sgpr_private_segment_wavefront_offset 0
		.amdhsa_system_sgpr_workgroup_id_x 1
		.amdhsa_system_sgpr_workgroup_id_y 0
		.amdhsa_system_sgpr_workgroup_id_z 0
		.amdhsa_system_sgpr_workgroup_info 0
		.amdhsa_system_vgpr_workitem_id 0
		.amdhsa_next_free_vgpr 10
		.amdhsa_next_free_sgpr 10
		.amdhsa_reserve_vcc 1
		.amdhsa_reserve_flat_scratch 0
		.amdhsa_float_round_mode_32 0
		.amdhsa_float_round_mode_16_64 0
		.amdhsa_float_denorm_mode_32 3
		.amdhsa_float_denorm_mode_16_64 3
		.amdhsa_dx10_clamp 1
		.amdhsa_ieee_mode 1
		.amdhsa_fp16_overflow 0
		.amdhsa_exception_fp_ieee_invalid_op 0
		.amdhsa_exception_fp_denorm_src 0
		.amdhsa_exception_fp_ieee_div_zero 0
		.amdhsa_exception_fp_ieee_overflow 0
		.amdhsa_exception_fp_ieee_underflow 0
		.amdhsa_exception_fp_ieee_inexact 0
		.amdhsa_exception_int_div_zero 0
	.end_amdhsa_kernel
	.section	.text._Z33warp_inclusive_scan_reduce_kernelIfLj37ELj37EENSt9enable_ifIXsr10test_utilsE35device_test_enabled_for_warp_size_vIXT1_EEEvE4typeEPT_S4_S4_,"axG",@progbits,_Z33warp_inclusive_scan_reduce_kernelIfLj37ELj37EENSt9enable_ifIXsr10test_utilsE35device_test_enabled_for_warp_size_vIXT1_EEEvE4typeEPT_S4_S4_,comdat
.Lfunc_end59:
	.size	_Z33warp_inclusive_scan_reduce_kernelIfLj37ELj37EENSt9enable_ifIXsr10test_utilsE35device_test_enabled_for_warp_size_vIXT1_EEEvE4typeEPT_S4_S4_, .Lfunc_end59-_Z33warp_inclusive_scan_reduce_kernelIfLj37ELj37EENSt9enable_ifIXsr10test_utilsE35device_test_enabled_for_warp_size_vIXT1_EEEvE4typeEPT_S4_S4_
                                        ; -- End function
	.set _Z33warp_inclusive_scan_reduce_kernelIfLj37ELj37EENSt9enable_ifIXsr10test_utilsE35device_test_enabled_for_warp_size_vIXT1_EEEvE4typeEPT_S4_S4_.num_vgpr, 10
	.set _Z33warp_inclusive_scan_reduce_kernelIfLj37ELj37EENSt9enable_ifIXsr10test_utilsE35device_test_enabled_for_warp_size_vIXT1_EEEvE4typeEPT_S4_S4_.num_agpr, 0
	.set _Z33warp_inclusive_scan_reduce_kernelIfLj37ELj37EENSt9enable_ifIXsr10test_utilsE35device_test_enabled_for_warp_size_vIXT1_EEEvE4typeEPT_S4_S4_.numbered_sgpr, 10
	.set _Z33warp_inclusive_scan_reduce_kernelIfLj37ELj37EENSt9enable_ifIXsr10test_utilsE35device_test_enabled_for_warp_size_vIXT1_EEEvE4typeEPT_S4_S4_.num_named_barrier, 0
	.set _Z33warp_inclusive_scan_reduce_kernelIfLj37ELj37EENSt9enable_ifIXsr10test_utilsE35device_test_enabled_for_warp_size_vIXT1_EEEvE4typeEPT_S4_S4_.private_seg_size, 0
	.set _Z33warp_inclusive_scan_reduce_kernelIfLj37ELj37EENSt9enable_ifIXsr10test_utilsE35device_test_enabled_for_warp_size_vIXT1_EEEvE4typeEPT_S4_S4_.uses_vcc, 1
	.set _Z33warp_inclusive_scan_reduce_kernelIfLj37ELj37EENSt9enable_ifIXsr10test_utilsE35device_test_enabled_for_warp_size_vIXT1_EEEvE4typeEPT_S4_S4_.uses_flat_scratch, 0
	.set _Z33warp_inclusive_scan_reduce_kernelIfLj37ELj37EENSt9enable_ifIXsr10test_utilsE35device_test_enabled_for_warp_size_vIXT1_EEEvE4typeEPT_S4_S4_.has_dyn_sized_stack, 0
	.set _Z33warp_inclusive_scan_reduce_kernelIfLj37ELj37EENSt9enable_ifIXsr10test_utilsE35device_test_enabled_for_warp_size_vIXT1_EEEvE4typeEPT_S4_S4_.has_recursion, 0
	.set _Z33warp_inclusive_scan_reduce_kernelIfLj37ELj37EENSt9enable_ifIXsr10test_utilsE35device_test_enabled_for_warp_size_vIXT1_EEEvE4typeEPT_S4_S4_.has_indirect_call, 0
	.section	.AMDGPU.csdata,"",@progbits
; Kernel info:
; codeLenInByte = 916
; TotalNumSgprs: 14
; NumVgprs: 10
; ScratchSize: 0
; MemoryBound: 0
; FloatMode: 240
; IeeeMode: 1
; LDSByteSize: 148 bytes/workgroup (compile time only)
; SGPRBlocks: 1
; VGPRBlocks: 2
; NumSGPRsForWavesPerEU: 14
; NumVGPRsForWavesPerEU: 10
; Occupancy: 10
; WaveLimiterHint : 0
; COMPUTE_PGM_RSRC2:SCRATCH_EN: 0
; COMPUTE_PGM_RSRC2:USER_SGPR: 6
; COMPUTE_PGM_RSRC2:TRAP_HANDLER: 0
; COMPUTE_PGM_RSRC2:TGID_X_EN: 1
; COMPUTE_PGM_RSRC2:TGID_Y_EN: 0
; COMPUTE_PGM_RSRC2:TGID_Z_EN: 0
; COMPUTE_PGM_RSRC2:TIDIG_COMP_CNT: 0
	.section	.text._Z33warp_inclusive_scan_reduce_kernelIfLj30ELj15EENSt9enable_ifIXsr10test_utilsE35device_test_enabled_for_warp_size_vIXT1_EEEvE4typeEPT_S4_S4_,"axG",@progbits,_Z33warp_inclusive_scan_reduce_kernelIfLj30ELj15EENSt9enable_ifIXsr10test_utilsE35device_test_enabled_for_warp_size_vIXT1_EEEvE4typeEPT_S4_S4_,comdat
	.protected	_Z33warp_inclusive_scan_reduce_kernelIfLj30ELj15EENSt9enable_ifIXsr10test_utilsE35device_test_enabled_for_warp_size_vIXT1_EEEvE4typeEPT_S4_S4_ ; -- Begin function _Z33warp_inclusive_scan_reduce_kernelIfLj30ELj15EENSt9enable_ifIXsr10test_utilsE35device_test_enabled_for_warp_size_vIXT1_EEEvE4typeEPT_S4_S4_
	.globl	_Z33warp_inclusive_scan_reduce_kernelIfLj30ELj15EENSt9enable_ifIXsr10test_utilsE35device_test_enabled_for_warp_size_vIXT1_EEEvE4typeEPT_S4_S4_
	.p2align	8
	.type	_Z33warp_inclusive_scan_reduce_kernelIfLj30ELj15EENSt9enable_ifIXsr10test_utilsE35device_test_enabled_for_warp_size_vIXT1_EEEvE4typeEPT_S4_S4_,@function
_Z33warp_inclusive_scan_reduce_kernelIfLj30ELj15EENSt9enable_ifIXsr10test_utilsE35device_test_enabled_for_warp_size_vIXT1_EEEvE4typeEPT_S4_S4_: ; @_Z33warp_inclusive_scan_reduce_kernelIfLj30ELj15EENSt9enable_ifIXsr10test_utilsE35device_test_enabled_for_warp_size_vIXT1_EEEvE4typeEPT_S4_S4_
; %bb.0:
	v_mad_u64_u32 v[1:2], s[0:1], s6, 30, v[0:1]
	s_load_dwordx4 s[0:3], s[4:5], 0x0
	s_load_dwordx2 s[8:9], s[4:5], 0x10
	v_mov_b32_e32 v2, 0
	v_lshlrev_b64 v[2:3], 2, v[1:2]
	v_mul_u32_u24_e32 v6, 0x1112, v0
	s_waitcnt lgkmcnt(0)
	v_mov_b32_e32 v5, s1
	v_add_co_u32_e32 v4, vcc, s0, v2
	v_addc_co_u32_e32 v5, vcc, v5, v3, vcc
	global_load_dword v5, v[4:5], off
	v_mbcnt_lo_u32_b32 v4, -1, 0
	s_mov_b32 s0, 0x11111112
	v_mbcnt_hi_u32_b32 v7, -1, v4
	v_mul_hi_u32 v8, v7, s0
	v_lshrrev_b32_e32 v4, 16, v6
	s_bitcmp1_b32 s6, 0
	s_cselect_b64 s[0:1], -1, 0
	v_mul_u32_u24_e32 v6, 15, v8
	v_sub_u32_e32 v7, v7, v6
	v_lshlrev_b32_e32 v6, 2, v7
	s_and_b64 vcc, exec, s[0:1]
	v_cmp_ne_u32_e64 s[0:1], 0, v7
	v_mad_u32_u24 v6, v4, 60, v6
	s_waitcnt vmcnt(0)
	ds_write_b32 v6, v5
	s_cbranch_vccz .LBB60_18
; %bb.1:
	v_mov_b32_e32 v8, v5
	; wave barrier
	s_and_saveexec_b64 s[4:5], s[0:1]
	s_cbranch_execz .LBB60_3
; %bb.2:
	v_add_u32_e32 v8, -4, v6
	ds_read_b32 v8, v8
	s_waitcnt lgkmcnt(0)
	v_add_f32_e32 v8, v5, v8
.LBB60_3:
	s_or_b64 exec, exec, s[4:5]
	; wave barrier
	s_and_saveexec_b64 s[4:5], s[0:1]
; %bb.4:
	ds_write_b32 v6, v8
; %bb.5:
	s_or_b64 exec, exec, s[4:5]
	v_cmp_lt_u32_e32 vcc, 1, v7
	; wave barrier
	s_and_saveexec_b64 s[4:5], vcc
	s_cbranch_execz .LBB60_7
; %bb.6:
	v_add_u32_e32 v9, -8, v6
	ds_read_b32 v9, v9
	s_waitcnt lgkmcnt(0)
	v_add_f32_e32 v8, v8, v9
.LBB60_7:
	s_or_b64 exec, exec, s[4:5]
	; wave barrier
	s_and_saveexec_b64 s[4:5], vcc
; %bb.8:
	ds_write_b32 v6, v8
; %bb.9:
	s_or_b64 exec, exec, s[4:5]
	v_cmp_lt_u32_e32 vcc, 3, v7
	; wave barrier
	s_and_saveexec_b64 s[4:5], vcc
	s_cbranch_execz .LBB60_11
; %bb.10:
	v_add_u32_e32 v9, -16, v6
	ds_read_b32 v9, v9
	s_waitcnt lgkmcnt(0)
	v_add_f32_e32 v8, v8, v9
.LBB60_11:
	s_or_b64 exec, exec, s[4:5]
	; wave barrier
	s_and_saveexec_b64 s[4:5], vcc
; %bb.12:
	ds_write_b32 v6, v8
; %bb.13:
	s_or_b64 exec, exec, s[4:5]
	v_cmp_lt_u32_e32 vcc, 7, v7
	; wave barrier
	s_and_saveexec_b64 s[4:5], vcc
	s_cbranch_execz .LBB60_15
; %bb.14:
	v_subrev_u32_e32 v9, 32, v6
	ds_read_b32 v9, v9
	s_waitcnt lgkmcnt(0)
	v_add_f32_e32 v8, v8, v9
.LBB60_15:
	s_or_b64 exec, exec, s[4:5]
	; wave barrier
	s_and_saveexec_b64 s[4:5], vcc
; %bb.16:
	ds_write_b32 v6, v8
; %bb.17:
	s_or_b64 exec, exec, s[4:5]
	; wave barrier
	s_branch .LBB60_36
.LBB60_18:
                                        ; implicit-def: $vgpr8
	s_cbranch_execz .LBB60_36
; %bb.19:
	; wave barrier
	s_and_saveexec_b64 s[4:5], s[0:1]
	s_cbranch_execz .LBB60_21
; %bb.20:
	v_add_u32_e32 v8, -4, v6
	ds_read_b32 v8, v8
	s_waitcnt lgkmcnt(0)
	v_add_f32_e32 v5, v5, v8
.LBB60_21:
	s_or_b64 exec, exec, s[4:5]
	; wave barrier
	s_and_saveexec_b64 s[4:5], s[0:1]
; %bb.22:
	ds_write_b32 v6, v5
; %bb.23:
	s_or_b64 exec, exec, s[4:5]
	v_cmp_lt_u32_e32 vcc, 1, v7
	; wave barrier
	s_and_saveexec_b64 s[0:1], vcc
	s_cbranch_execz .LBB60_25
; %bb.24:
	v_add_u32_e32 v8, -8, v6
	ds_read_b32 v8, v8
	s_waitcnt lgkmcnt(0)
	v_add_f32_e32 v5, v5, v8
.LBB60_25:
	s_or_b64 exec, exec, s[0:1]
	; wave barrier
	s_and_saveexec_b64 s[0:1], vcc
; %bb.26:
	ds_write_b32 v6, v5
; %bb.27:
	s_or_b64 exec, exec, s[0:1]
	v_cmp_lt_u32_e32 vcc, 3, v7
	; wave barrier
	s_and_saveexec_b64 s[0:1], vcc
	s_cbranch_execz .LBB60_29
; %bb.28:
	v_add_u32_e32 v8, -16, v6
	ds_read_b32 v8, v8
	s_waitcnt lgkmcnt(0)
	v_add_f32_e32 v5, v5, v8
.LBB60_29:
	s_or_b64 exec, exec, s[0:1]
	; wave barrier
	s_and_saveexec_b64 s[0:1], vcc
; %bb.30:
	ds_write_b32 v6, v5
; %bb.31:
	s_or_b64 exec, exec, s[0:1]
	v_cmp_lt_u32_e32 vcc, 7, v7
	; wave barrier
	s_and_saveexec_b64 s[0:1], vcc
	s_cbranch_execz .LBB60_33
; %bb.32:
	v_subrev_u32_e32 v7, 32, v6
	ds_read_b32 v7, v7
	s_waitcnt lgkmcnt(0)
	v_add_f32_e32 v5, v5, v7
.LBB60_33:
	s_or_b64 exec, exec, s[0:1]
	; wave barrier
	s_and_saveexec_b64 s[0:1], vcc
; %bb.34:
	ds_write_b32 v6, v5
; %bb.35:
	s_or_b64 exec, exec, s[0:1]
	v_mov_b32_e32 v8, v5
	; wave barrier
.LBB60_36:
	v_mov_b32_e32 v6, s3
	v_add_co_u32_e32 v2, vcc, s2, v2
	v_addc_co_u32_e32 v3, vcc, v6, v3, vcc
	global_store_dword v[2:3], v8, off
	v_mul_lo_u16_e32 v2, 15, v4
	v_sub_u16_e32 v0, v0, v2
	v_mul_u32_u24_e32 v5, 60, v4
	v_cmp_eq_u16_e32 vcc, 0, v0
	s_and_saveexec_b64 s[0:1], vcc
	s_cbranch_execz .LBB60_38
; %bb.37:
	s_mov_b32 s0, 0x88888889
	v_mul_hi_u32 v0, v1, s0
	ds_read_b32 v1, v5 offset:56
	v_lshrrev_b32_e32 v0, 1, v0
	v_and_b32_e32 v0, 0x7ffffffc, v0
	s_waitcnt lgkmcnt(0)
	global_store_dword v0, v1, s[8:9]
.LBB60_38:
	s_endpgm
	.section	.rodata,"a",@progbits
	.p2align	6, 0x0
	.amdhsa_kernel _Z33warp_inclusive_scan_reduce_kernelIfLj30ELj15EENSt9enable_ifIXsr10test_utilsE35device_test_enabled_for_warp_size_vIXT1_EEEvE4typeEPT_S4_S4_
		.amdhsa_group_segment_fixed_size 120
		.amdhsa_private_segment_fixed_size 0
		.amdhsa_kernarg_size 24
		.amdhsa_user_sgpr_count 6
		.amdhsa_user_sgpr_private_segment_buffer 1
		.amdhsa_user_sgpr_dispatch_ptr 0
		.amdhsa_user_sgpr_queue_ptr 0
		.amdhsa_user_sgpr_kernarg_segment_ptr 1
		.amdhsa_user_sgpr_dispatch_id 0
		.amdhsa_user_sgpr_flat_scratch_init 0
		.amdhsa_user_sgpr_private_segment_size 0
		.amdhsa_uses_dynamic_stack 0
		.amdhsa_system_sgpr_private_segment_wavefront_offset 0
		.amdhsa_system_sgpr_workgroup_id_x 1
		.amdhsa_system_sgpr_workgroup_id_y 0
		.amdhsa_system_sgpr_workgroup_id_z 0
		.amdhsa_system_sgpr_workgroup_info 0
		.amdhsa_system_vgpr_workitem_id 0
		.amdhsa_next_free_vgpr 10
		.amdhsa_next_free_sgpr 10
		.amdhsa_reserve_vcc 1
		.amdhsa_reserve_flat_scratch 0
		.amdhsa_float_round_mode_32 0
		.amdhsa_float_round_mode_16_64 0
		.amdhsa_float_denorm_mode_32 3
		.amdhsa_float_denorm_mode_16_64 3
		.amdhsa_dx10_clamp 1
		.amdhsa_ieee_mode 1
		.amdhsa_fp16_overflow 0
		.amdhsa_exception_fp_ieee_invalid_op 0
		.amdhsa_exception_fp_denorm_src 0
		.amdhsa_exception_fp_ieee_div_zero 0
		.amdhsa_exception_fp_ieee_overflow 0
		.amdhsa_exception_fp_ieee_underflow 0
		.amdhsa_exception_fp_ieee_inexact 0
		.amdhsa_exception_int_div_zero 0
	.end_amdhsa_kernel
	.section	.text._Z33warp_inclusive_scan_reduce_kernelIfLj30ELj15EENSt9enable_ifIXsr10test_utilsE35device_test_enabled_for_warp_size_vIXT1_EEEvE4typeEPT_S4_S4_,"axG",@progbits,_Z33warp_inclusive_scan_reduce_kernelIfLj30ELj15EENSt9enable_ifIXsr10test_utilsE35device_test_enabled_for_warp_size_vIXT1_EEEvE4typeEPT_S4_S4_,comdat
.Lfunc_end60:
	.size	_Z33warp_inclusive_scan_reduce_kernelIfLj30ELj15EENSt9enable_ifIXsr10test_utilsE35device_test_enabled_for_warp_size_vIXT1_EEEvE4typeEPT_S4_S4_, .Lfunc_end60-_Z33warp_inclusive_scan_reduce_kernelIfLj30ELj15EENSt9enable_ifIXsr10test_utilsE35device_test_enabled_for_warp_size_vIXT1_EEEvE4typeEPT_S4_S4_
                                        ; -- End function
	.set _Z33warp_inclusive_scan_reduce_kernelIfLj30ELj15EENSt9enable_ifIXsr10test_utilsE35device_test_enabled_for_warp_size_vIXT1_EEEvE4typeEPT_S4_S4_.num_vgpr, 10
	.set _Z33warp_inclusive_scan_reduce_kernelIfLj30ELj15EENSt9enable_ifIXsr10test_utilsE35device_test_enabled_for_warp_size_vIXT1_EEEvE4typeEPT_S4_S4_.num_agpr, 0
	.set _Z33warp_inclusive_scan_reduce_kernelIfLj30ELj15EENSt9enable_ifIXsr10test_utilsE35device_test_enabled_for_warp_size_vIXT1_EEEvE4typeEPT_S4_S4_.numbered_sgpr, 10
	.set _Z33warp_inclusive_scan_reduce_kernelIfLj30ELj15EENSt9enable_ifIXsr10test_utilsE35device_test_enabled_for_warp_size_vIXT1_EEEvE4typeEPT_S4_S4_.num_named_barrier, 0
	.set _Z33warp_inclusive_scan_reduce_kernelIfLj30ELj15EENSt9enable_ifIXsr10test_utilsE35device_test_enabled_for_warp_size_vIXT1_EEEvE4typeEPT_S4_S4_.private_seg_size, 0
	.set _Z33warp_inclusive_scan_reduce_kernelIfLj30ELj15EENSt9enable_ifIXsr10test_utilsE35device_test_enabled_for_warp_size_vIXT1_EEEvE4typeEPT_S4_S4_.uses_vcc, 1
	.set _Z33warp_inclusive_scan_reduce_kernelIfLj30ELj15EENSt9enable_ifIXsr10test_utilsE35device_test_enabled_for_warp_size_vIXT1_EEEvE4typeEPT_S4_S4_.uses_flat_scratch, 0
	.set _Z33warp_inclusive_scan_reduce_kernelIfLj30ELj15EENSt9enable_ifIXsr10test_utilsE35device_test_enabled_for_warp_size_vIXT1_EEEvE4typeEPT_S4_S4_.has_dyn_sized_stack, 0
	.set _Z33warp_inclusive_scan_reduce_kernelIfLj30ELj15EENSt9enable_ifIXsr10test_utilsE35device_test_enabled_for_warp_size_vIXT1_EEEvE4typeEPT_S4_S4_.has_recursion, 0
	.set _Z33warp_inclusive_scan_reduce_kernelIfLj30ELj15EENSt9enable_ifIXsr10test_utilsE35device_test_enabled_for_warp_size_vIXT1_EEEvE4typeEPT_S4_S4_.has_indirect_call, 0
	.section	.AMDGPU.csdata,"",@progbits
; Kernel info:
; codeLenInByte = 680
; TotalNumSgprs: 14
; NumVgprs: 10
; ScratchSize: 0
; MemoryBound: 0
; FloatMode: 240
; IeeeMode: 1
; LDSByteSize: 120 bytes/workgroup (compile time only)
; SGPRBlocks: 1
; VGPRBlocks: 2
; NumSGPRsForWavesPerEU: 14
; NumVGPRsForWavesPerEU: 10
; Occupancy: 10
; WaveLimiterHint : 0
; COMPUTE_PGM_RSRC2:SCRATCH_EN: 0
; COMPUTE_PGM_RSRC2:USER_SGPR: 6
; COMPUTE_PGM_RSRC2:TRAP_HANDLER: 0
; COMPUTE_PGM_RSRC2:TGID_X_EN: 1
; COMPUTE_PGM_RSRC2:TGID_Y_EN: 0
; COMPUTE_PGM_RSRC2:TGID_Z_EN: 0
; COMPUTE_PGM_RSRC2:TIDIG_COMP_CNT: 0
	.section	.text._Z33warp_inclusive_scan_reduce_kernelIfLj60ELj15EENSt9enable_ifIXsr10test_utilsE35device_test_enabled_for_warp_size_vIXT1_EEEvE4typeEPT_S4_S4_,"axG",@progbits,_Z33warp_inclusive_scan_reduce_kernelIfLj60ELj15EENSt9enable_ifIXsr10test_utilsE35device_test_enabled_for_warp_size_vIXT1_EEEvE4typeEPT_S4_S4_,comdat
	.protected	_Z33warp_inclusive_scan_reduce_kernelIfLj60ELj15EENSt9enable_ifIXsr10test_utilsE35device_test_enabled_for_warp_size_vIXT1_EEEvE4typeEPT_S4_S4_ ; -- Begin function _Z33warp_inclusive_scan_reduce_kernelIfLj60ELj15EENSt9enable_ifIXsr10test_utilsE35device_test_enabled_for_warp_size_vIXT1_EEEvE4typeEPT_S4_S4_
	.globl	_Z33warp_inclusive_scan_reduce_kernelIfLj60ELj15EENSt9enable_ifIXsr10test_utilsE35device_test_enabled_for_warp_size_vIXT1_EEEvE4typeEPT_S4_S4_
	.p2align	8
	.type	_Z33warp_inclusive_scan_reduce_kernelIfLj60ELj15EENSt9enable_ifIXsr10test_utilsE35device_test_enabled_for_warp_size_vIXT1_EEEvE4typeEPT_S4_S4_,@function
_Z33warp_inclusive_scan_reduce_kernelIfLj60ELj15EENSt9enable_ifIXsr10test_utilsE35device_test_enabled_for_warp_size_vIXT1_EEEvE4typeEPT_S4_S4_: ; @_Z33warp_inclusive_scan_reduce_kernelIfLj60ELj15EENSt9enable_ifIXsr10test_utilsE35device_test_enabled_for_warp_size_vIXT1_EEEvE4typeEPT_S4_S4_
; %bb.0:
	v_mad_u64_u32 v[1:2], s[0:1], s6, 60, v[0:1]
	s_load_dwordx4 s[0:3], s[4:5], 0x0
	s_load_dwordx2 s[8:9], s[4:5], 0x10
	v_mov_b32_e32 v2, 0
	v_lshlrev_b64 v[2:3], 2, v[1:2]
	v_mul_u32_u24_e32 v6, 0x1112, v0
	s_waitcnt lgkmcnt(0)
	v_mov_b32_e32 v5, s1
	v_add_co_u32_e32 v4, vcc, s0, v2
	v_addc_co_u32_e32 v5, vcc, v5, v3, vcc
	global_load_dword v5, v[4:5], off
	v_mbcnt_lo_u32_b32 v4, -1, 0
	s_mov_b32 s0, 0x11111112
	v_mbcnt_hi_u32_b32 v7, -1, v4
	v_mul_hi_u32 v8, v7, s0
	v_lshrrev_b32_e32 v4, 16, v6
	s_bitcmp1_b32 s6, 0
	s_cselect_b64 s[0:1], -1, 0
	v_mul_u32_u24_e32 v6, 15, v8
	v_sub_u32_e32 v7, v7, v6
	v_lshlrev_b32_e32 v6, 2, v7
	s_and_b64 vcc, exec, s[0:1]
	v_cmp_ne_u32_e64 s[0:1], 0, v7
	v_mad_u32_u24 v6, v4, 60, v6
	s_waitcnt vmcnt(0)
	ds_write_b32 v6, v5
	s_cbranch_vccz .LBB61_18
; %bb.1:
	v_mov_b32_e32 v8, v5
	; wave barrier
	s_and_saveexec_b64 s[4:5], s[0:1]
	s_cbranch_execz .LBB61_3
; %bb.2:
	v_add_u32_e32 v8, -4, v6
	ds_read_b32 v8, v8
	s_waitcnt lgkmcnt(0)
	v_add_f32_e32 v8, v5, v8
.LBB61_3:
	s_or_b64 exec, exec, s[4:5]
	; wave barrier
	s_and_saveexec_b64 s[4:5], s[0:1]
; %bb.4:
	ds_write_b32 v6, v8
; %bb.5:
	s_or_b64 exec, exec, s[4:5]
	v_cmp_lt_u32_e32 vcc, 1, v7
	; wave barrier
	s_and_saveexec_b64 s[4:5], vcc
	s_cbranch_execz .LBB61_7
; %bb.6:
	v_add_u32_e32 v9, -8, v6
	ds_read_b32 v9, v9
	s_waitcnt lgkmcnt(0)
	v_add_f32_e32 v8, v8, v9
.LBB61_7:
	s_or_b64 exec, exec, s[4:5]
	; wave barrier
	s_and_saveexec_b64 s[4:5], vcc
; %bb.8:
	ds_write_b32 v6, v8
; %bb.9:
	s_or_b64 exec, exec, s[4:5]
	v_cmp_lt_u32_e32 vcc, 3, v7
	; wave barrier
	s_and_saveexec_b64 s[4:5], vcc
	s_cbranch_execz .LBB61_11
; %bb.10:
	v_add_u32_e32 v9, -16, v6
	ds_read_b32 v9, v9
	s_waitcnt lgkmcnt(0)
	v_add_f32_e32 v8, v8, v9
.LBB61_11:
	s_or_b64 exec, exec, s[4:5]
	; wave barrier
	s_and_saveexec_b64 s[4:5], vcc
; %bb.12:
	ds_write_b32 v6, v8
; %bb.13:
	s_or_b64 exec, exec, s[4:5]
	v_cmp_lt_u32_e32 vcc, 7, v7
	; wave barrier
	s_and_saveexec_b64 s[4:5], vcc
	s_cbranch_execz .LBB61_15
; %bb.14:
	v_subrev_u32_e32 v9, 32, v6
	ds_read_b32 v9, v9
	s_waitcnt lgkmcnt(0)
	v_add_f32_e32 v8, v8, v9
.LBB61_15:
	s_or_b64 exec, exec, s[4:5]
	; wave barrier
	s_and_saveexec_b64 s[4:5], vcc
; %bb.16:
	ds_write_b32 v6, v8
; %bb.17:
	s_or_b64 exec, exec, s[4:5]
	; wave barrier
	s_branch .LBB61_36
.LBB61_18:
                                        ; implicit-def: $vgpr8
	s_cbranch_execz .LBB61_36
; %bb.19:
	; wave barrier
	s_and_saveexec_b64 s[4:5], s[0:1]
	s_cbranch_execz .LBB61_21
; %bb.20:
	v_add_u32_e32 v8, -4, v6
	ds_read_b32 v8, v8
	s_waitcnt lgkmcnt(0)
	v_add_f32_e32 v5, v5, v8
.LBB61_21:
	s_or_b64 exec, exec, s[4:5]
	; wave barrier
	s_and_saveexec_b64 s[4:5], s[0:1]
; %bb.22:
	ds_write_b32 v6, v5
; %bb.23:
	s_or_b64 exec, exec, s[4:5]
	v_cmp_lt_u32_e32 vcc, 1, v7
	; wave barrier
	s_and_saveexec_b64 s[0:1], vcc
	s_cbranch_execz .LBB61_25
; %bb.24:
	v_add_u32_e32 v8, -8, v6
	ds_read_b32 v8, v8
	s_waitcnt lgkmcnt(0)
	v_add_f32_e32 v5, v5, v8
.LBB61_25:
	s_or_b64 exec, exec, s[0:1]
	; wave barrier
	s_and_saveexec_b64 s[0:1], vcc
; %bb.26:
	ds_write_b32 v6, v5
; %bb.27:
	s_or_b64 exec, exec, s[0:1]
	v_cmp_lt_u32_e32 vcc, 3, v7
	; wave barrier
	s_and_saveexec_b64 s[0:1], vcc
	s_cbranch_execz .LBB61_29
; %bb.28:
	v_add_u32_e32 v8, -16, v6
	ds_read_b32 v8, v8
	s_waitcnt lgkmcnt(0)
	v_add_f32_e32 v5, v5, v8
.LBB61_29:
	s_or_b64 exec, exec, s[0:1]
	; wave barrier
	s_and_saveexec_b64 s[0:1], vcc
; %bb.30:
	ds_write_b32 v6, v5
; %bb.31:
	s_or_b64 exec, exec, s[0:1]
	v_cmp_lt_u32_e32 vcc, 7, v7
	; wave barrier
	s_and_saveexec_b64 s[0:1], vcc
	s_cbranch_execz .LBB61_33
; %bb.32:
	v_subrev_u32_e32 v7, 32, v6
	ds_read_b32 v7, v7
	s_waitcnt lgkmcnt(0)
	v_add_f32_e32 v5, v5, v7
.LBB61_33:
	s_or_b64 exec, exec, s[0:1]
	; wave barrier
	s_and_saveexec_b64 s[0:1], vcc
; %bb.34:
	ds_write_b32 v6, v5
; %bb.35:
	s_or_b64 exec, exec, s[0:1]
	v_mov_b32_e32 v8, v5
	; wave barrier
.LBB61_36:
	v_mov_b32_e32 v6, s3
	v_add_co_u32_e32 v2, vcc, s2, v2
	v_addc_co_u32_e32 v3, vcc, v6, v3, vcc
	global_store_dword v[2:3], v8, off
	v_mul_lo_u16_e32 v2, 15, v4
	v_sub_u16_e32 v0, v0, v2
	v_mul_u32_u24_e32 v5, 60, v4
	v_cmp_eq_u16_e32 vcc, 0, v0
	s_and_saveexec_b64 s[0:1], vcc
	s_cbranch_execz .LBB61_38
; %bb.37:
	s_mov_b32 s0, 0x88888889
	v_mul_hi_u32 v0, v1, s0
	ds_read_b32 v1, v5 offset:56
	v_lshrrev_b32_e32 v0, 1, v0
	v_and_b32_e32 v0, 0x7ffffffc, v0
	s_waitcnt lgkmcnt(0)
	global_store_dword v0, v1, s[8:9]
.LBB61_38:
	s_endpgm
	.section	.rodata,"a",@progbits
	.p2align	6, 0x0
	.amdhsa_kernel _Z33warp_inclusive_scan_reduce_kernelIfLj60ELj15EENSt9enable_ifIXsr10test_utilsE35device_test_enabled_for_warp_size_vIXT1_EEEvE4typeEPT_S4_S4_
		.amdhsa_group_segment_fixed_size 240
		.amdhsa_private_segment_fixed_size 0
		.amdhsa_kernarg_size 24
		.amdhsa_user_sgpr_count 6
		.amdhsa_user_sgpr_private_segment_buffer 1
		.amdhsa_user_sgpr_dispatch_ptr 0
		.amdhsa_user_sgpr_queue_ptr 0
		.amdhsa_user_sgpr_kernarg_segment_ptr 1
		.amdhsa_user_sgpr_dispatch_id 0
		.amdhsa_user_sgpr_flat_scratch_init 0
		.amdhsa_user_sgpr_private_segment_size 0
		.amdhsa_uses_dynamic_stack 0
		.amdhsa_system_sgpr_private_segment_wavefront_offset 0
		.amdhsa_system_sgpr_workgroup_id_x 1
		.amdhsa_system_sgpr_workgroup_id_y 0
		.amdhsa_system_sgpr_workgroup_id_z 0
		.amdhsa_system_sgpr_workgroup_info 0
		.amdhsa_system_vgpr_workitem_id 0
		.amdhsa_next_free_vgpr 10
		.amdhsa_next_free_sgpr 10
		.amdhsa_reserve_vcc 1
		.amdhsa_reserve_flat_scratch 0
		.amdhsa_float_round_mode_32 0
		.amdhsa_float_round_mode_16_64 0
		.amdhsa_float_denorm_mode_32 3
		.amdhsa_float_denorm_mode_16_64 3
		.amdhsa_dx10_clamp 1
		.amdhsa_ieee_mode 1
		.amdhsa_fp16_overflow 0
		.amdhsa_exception_fp_ieee_invalid_op 0
		.amdhsa_exception_fp_denorm_src 0
		.amdhsa_exception_fp_ieee_div_zero 0
		.amdhsa_exception_fp_ieee_overflow 0
		.amdhsa_exception_fp_ieee_underflow 0
		.amdhsa_exception_fp_ieee_inexact 0
		.amdhsa_exception_int_div_zero 0
	.end_amdhsa_kernel
	.section	.text._Z33warp_inclusive_scan_reduce_kernelIfLj60ELj15EENSt9enable_ifIXsr10test_utilsE35device_test_enabled_for_warp_size_vIXT1_EEEvE4typeEPT_S4_S4_,"axG",@progbits,_Z33warp_inclusive_scan_reduce_kernelIfLj60ELj15EENSt9enable_ifIXsr10test_utilsE35device_test_enabled_for_warp_size_vIXT1_EEEvE4typeEPT_S4_S4_,comdat
.Lfunc_end61:
	.size	_Z33warp_inclusive_scan_reduce_kernelIfLj60ELj15EENSt9enable_ifIXsr10test_utilsE35device_test_enabled_for_warp_size_vIXT1_EEEvE4typeEPT_S4_S4_, .Lfunc_end61-_Z33warp_inclusive_scan_reduce_kernelIfLj60ELj15EENSt9enable_ifIXsr10test_utilsE35device_test_enabled_for_warp_size_vIXT1_EEEvE4typeEPT_S4_S4_
                                        ; -- End function
	.set _Z33warp_inclusive_scan_reduce_kernelIfLj60ELj15EENSt9enable_ifIXsr10test_utilsE35device_test_enabled_for_warp_size_vIXT1_EEEvE4typeEPT_S4_S4_.num_vgpr, 10
	.set _Z33warp_inclusive_scan_reduce_kernelIfLj60ELj15EENSt9enable_ifIXsr10test_utilsE35device_test_enabled_for_warp_size_vIXT1_EEEvE4typeEPT_S4_S4_.num_agpr, 0
	.set _Z33warp_inclusive_scan_reduce_kernelIfLj60ELj15EENSt9enable_ifIXsr10test_utilsE35device_test_enabled_for_warp_size_vIXT1_EEEvE4typeEPT_S4_S4_.numbered_sgpr, 10
	.set _Z33warp_inclusive_scan_reduce_kernelIfLj60ELj15EENSt9enable_ifIXsr10test_utilsE35device_test_enabled_for_warp_size_vIXT1_EEEvE4typeEPT_S4_S4_.num_named_barrier, 0
	.set _Z33warp_inclusive_scan_reduce_kernelIfLj60ELj15EENSt9enable_ifIXsr10test_utilsE35device_test_enabled_for_warp_size_vIXT1_EEEvE4typeEPT_S4_S4_.private_seg_size, 0
	.set _Z33warp_inclusive_scan_reduce_kernelIfLj60ELj15EENSt9enable_ifIXsr10test_utilsE35device_test_enabled_for_warp_size_vIXT1_EEEvE4typeEPT_S4_S4_.uses_vcc, 1
	.set _Z33warp_inclusive_scan_reduce_kernelIfLj60ELj15EENSt9enable_ifIXsr10test_utilsE35device_test_enabled_for_warp_size_vIXT1_EEEvE4typeEPT_S4_S4_.uses_flat_scratch, 0
	.set _Z33warp_inclusive_scan_reduce_kernelIfLj60ELj15EENSt9enable_ifIXsr10test_utilsE35device_test_enabled_for_warp_size_vIXT1_EEEvE4typeEPT_S4_S4_.has_dyn_sized_stack, 0
	.set _Z33warp_inclusive_scan_reduce_kernelIfLj60ELj15EENSt9enable_ifIXsr10test_utilsE35device_test_enabled_for_warp_size_vIXT1_EEEvE4typeEPT_S4_S4_.has_recursion, 0
	.set _Z33warp_inclusive_scan_reduce_kernelIfLj60ELj15EENSt9enable_ifIXsr10test_utilsE35device_test_enabled_for_warp_size_vIXT1_EEEvE4typeEPT_S4_S4_.has_indirect_call, 0
	.section	.AMDGPU.csdata,"",@progbits
; Kernel info:
; codeLenInByte = 680
; TotalNumSgprs: 14
; NumVgprs: 10
; ScratchSize: 0
; MemoryBound: 0
; FloatMode: 240
; IeeeMode: 1
; LDSByteSize: 240 bytes/workgroup (compile time only)
; SGPRBlocks: 1
; VGPRBlocks: 2
; NumSGPRsForWavesPerEU: 14
; NumVGPRsForWavesPerEU: 10
; Occupancy: 10
; WaveLimiterHint : 0
; COMPUTE_PGM_RSRC2:SCRATCH_EN: 0
; COMPUTE_PGM_RSRC2:USER_SGPR: 6
; COMPUTE_PGM_RSRC2:TRAP_HANDLER: 0
; COMPUTE_PGM_RSRC2:TGID_X_EN: 1
; COMPUTE_PGM_RSRC2:TGID_Y_EN: 0
; COMPUTE_PGM_RSRC2:TGID_Z_EN: 0
; COMPUTE_PGM_RSRC2:TIDIG_COMP_CNT: 0
	.section	.text._Z33warp_inclusive_scan_reduce_kernelIfLj28ELj7EENSt9enable_ifIXsr10test_utilsE35device_test_enabled_for_warp_size_vIXT1_EEEvE4typeEPT_S4_S4_,"axG",@progbits,_Z33warp_inclusive_scan_reduce_kernelIfLj28ELj7EENSt9enable_ifIXsr10test_utilsE35device_test_enabled_for_warp_size_vIXT1_EEEvE4typeEPT_S4_S4_,comdat
	.protected	_Z33warp_inclusive_scan_reduce_kernelIfLj28ELj7EENSt9enable_ifIXsr10test_utilsE35device_test_enabled_for_warp_size_vIXT1_EEEvE4typeEPT_S4_S4_ ; -- Begin function _Z33warp_inclusive_scan_reduce_kernelIfLj28ELj7EENSt9enable_ifIXsr10test_utilsE35device_test_enabled_for_warp_size_vIXT1_EEEvE4typeEPT_S4_S4_
	.globl	_Z33warp_inclusive_scan_reduce_kernelIfLj28ELj7EENSt9enable_ifIXsr10test_utilsE35device_test_enabled_for_warp_size_vIXT1_EEEvE4typeEPT_S4_S4_
	.p2align	8
	.type	_Z33warp_inclusive_scan_reduce_kernelIfLj28ELj7EENSt9enable_ifIXsr10test_utilsE35device_test_enabled_for_warp_size_vIXT1_EEEvE4typeEPT_S4_S4_,@function
_Z33warp_inclusive_scan_reduce_kernelIfLj28ELj7EENSt9enable_ifIXsr10test_utilsE35device_test_enabled_for_warp_size_vIXT1_EEEvE4typeEPT_S4_S4_: ; @_Z33warp_inclusive_scan_reduce_kernelIfLj28ELj7EENSt9enable_ifIXsr10test_utilsE35device_test_enabled_for_warp_size_vIXT1_EEEvE4typeEPT_S4_S4_
; %bb.0:
	v_mad_u64_u32 v[1:2], s[0:1], s6, 28, v[0:1]
	s_load_dwordx4 s[0:3], s[4:5], 0x0
	s_load_dwordx2 s[8:9], s[4:5], 0x10
	v_mov_b32_e32 v2, 0
	v_lshlrev_b64 v[2:3], 2, v[1:2]
	v_mul_u32_u24_e32 v6, 0x2493, v0
	s_waitcnt lgkmcnt(0)
	v_mov_b32_e32 v5, s1
	v_add_co_u32_e32 v4, vcc, s0, v2
	v_addc_co_u32_e32 v5, vcc, v5, v3, vcc
	global_load_dword v5, v[4:5], off
	v_mbcnt_lo_u32_b32 v4, -1, 0
	s_mov_b32 s0, 0x24924925
	v_mbcnt_hi_u32_b32 v7, -1, v4
	v_mul_hi_u32 v8, v7, s0
	v_lshrrev_b32_e32 v4, 16, v6
	s_bitcmp1_b32 s6, 0
	s_cselect_b64 s[0:1], -1, 0
	v_mul_u32_u24_e32 v6, 7, v8
	v_sub_u32_e32 v7, v7, v6
	v_lshlrev_b32_e32 v6, 2, v7
	s_and_b64 vcc, exec, s[0:1]
	v_cmp_ne_u32_e64 s[0:1], 0, v7
	v_mad_u32_u24 v6, v4, 28, v6
	s_waitcnt vmcnt(0)
	ds_write_b32 v6, v5
	s_cbranch_vccz .LBB62_14
; %bb.1:
	v_mov_b32_e32 v8, v5
	; wave barrier
	s_and_saveexec_b64 s[4:5], s[0:1]
	s_cbranch_execz .LBB62_3
; %bb.2:
	v_add_u32_e32 v8, -4, v6
	ds_read_b32 v8, v8
	s_waitcnt lgkmcnt(0)
	v_add_f32_e32 v8, v5, v8
.LBB62_3:
	s_or_b64 exec, exec, s[4:5]
	; wave barrier
	s_and_saveexec_b64 s[4:5], s[0:1]
; %bb.4:
	ds_write_b32 v6, v8
; %bb.5:
	s_or_b64 exec, exec, s[4:5]
	v_cmp_lt_u32_e32 vcc, 1, v7
	; wave barrier
	s_and_saveexec_b64 s[4:5], vcc
	s_cbranch_execz .LBB62_7
; %bb.6:
	v_add_u32_e32 v9, -8, v6
	ds_read_b32 v9, v9
	s_waitcnt lgkmcnt(0)
	v_add_f32_e32 v8, v8, v9
.LBB62_7:
	s_or_b64 exec, exec, s[4:5]
	; wave barrier
	s_and_saveexec_b64 s[4:5], vcc
; %bb.8:
	ds_write_b32 v6, v8
; %bb.9:
	s_or_b64 exec, exec, s[4:5]
	v_cmp_lt_u32_e32 vcc, 3, v7
	; wave barrier
	s_and_saveexec_b64 s[4:5], vcc
	s_cbranch_execz .LBB62_11
; %bb.10:
	v_add_u32_e32 v9, -16, v6
	ds_read_b32 v9, v9
	s_waitcnt lgkmcnt(0)
	v_add_f32_e32 v8, v8, v9
.LBB62_11:
	s_or_b64 exec, exec, s[4:5]
	; wave barrier
	s_and_saveexec_b64 s[4:5], vcc
; %bb.12:
	ds_write_b32 v6, v8
; %bb.13:
	s_or_b64 exec, exec, s[4:5]
	; wave barrier
	s_branch .LBB62_28
.LBB62_14:
                                        ; implicit-def: $vgpr8
	s_cbranch_execz .LBB62_28
; %bb.15:
	; wave barrier
	s_and_saveexec_b64 s[4:5], s[0:1]
	s_cbranch_execz .LBB62_17
; %bb.16:
	v_add_u32_e32 v8, -4, v6
	ds_read_b32 v8, v8
	s_waitcnt lgkmcnt(0)
	v_add_f32_e32 v5, v5, v8
.LBB62_17:
	s_or_b64 exec, exec, s[4:5]
	; wave barrier
	s_and_saveexec_b64 s[4:5], s[0:1]
; %bb.18:
	ds_write_b32 v6, v5
; %bb.19:
	s_or_b64 exec, exec, s[4:5]
	v_cmp_lt_u32_e32 vcc, 1, v7
	; wave barrier
	s_and_saveexec_b64 s[0:1], vcc
	s_cbranch_execz .LBB62_21
; %bb.20:
	v_add_u32_e32 v8, -8, v6
	ds_read_b32 v8, v8
	s_waitcnt lgkmcnt(0)
	v_add_f32_e32 v5, v5, v8
.LBB62_21:
	s_or_b64 exec, exec, s[0:1]
	; wave barrier
	s_and_saveexec_b64 s[0:1], vcc
; %bb.22:
	ds_write_b32 v6, v5
; %bb.23:
	s_or_b64 exec, exec, s[0:1]
	v_cmp_lt_u32_e32 vcc, 3, v7
	; wave barrier
	s_and_saveexec_b64 s[0:1], vcc
	s_cbranch_execz .LBB62_25
; %bb.24:
	v_add_u32_e32 v7, -16, v6
	ds_read_b32 v7, v7
	s_waitcnt lgkmcnt(0)
	v_add_f32_e32 v5, v5, v7
.LBB62_25:
	s_or_b64 exec, exec, s[0:1]
	; wave barrier
	s_and_saveexec_b64 s[0:1], vcc
; %bb.26:
	ds_write_b32 v6, v5
; %bb.27:
	s_or_b64 exec, exec, s[0:1]
	v_mov_b32_e32 v8, v5
	; wave barrier
.LBB62_28:
	v_mov_b32_e32 v6, s3
	v_add_co_u32_e32 v2, vcc, s2, v2
	v_addc_co_u32_e32 v3, vcc, v6, v3, vcc
	global_store_dword v[2:3], v8, off
	v_mul_lo_u16_e32 v2, 7, v4
	v_sub_u16_e32 v0, v0, v2
	v_mul_u32_u24_e32 v5, 28, v4
	v_cmp_eq_u16_e32 vcc, 0, v0
	s_and_saveexec_b64 s[0:1], vcc
	s_cbranch_execz .LBB62_30
; %bb.29:
	s_mov_b32 s0, 0x24924925
	v_mul_hi_u32 v0, v1, s0
	ds_read_b32 v2, v5 offset:24
	v_sub_u32_e32 v1, v1, v0
	v_lshrrev_b32_e32 v1, 1, v1
	v_add_u32_e32 v0, v1, v0
	v_and_b32_e32 v0, -4, v0
	s_waitcnt lgkmcnt(0)
	global_store_dword v0, v2, s[8:9]
.LBB62_30:
	s_endpgm
	.section	.rodata,"a",@progbits
	.p2align	6, 0x0
	.amdhsa_kernel _Z33warp_inclusive_scan_reduce_kernelIfLj28ELj7EENSt9enable_ifIXsr10test_utilsE35device_test_enabled_for_warp_size_vIXT1_EEEvE4typeEPT_S4_S4_
		.amdhsa_group_segment_fixed_size 112
		.amdhsa_private_segment_fixed_size 0
		.amdhsa_kernarg_size 24
		.amdhsa_user_sgpr_count 6
		.amdhsa_user_sgpr_private_segment_buffer 1
		.amdhsa_user_sgpr_dispatch_ptr 0
		.amdhsa_user_sgpr_queue_ptr 0
		.amdhsa_user_sgpr_kernarg_segment_ptr 1
		.amdhsa_user_sgpr_dispatch_id 0
		.amdhsa_user_sgpr_flat_scratch_init 0
		.amdhsa_user_sgpr_private_segment_size 0
		.amdhsa_uses_dynamic_stack 0
		.amdhsa_system_sgpr_private_segment_wavefront_offset 0
		.amdhsa_system_sgpr_workgroup_id_x 1
		.amdhsa_system_sgpr_workgroup_id_y 0
		.amdhsa_system_sgpr_workgroup_id_z 0
		.amdhsa_system_sgpr_workgroup_info 0
		.amdhsa_system_vgpr_workitem_id 0
		.amdhsa_next_free_vgpr 10
		.amdhsa_next_free_sgpr 10
		.amdhsa_reserve_vcc 1
		.amdhsa_reserve_flat_scratch 0
		.amdhsa_float_round_mode_32 0
		.amdhsa_float_round_mode_16_64 0
		.amdhsa_float_denorm_mode_32 3
		.amdhsa_float_denorm_mode_16_64 3
		.amdhsa_dx10_clamp 1
		.amdhsa_ieee_mode 1
		.amdhsa_fp16_overflow 0
		.amdhsa_exception_fp_ieee_invalid_op 0
		.amdhsa_exception_fp_denorm_src 0
		.amdhsa_exception_fp_ieee_div_zero 0
		.amdhsa_exception_fp_ieee_overflow 0
		.amdhsa_exception_fp_ieee_underflow 0
		.amdhsa_exception_fp_ieee_inexact 0
		.amdhsa_exception_int_div_zero 0
	.end_amdhsa_kernel
	.section	.text._Z33warp_inclusive_scan_reduce_kernelIfLj28ELj7EENSt9enable_ifIXsr10test_utilsE35device_test_enabled_for_warp_size_vIXT1_EEEvE4typeEPT_S4_S4_,"axG",@progbits,_Z33warp_inclusive_scan_reduce_kernelIfLj28ELj7EENSt9enable_ifIXsr10test_utilsE35device_test_enabled_for_warp_size_vIXT1_EEEvE4typeEPT_S4_S4_,comdat
.Lfunc_end62:
	.size	_Z33warp_inclusive_scan_reduce_kernelIfLj28ELj7EENSt9enable_ifIXsr10test_utilsE35device_test_enabled_for_warp_size_vIXT1_EEEvE4typeEPT_S4_S4_, .Lfunc_end62-_Z33warp_inclusive_scan_reduce_kernelIfLj28ELj7EENSt9enable_ifIXsr10test_utilsE35device_test_enabled_for_warp_size_vIXT1_EEEvE4typeEPT_S4_S4_
                                        ; -- End function
	.set _Z33warp_inclusive_scan_reduce_kernelIfLj28ELj7EENSt9enable_ifIXsr10test_utilsE35device_test_enabled_for_warp_size_vIXT1_EEEvE4typeEPT_S4_S4_.num_vgpr, 10
	.set _Z33warp_inclusive_scan_reduce_kernelIfLj28ELj7EENSt9enable_ifIXsr10test_utilsE35device_test_enabled_for_warp_size_vIXT1_EEEvE4typeEPT_S4_S4_.num_agpr, 0
	.set _Z33warp_inclusive_scan_reduce_kernelIfLj28ELj7EENSt9enable_ifIXsr10test_utilsE35device_test_enabled_for_warp_size_vIXT1_EEEvE4typeEPT_S4_S4_.numbered_sgpr, 10
	.set _Z33warp_inclusive_scan_reduce_kernelIfLj28ELj7EENSt9enable_ifIXsr10test_utilsE35device_test_enabled_for_warp_size_vIXT1_EEEvE4typeEPT_S4_S4_.num_named_barrier, 0
	.set _Z33warp_inclusive_scan_reduce_kernelIfLj28ELj7EENSt9enable_ifIXsr10test_utilsE35device_test_enabled_for_warp_size_vIXT1_EEEvE4typeEPT_S4_S4_.private_seg_size, 0
	.set _Z33warp_inclusive_scan_reduce_kernelIfLj28ELj7EENSt9enable_ifIXsr10test_utilsE35device_test_enabled_for_warp_size_vIXT1_EEEvE4typeEPT_S4_S4_.uses_vcc, 1
	.set _Z33warp_inclusive_scan_reduce_kernelIfLj28ELj7EENSt9enable_ifIXsr10test_utilsE35device_test_enabled_for_warp_size_vIXT1_EEEvE4typeEPT_S4_S4_.uses_flat_scratch, 0
	.set _Z33warp_inclusive_scan_reduce_kernelIfLj28ELj7EENSt9enable_ifIXsr10test_utilsE35device_test_enabled_for_warp_size_vIXT1_EEEvE4typeEPT_S4_S4_.has_dyn_sized_stack, 0
	.set _Z33warp_inclusive_scan_reduce_kernelIfLj28ELj7EENSt9enable_ifIXsr10test_utilsE35device_test_enabled_for_warp_size_vIXT1_EEEvE4typeEPT_S4_S4_.has_recursion, 0
	.set _Z33warp_inclusive_scan_reduce_kernelIfLj28ELj7EENSt9enable_ifIXsr10test_utilsE35device_test_enabled_for_warp_size_vIXT1_EEEvE4typeEPT_S4_S4_.has_indirect_call, 0
	.section	.AMDGPU.csdata,"",@progbits
; Kernel info:
; codeLenInByte = 580
; TotalNumSgprs: 14
; NumVgprs: 10
; ScratchSize: 0
; MemoryBound: 0
; FloatMode: 240
; IeeeMode: 1
; LDSByteSize: 112 bytes/workgroup (compile time only)
; SGPRBlocks: 1
; VGPRBlocks: 2
; NumSGPRsForWavesPerEU: 14
; NumVGPRsForWavesPerEU: 10
; Occupancy: 10
; WaveLimiterHint : 0
; COMPUTE_PGM_RSRC2:SCRATCH_EN: 0
; COMPUTE_PGM_RSRC2:USER_SGPR: 6
; COMPUTE_PGM_RSRC2:TRAP_HANDLER: 0
; COMPUTE_PGM_RSRC2:TGID_X_EN: 1
; COMPUTE_PGM_RSRC2:TGID_Y_EN: 0
; COMPUTE_PGM_RSRC2:TGID_Z_EN: 0
; COMPUTE_PGM_RSRC2:TIDIG_COMP_CNT: 0
	.section	.text._Z33warp_inclusive_scan_reduce_kernelIfLj63ELj7EENSt9enable_ifIXsr10test_utilsE35device_test_enabled_for_warp_size_vIXT1_EEEvE4typeEPT_S4_S4_,"axG",@progbits,_Z33warp_inclusive_scan_reduce_kernelIfLj63ELj7EENSt9enable_ifIXsr10test_utilsE35device_test_enabled_for_warp_size_vIXT1_EEEvE4typeEPT_S4_S4_,comdat
	.protected	_Z33warp_inclusive_scan_reduce_kernelIfLj63ELj7EENSt9enable_ifIXsr10test_utilsE35device_test_enabled_for_warp_size_vIXT1_EEEvE4typeEPT_S4_S4_ ; -- Begin function _Z33warp_inclusive_scan_reduce_kernelIfLj63ELj7EENSt9enable_ifIXsr10test_utilsE35device_test_enabled_for_warp_size_vIXT1_EEEvE4typeEPT_S4_S4_
	.globl	_Z33warp_inclusive_scan_reduce_kernelIfLj63ELj7EENSt9enable_ifIXsr10test_utilsE35device_test_enabled_for_warp_size_vIXT1_EEEvE4typeEPT_S4_S4_
	.p2align	8
	.type	_Z33warp_inclusive_scan_reduce_kernelIfLj63ELj7EENSt9enable_ifIXsr10test_utilsE35device_test_enabled_for_warp_size_vIXT1_EEEvE4typeEPT_S4_S4_,@function
_Z33warp_inclusive_scan_reduce_kernelIfLj63ELj7EENSt9enable_ifIXsr10test_utilsE35device_test_enabled_for_warp_size_vIXT1_EEEvE4typeEPT_S4_S4_: ; @_Z33warp_inclusive_scan_reduce_kernelIfLj63ELj7EENSt9enable_ifIXsr10test_utilsE35device_test_enabled_for_warp_size_vIXT1_EEEvE4typeEPT_S4_S4_
; %bb.0:
	v_mad_u64_u32 v[1:2], s[0:1], s6, 63, v[0:1]
	s_load_dwordx4 s[0:3], s[4:5], 0x0
	s_load_dwordx2 s[8:9], s[4:5], 0x10
	v_mov_b32_e32 v2, 0
	v_lshlrev_b64 v[2:3], 2, v[1:2]
	v_mul_u32_u24_e32 v6, 0x2493, v0
	s_waitcnt lgkmcnt(0)
	v_mov_b32_e32 v5, s1
	v_add_co_u32_e32 v4, vcc, s0, v2
	v_addc_co_u32_e32 v5, vcc, v5, v3, vcc
	global_load_dword v5, v[4:5], off
	v_mbcnt_lo_u32_b32 v4, -1, 0
	s_mov_b32 s0, 0x24924925
	v_mbcnt_hi_u32_b32 v7, -1, v4
	v_mul_hi_u32 v8, v7, s0
	v_lshrrev_b32_e32 v4, 16, v6
	s_bitcmp1_b32 s6, 0
	s_cselect_b64 s[0:1], -1, 0
	v_mul_u32_u24_e32 v6, 7, v8
	v_sub_u32_e32 v7, v7, v6
	v_lshlrev_b32_e32 v6, 2, v7
	s_and_b64 vcc, exec, s[0:1]
	v_cmp_ne_u32_e64 s[0:1], 0, v7
	v_mad_u32_u24 v6, v4, 28, v6
	s_waitcnt vmcnt(0)
	ds_write_b32 v6, v5
	s_cbranch_vccz .LBB63_14
; %bb.1:
	v_mov_b32_e32 v8, v5
	; wave barrier
	s_and_saveexec_b64 s[4:5], s[0:1]
	s_cbranch_execz .LBB63_3
; %bb.2:
	v_add_u32_e32 v8, -4, v6
	ds_read_b32 v8, v8
	s_waitcnt lgkmcnt(0)
	v_add_f32_e32 v8, v5, v8
.LBB63_3:
	s_or_b64 exec, exec, s[4:5]
	; wave barrier
	s_and_saveexec_b64 s[4:5], s[0:1]
; %bb.4:
	ds_write_b32 v6, v8
; %bb.5:
	s_or_b64 exec, exec, s[4:5]
	v_cmp_lt_u32_e32 vcc, 1, v7
	; wave barrier
	s_and_saveexec_b64 s[4:5], vcc
	s_cbranch_execz .LBB63_7
; %bb.6:
	v_add_u32_e32 v9, -8, v6
	ds_read_b32 v9, v9
	s_waitcnt lgkmcnt(0)
	v_add_f32_e32 v8, v8, v9
.LBB63_7:
	s_or_b64 exec, exec, s[4:5]
	; wave barrier
	s_and_saveexec_b64 s[4:5], vcc
; %bb.8:
	ds_write_b32 v6, v8
; %bb.9:
	s_or_b64 exec, exec, s[4:5]
	v_cmp_lt_u32_e32 vcc, 3, v7
	; wave barrier
	s_and_saveexec_b64 s[4:5], vcc
	s_cbranch_execz .LBB63_11
; %bb.10:
	v_add_u32_e32 v9, -16, v6
	ds_read_b32 v9, v9
	s_waitcnt lgkmcnt(0)
	v_add_f32_e32 v8, v8, v9
.LBB63_11:
	s_or_b64 exec, exec, s[4:5]
	; wave barrier
	s_and_saveexec_b64 s[4:5], vcc
; %bb.12:
	ds_write_b32 v6, v8
; %bb.13:
	s_or_b64 exec, exec, s[4:5]
	; wave barrier
	s_branch .LBB63_28
.LBB63_14:
                                        ; implicit-def: $vgpr8
	s_cbranch_execz .LBB63_28
; %bb.15:
	; wave barrier
	s_and_saveexec_b64 s[4:5], s[0:1]
	s_cbranch_execz .LBB63_17
; %bb.16:
	v_add_u32_e32 v8, -4, v6
	ds_read_b32 v8, v8
	s_waitcnt lgkmcnt(0)
	v_add_f32_e32 v5, v5, v8
.LBB63_17:
	s_or_b64 exec, exec, s[4:5]
	; wave barrier
	s_and_saveexec_b64 s[4:5], s[0:1]
; %bb.18:
	ds_write_b32 v6, v5
; %bb.19:
	s_or_b64 exec, exec, s[4:5]
	v_cmp_lt_u32_e32 vcc, 1, v7
	; wave barrier
	s_and_saveexec_b64 s[0:1], vcc
	s_cbranch_execz .LBB63_21
; %bb.20:
	v_add_u32_e32 v8, -8, v6
	ds_read_b32 v8, v8
	s_waitcnt lgkmcnt(0)
	v_add_f32_e32 v5, v5, v8
.LBB63_21:
	s_or_b64 exec, exec, s[0:1]
	; wave barrier
	s_and_saveexec_b64 s[0:1], vcc
; %bb.22:
	ds_write_b32 v6, v5
; %bb.23:
	s_or_b64 exec, exec, s[0:1]
	v_cmp_lt_u32_e32 vcc, 3, v7
	; wave barrier
	s_and_saveexec_b64 s[0:1], vcc
	s_cbranch_execz .LBB63_25
; %bb.24:
	v_add_u32_e32 v7, -16, v6
	ds_read_b32 v7, v7
	s_waitcnt lgkmcnt(0)
	v_add_f32_e32 v5, v5, v7
.LBB63_25:
	s_or_b64 exec, exec, s[0:1]
	; wave barrier
	s_and_saveexec_b64 s[0:1], vcc
; %bb.26:
	ds_write_b32 v6, v5
; %bb.27:
	s_or_b64 exec, exec, s[0:1]
	v_mov_b32_e32 v8, v5
	; wave barrier
.LBB63_28:
	v_mov_b32_e32 v6, s3
	v_add_co_u32_e32 v2, vcc, s2, v2
	v_addc_co_u32_e32 v3, vcc, v6, v3, vcc
	global_store_dword v[2:3], v8, off
	v_mul_lo_u16_e32 v2, 7, v4
	v_sub_u16_e32 v0, v0, v2
	v_mul_u32_u24_e32 v5, 28, v4
	v_cmp_eq_u16_e32 vcc, 0, v0
	s_and_saveexec_b64 s[0:1], vcc
	s_cbranch_execz .LBB63_30
; %bb.29:
	s_mov_b32 s0, 0x24924925
	v_mul_hi_u32 v0, v1, s0
	ds_read_b32 v2, v5 offset:24
	v_sub_u32_e32 v1, v1, v0
	v_lshrrev_b32_e32 v1, 1, v1
	v_add_u32_e32 v0, v1, v0
	v_and_b32_e32 v0, -4, v0
	s_waitcnt lgkmcnt(0)
	global_store_dword v0, v2, s[8:9]
.LBB63_30:
	s_endpgm
	.section	.rodata,"a",@progbits
	.p2align	6, 0x0
	.amdhsa_kernel _Z33warp_inclusive_scan_reduce_kernelIfLj63ELj7EENSt9enable_ifIXsr10test_utilsE35device_test_enabled_for_warp_size_vIXT1_EEEvE4typeEPT_S4_S4_
		.amdhsa_group_segment_fixed_size 252
		.amdhsa_private_segment_fixed_size 0
		.amdhsa_kernarg_size 24
		.amdhsa_user_sgpr_count 6
		.amdhsa_user_sgpr_private_segment_buffer 1
		.amdhsa_user_sgpr_dispatch_ptr 0
		.amdhsa_user_sgpr_queue_ptr 0
		.amdhsa_user_sgpr_kernarg_segment_ptr 1
		.amdhsa_user_sgpr_dispatch_id 0
		.amdhsa_user_sgpr_flat_scratch_init 0
		.amdhsa_user_sgpr_private_segment_size 0
		.amdhsa_uses_dynamic_stack 0
		.amdhsa_system_sgpr_private_segment_wavefront_offset 0
		.amdhsa_system_sgpr_workgroup_id_x 1
		.amdhsa_system_sgpr_workgroup_id_y 0
		.amdhsa_system_sgpr_workgroup_id_z 0
		.amdhsa_system_sgpr_workgroup_info 0
		.amdhsa_system_vgpr_workitem_id 0
		.amdhsa_next_free_vgpr 10
		.amdhsa_next_free_sgpr 10
		.amdhsa_reserve_vcc 1
		.amdhsa_reserve_flat_scratch 0
		.amdhsa_float_round_mode_32 0
		.amdhsa_float_round_mode_16_64 0
		.amdhsa_float_denorm_mode_32 3
		.amdhsa_float_denorm_mode_16_64 3
		.amdhsa_dx10_clamp 1
		.amdhsa_ieee_mode 1
		.amdhsa_fp16_overflow 0
		.amdhsa_exception_fp_ieee_invalid_op 0
		.amdhsa_exception_fp_denorm_src 0
		.amdhsa_exception_fp_ieee_div_zero 0
		.amdhsa_exception_fp_ieee_overflow 0
		.amdhsa_exception_fp_ieee_underflow 0
		.amdhsa_exception_fp_ieee_inexact 0
		.amdhsa_exception_int_div_zero 0
	.end_amdhsa_kernel
	.section	.text._Z33warp_inclusive_scan_reduce_kernelIfLj63ELj7EENSt9enable_ifIXsr10test_utilsE35device_test_enabled_for_warp_size_vIXT1_EEEvE4typeEPT_S4_S4_,"axG",@progbits,_Z33warp_inclusive_scan_reduce_kernelIfLj63ELj7EENSt9enable_ifIXsr10test_utilsE35device_test_enabled_for_warp_size_vIXT1_EEEvE4typeEPT_S4_S4_,comdat
.Lfunc_end63:
	.size	_Z33warp_inclusive_scan_reduce_kernelIfLj63ELj7EENSt9enable_ifIXsr10test_utilsE35device_test_enabled_for_warp_size_vIXT1_EEEvE4typeEPT_S4_S4_, .Lfunc_end63-_Z33warp_inclusive_scan_reduce_kernelIfLj63ELj7EENSt9enable_ifIXsr10test_utilsE35device_test_enabled_for_warp_size_vIXT1_EEEvE4typeEPT_S4_S4_
                                        ; -- End function
	.set _Z33warp_inclusive_scan_reduce_kernelIfLj63ELj7EENSt9enable_ifIXsr10test_utilsE35device_test_enabled_for_warp_size_vIXT1_EEEvE4typeEPT_S4_S4_.num_vgpr, 10
	.set _Z33warp_inclusive_scan_reduce_kernelIfLj63ELj7EENSt9enable_ifIXsr10test_utilsE35device_test_enabled_for_warp_size_vIXT1_EEEvE4typeEPT_S4_S4_.num_agpr, 0
	.set _Z33warp_inclusive_scan_reduce_kernelIfLj63ELj7EENSt9enable_ifIXsr10test_utilsE35device_test_enabled_for_warp_size_vIXT1_EEEvE4typeEPT_S4_S4_.numbered_sgpr, 10
	.set _Z33warp_inclusive_scan_reduce_kernelIfLj63ELj7EENSt9enable_ifIXsr10test_utilsE35device_test_enabled_for_warp_size_vIXT1_EEEvE4typeEPT_S4_S4_.num_named_barrier, 0
	.set _Z33warp_inclusive_scan_reduce_kernelIfLj63ELj7EENSt9enable_ifIXsr10test_utilsE35device_test_enabled_for_warp_size_vIXT1_EEEvE4typeEPT_S4_S4_.private_seg_size, 0
	.set _Z33warp_inclusive_scan_reduce_kernelIfLj63ELj7EENSt9enable_ifIXsr10test_utilsE35device_test_enabled_for_warp_size_vIXT1_EEEvE4typeEPT_S4_S4_.uses_vcc, 1
	.set _Z33warp_inclusive_scan_reduce_kernelIfLj63ELj7EENSt9enable_ifIXsr10test_utilsE35device_test_enabled_for_warp_size_vIXT1_EEEvE4typeEPT_S4_S4_.uses_flat_scratch, 0
	.set _Z33warp_inclusive_scan_reduce_kernelIfLj63ELj7EENSt9enable_ifIXsr10test_utilsE35device_test_enabled_for_warp_size_vIXT1_EEEvE4typeEPT_S4_S4_.has_dyn_sized_stack, 0
	.set _Z33warp_inclusive_scan_reduce_kernelIfLj63ELj7EENSt9enable_ifIXsr10test_utilsE35device_test_enabled_for_warp_size_vIXT1_EEEvE4typeEPT_S4_S4_.has_recursion, 0
	.set _Z33warp_inclusive_scan_reduce_kernelIfLj63ELj7EENSt9enable_ifIXsr10test_utilsE35device_test_enabled_for_warp_size_vIXT1_EEEvE4typeEPT_S4_S4_.has_indirect_call, 0
	.section	.AMDGPU.csdata,"",@progbits
; Kernel info:
; codeLenInByte = 580
; TotalNumSgprs: 14
; NumVgprs: 10
; ScratchSize: 0
; MemoryBound: 0
; FloatMode: 240
; IeeeMode: 1
; LDSByteSize: 252 bytes/workgroup (compile time only)
; SGPRBlocks: 1
; VGPRBlocks: 2
; NumSGPRsForWavesPerEU: 14
; NumVGPRsForWavesPerEU: 10
; Occupancy: 10
; WaveLimiterHint : 0
; COMPUTE_PGM_RSRC2:SCRATCH_EN: 0
; COMPUTE_PGM_RSRC2:USER_SGPR: 6
; COMPUTE_PGM_RSRC2:TRAP_HANDLER: 0
; COMPUTE_PGM_RSRC2:TGID_X_EN: 1
; COMPUTE_PGM_RSRC2:TGID_Y_EN: 0
; COMPUTE_PGM_RSRC2:TGID_Z_EN: 0
; COMPUTE_PGM_RSRC2:TIDIG_COMP_CNT: 0
	.section	.text._Z33warp_inclusive_scan_reduce_kernelIfLj30ELj3EENSt9enable_ifIXsr10test_utilsE35device_test_enabled_for_warp_size_vIXT1_EEEvE4typeEPT_S4_S4_,"axG",@progbits,_Z33warp_inclusive_scan_reduce_kernelIfLj30ELj3EENSt9enable_ifIXsr10test_utilsE35device_test_enabled_for_warp_size_vIXT1_EEEvE4typeEPT_S4_S4_,comdat
	.protected	_Z33warp_inclusive_scan_reduce_kernelIfLj30ELj3EENSt9enable_ifIXsr10test_utilsE35device_test_enabled_for_warp_size_vIXT1_EEEvE4typeEPT_S4_S4_ ; -- Begin function _Z33warp_inclusive_scan_reduce_kernelIfLj30ELj3EENSt9enable_ifIXsr10test_utilsE35device_test_enabled_for_warp_size_vIXT1_EEEvE4typeEPT_S4_S4_
	.globl	_Z33warp_inclusive_scan_reduce_kernelIfLj30ELj3EENSt9enable_ifIXsr10test_utilsE35device_test_enabled_for_warp_size_vIXT1_EEEvE4typeEPT_S4_S4_
	.p2align	8
	.type	_Z33warp_inclusive_scan_reduce_kernelIfLj30ELj3EENSt9enable_ifIXsr10test_utilsE35device_test_enabled_for_warp_size_vIXT1_EEEvE4typeEPT_S4_S4_,@function
_Z33warp_inclusive_scan_reduce_kernelIfLj30ELj3EENSt9enable_ifIXsr10test_utilsE35device_test_enabled_for_warp_size_vIXT1_EEEvE4typeEPT_S4_S4_: ; @_Z33warp_inclusive_scan_reduce_kernelIfLj30ELj3EENSt9enable_ifIXsr10test_utilsE35device_test_enabled_for_warp_size_vIXT1_EEEvE4typeEPT_S4_S4_
; %bb.0:
	v_mad_u64_u32 v[1:2], s[0:1], s6, 30, v[0:1]
	s_load_dwordx4 s[0:3], s[4:5], 0x0
	s_load_dwordx2 s[8:9], s[4:5], 0x10
	v_mov_b32_e32 v2, 0
	v_lshlrev_b64 v[2:3], 2, v[1:2]
	s_bitcmp1_b32 s6, 0
	s_waitcnt lgkmcnt(0)
	v_mov_b32_e32 v5, s1
	v_add_co_u32_e32 v4, vcc, s0, v2
	v_addc_co_u32_e32 v5, vcc, v5, v3, vcc
	global_load_dword v6, v[4:5], off
	v_mbcnt_lo_u32_b32 v4, -1, 0
	s_mov_b32 s0, 0x55555556
	v_mbcnt_hi_u32_b32 v7, -1, v4
	v_mul_hi_u32 v8, v7, s0
	v_mul_u32_u24_e32 v5, 0x5556, v0
	v_lshrrev_b32_e32 v5, 16, v5
	s_cselect_b64 s[0:1], -1, 0
	v_mul_u32_u24_e32 v8, 3, v8
	v_sub_u32_e32 v8, v7, v8
	v_lshlrev_b32_e32 v7, 2, v8
	v_mul_u32_u24_e32 v4, 12, v5
	s_and_b64 vcc, exec, s[0:1]
	v_cmp_ne_u32_e64 s[0:1], 0, v8
	v_mad_u32_u24 v7, v5, 12, v7
	s_waitcnt vmcnt(0)
	ds_write_b32 v7, v6
	s_cbranch_vccz .LBB64_8
; %bb.1:
	v_mov_b32_e32 v9, v6
	; wave barrier
	s_and_saveexec_b64 s[4:5], s[0:1]
	s_cbranch_execz .LBB64_3
; %bb.2:
	v_add_u32_e32 v9, -4, v7
	ds_read_b32 v9, v9
	s_waitcnt lgkmcnt(0)
	v_add_f32_e32 v9, v6, v9
.LBB64_3:
	s_or_b64 exec, exec, s[4:5]
	; wave barrier
	s_and_saveexec_b64 s[4:5], s[0:1]
; %bb.4:
	ds_write_b32 v7, v9
; %bb.5:
	s_or_b64 exec, exec, s[4:5]
	; wave barrier
	ds_read_b32 v10, v4
	v_cmp_lt_u32_e32 vcc, 1, v8
	; wave barrier
	s_and_saveexec_b64 s[4:5], vcc
	s_cbranch_execz .LBB64_7
; %bb.6:
	s_waitcnt lgkmcnt(0)
	v_add_f32_e32 v9, v9, v10
	ds_write_b32 v7, v9
.LBB64_7:
	s_or_b64 exec, exec, s[4:5]
	; wave barrier
	s_branch .LBB64_16
.LBB64_8:
                                        ; implicit-def: $vgpr9
	s_cbranch_execz .LBB64_16
; %bb.9:
	; wave barrier
	s_and_saveexec_b64 s[4:5], s[0:1]
	s_cbranch_execz .LBB64_11
; %bb.10:
	v_add_u32_e32 v9, -4, v7
	ds_read_b32 v9, v9
	s_waitcnt lgkmcnt(0)
	v_add_f32_e32 v6, v6, v9
.LBB64_11:
	s_or_b64 exec, exec, s[4:5]
	; wave barrier
	s_and_saveexec_b64 s[4:5], s[0:1]
; %bb.12:
	ds_write_b32 v7, v6
; %bb.13:
	s_or_b64 exec, exec, s[4:5]
	; wave barrier
	ds_read_b32 v9, v4
	v_cmp_lt_u32_e32 vcc, 1, v8
	; wave barrier
	s_and_saveexec_b64 s[0:1], vcc
	s_cbranch_execz .LBB64_15
; %bb.14:
	s_waitcnt lgkmcnt(0)
	v_add_f32_e32 v6, v6, v9
	ds_write_b32 v7, v6
.LBB64_15:
	s_or_b64 exec, exec, s[0:1]
	; wave barrier
	s_waitcnt lgkmcnt(0)
	v_mov_b32_e32 v9, v6
.LBB64_16:
	v_mov_b32_e32 v6, s3
	v_add_co_u32_e32 v2, vcc, s2, v2
	v_addc_co_u32_e32 v3, vcc, v6, v3, vcc
	global_store_dword v[2:3], v9, off
	v_mul_lo_u16_e32 v2, 3, v5
	v_sub_u16_e32 v0, v0, v2
	v_cmp_eq_u16_e32 vcc, 0, v0
	s_and_saveexec_b64 s[0:1], vcc
	s_cbranch_execz .LBB64_18
; %bb.17:
	s_mov_b32 s0, 0xaaaaaaab
	v_mul_hi_u32 v0, v1, s0
	ds_read_b32 v2, v4 offset:8
	v_mov_b32_e32 v1, 0
	v_mov_b32_e32 v3, s9
	v_lshrrev_b32_e32 v0, 1, v0
	v_lshlrev_b64 v[0:1], 2, v[0:1]
	v_add_co_u32_e32 v0, vcc, s8, v0
	v_addc_co_u32_e32 v1, vcc, v3, v1, vcc
	s_waitcnt lgkmcnt(0)
	global_store_dword v[0:1], v2, off
.LBB64_18:
	s_endpgm
	.section	.rodata,"a",@progbits
	.p2align	6, 0x0
	.amdhsa_kernel _Z33warp_inclusive_scan_reduce_kernelIfLj30ELj3EENSt9enable_ifIXsr10test_utilsE35device_test_enabled_for_warp_size_vIXT1_EEEvE4typeEPT_S4_S4_
		.amdhsa_group_segment_fixed_size 120
		.amdhsa_private_segment_fixed_size 0
		.amdhsa_kernarg_size 24
		.amdhsa_user_sgpr_count 6
		.amdhsa_user_sgpr_private_segment_buffer 1
		.amdhsa_user_sgpr_dispatch_ptr 0
		.amdhsa_user_sgpr_queue_ptr 0
		.amdhsa_user_sgpr_kernarg_segment_ptr 1
		.amdhsa_user_sgpr_dispatch_id 0
		.amdhsa_user_sgpr_flat_scratch_init 0
		.amdhsa_user_sgpr_private_segment_size 0
		.amdhsa_uses_dynamic_stack 0
		.amdhsa_system_sgpr_private_segment_wavefront_offset 0
		.amdhsa_system_sgpr_workgroup_id_x 1
		.amdhsa_system_sgpr_workgroup_id_y 0
		.amdhsa_system_sgpr_workgroup_id_z 0
		.amdhsa_system_sgpr_workgroup_info 0
		.amdhsa_system_vgpr_workitem_id 0
		.amdhsa_next_free_vgpr 11
		.amdhsa_next_free_sgpr 10
		.amdhsa_reserve_vcc 1
		.amdhsa_reserve_flat_scratch 0
		.amdhsa_float_round_mode_32 0
		.amdhsa_float_round_mode_16_64 0
		.amdhsa_float_denorm_mode_32 3
		.amdhsa_float_denorm_mode_16_64 3
		.amdhsa_dx10_clamp 1
		.amdhsa_ieee_mode 1
		.amdhsa_fp16_overflow 0
		.amdhsa_exception_fp_ieee_invalid_op 0
		.amdhsa_exception_fp_denorm_src 0
		.amdhsa_exception_fp_ieee_div_zero 0
		.amdhsa_exception_fp_ieee_overflow 0
		.amdhsa_exception_fp_ieee_underflow 0
		.amdhsa_exception_fp_ieee_inexact 0
		.amdhsa_exception_int_div_zero 0
	.end_amdhsa_kernel
	.section	.text._Z33warp_inclusive_scan_reduce_kernelIfLj30ELj3EENSt9enable_ifIXsr10test_utilsE35device_test_enabled_for_warp_size_vIXT1_EEEvE4typeEPT_S4_S4_,"axG",@progbits,_Z33warp_inclusive_scan_reduce_kernelIfLj30ELj3EENSt9enable_ifIXsr10test_utilsE35device_test_enabled_for_warp_size_vIXT1_EEEvE4typeEPT_S4_S4_,comdat
.Lfunc_end64:
	.size	_Z33warp_inclusive_scan_reduce_kernelIfLj30ELj3EENSt9enable_ifIXsr10test_utilsE35device_test_enabled_for_warp_size_vIXT1_EEEvE4typeEPT_S4_S4_, .Lfunc_end64-_Z33warp_inclusive_scan_reduce_kernelIfLj30ELj3EENSt9enable_ifIXsr10test_utilsE35device_test_enabled_for_warp_size_vIXT1_EEEvE4typeEPT_S4_S4_
                                        ; -- End function
	.set _Z33warp_inclusive_scan_reduce_kernelIfLj30ELj3EENSt9enable_ifIXsr10test_utilsE35device_test_enabled_for_warp_size_vIXT1_EEEvE4typeEPT_S4_S4_.num_vgpr, 11
	.set _Z33warp_inclusive_scan_reduce_kernelIfLj30ELj3EENSt9enable_ifIXsr10test_utilsE35device_test_enabled_for_warp_size_vIXT1_EEEvE4typeEPT_S4_S4_.num_agpr, 0
	.set _Z33warp_inclusive_scan_reduce_kernelIfLj30ELj3EENSt9enable_ifIXsr10test_utilsE35device_test_enabled_for_warp_size_vIXT1_EEEvE4typeEPT_S4_S4_.numbered_sgpr, 10
	.set _Z33warp_inclusive_scan_reduce_kernelIfLj30ELj3EENSt9enable_ifIXsr10test_utilsE35device_test_enabled_for_warp_size_vIXT1_EEEvE4typeEPT_S4_S4_.num_named_barrier, 0
	.set _Z33warp_inclusive_scan_reduce_kernelIfLj30ELj3EENSt9enable_ifIXsr10test_utilsE35device_test_enabled_for_warp_size_vIXT1_EEEvE4typeEPT_S4_S4_.private_seg_size, 0
	.set _Z33warp_inclusive_scan_reduce_kernelIfLj30ELj3EENSt9enable_ifIXsr10test_utilsE35device_test_enabled_for_warp_size_vIXT1_EEEvE4typeEPT_S4_S4_.uses_vcc, 1
	.set _Z33warp_inclusive_scan_reduce_kernelIfLj30ELj3EENSt9enable_ifIXsr10test_utilsE35device_test_enabled_for_warp_size_vIXT1_EEEvE4typeEPT_S4_S4_.uses_flat_scratch, 0
	.set _Z33warp_inclusive_scan_reduce_kernelIfLj30ELj3EENSt9enable_ifIXsr10test_utilsE35device_test_enabled_for_warp_size_vIXT1_EEEvE4typeEPT_S4_S4_.has_dyn_sized_stack, 0
	.set _Z33warp_inclusive_scan_reduce_kernelIfLj30ELj3EENSt9enable_ifIXsr10test_utilsE35device_test_enabled_for_warp_size_vIXT1_EEEvE4typeEPT_S4_S4_.has_recursion, 0
	.set _Z33warp_inclusive_scan_reduce_kernelIfLj30ELj3EENSt9enable_ifIXsr10test_utilsE35device_test_enabled_for_warp_size_vIXT1_EEEvE4typeEPT_S4_S4_.has_indirect_call, 0
	.section	.AMDGPU.csdata,"",@progbits
; Kernel info:
; codeLenInByte = 468
; TotalNumSgprs: 14
; NumVgprs: 11
; ScratchSize: 0
; MemoryBound: 0
; FloatMode: 240
; IeeeMode: 1
; LDSByteSize: 120 bytes/workgroup (compile time only)
; SGPRBlocks: 1
; VGPRBlocks: 2
; NumSGPRsForWavesPerEU: 14
; NumVGPRsForWavesPerEU: 11
; Occupancy: 10
; WaveLimiterHint : 0
; COMPUTE_PGM_RSRC2:SCRATCH_EN: 0
; COMPUTE_PGM_RSRC2:USER_SGPR: 6
; COMPUTE_PGM_RSRC2:TRAP_HANDLER: 0
; COMPUTE_PGM_RSRC2:TGID_X_EN: 1
; COMPUTE_PGM_RSRC2:TGID_Y_EN: 0
; COMPUTE_PGM_RSRC2:TGID_Z_EN: 0
; COMPUTE_PGM_RSRC2:TIDIG_COMP_CNT: 0
	.section	.text._Z33warp_inclusive_scan_reduce_kernelIfLj63ELj3EENSt9enable_ifIXsr10test_utilsE35device_test_enabled_for_warp_size_vIXT1_EEEvE4typeEPT_S4_S4_,"axG",@progbits,_Z33warp_inclusive_scan_reduce_kernelIfLj63ELj3EENSt9enable_ifIXsr10test_utilsE35device_test_enabled_for_warp_size_vIXT1_EEEvE4typeEPT_S4_S4_,comdat
	.protected	_Z33warp_inclusive_scan_reduce_kernelIfLj63ELj3EENSt9enable_ifIXsr10test_utilsE35device_test_enabled_for_warp_size_vIXT1_EEEvE4typeEPT_S4_S4_ ; -- Begin function _Z33warp_inclusive_scan_reduce_kernelIfLj63ELj3EENSt9enable_ifIXsr10test_utilsE35device_test_enabled_for_warp_size_vIXT1_EEEvE4typeEPT_S4_S4_
	.globl	_Z33warp_inclusive_scan_reduce_kernelIfLj63ELj3EENSt9enable_ifIXsr10test_utilsE35device_test_enabled_for_warp_size_vIXT1_EEEvE4typeEPT_S4_S4_
	.p2align	8
	.type	_Z33warp_inclusive_scan_reduce_kernelIfLj63ELj3EENSt9enable_ifIXsr10test_utilsE35device_test_enabled_for_warp_size_vIXT1_EEEvE4typeEPT_S4_S4_,@function
_Z33warp_inclusive_scan_reduce_kernelIfLj63ELj3EENSt9enable_ifIXsr10test_utilsE35device_test_enabled_for_warp_size_vIXT1_EEEvE4typeEPT_S4_S4_: ; @_Z33warp_inclusive_scan_reduce_kernelIfLj63ELj3EENSt9enable_ifIXsr10test_utilsE35device_test_enabled_for_warp_size_vIXT1_EEEvE4typeEPT_S4_S4_
; %bb.0:
	v_mad_u64_u32 v[1:2], s[0:1], s6, 63, v[0:1]
	s_load_dwordx4 s[0:3], s[4:5], 0x0
	s_load_dwordx2 s[8:9], s[4:5], 0x10
	v_mov_b32_e32 v2, 0
	v_lshlrev_b64 v[2:3], 2, v[1:2]
	s_bitcmp1_b32 s6, 0
	s_waitcnt lgkmcnt(0)
	v_mov_b32_e32 v5, s1
	v_add_co_u32_e32 v4, vcc, s0, v2
	v_addc_co_u32_e32 v5, vcc, v5, v3, vcc
	global_load_dword v6, v[4:5], off
	v_mbcnt_lo_u32_b32 v4, -1, 0
	s_mov_b32 s0, 0x55555556
	v_mbcnt_hi_u32_b32 v7, -1, v4
	v_mul_hi_u32 v8, v7, s0
	v_mul_u32_u24_e32 v5, 0x5556, v0
	v_lshrrev_b32_e32 v5, 16, v5
	s_cselect_b64 s[0:1], -1, 0
	v_mul_u32_u24_e32 v8, 3, v8
	v_sub_u32_e32 v8, v7, v8
	v_lshlrev_b32_e32 v7, 2, v8
	v_mul_u32_u24_e32 v4, 12, v5
	s_and_b64 vcc, exec, s[0:1]
	v_cmp_ne_u32_e64 s[0:1], 0, v8
	v_mad_u32_u24 v7, v5, 12, v7
	s_waitcnt vmcnt(0)
	ds_write_b32 v7, v6
	s_cbranch_vccz .LBB65_8
; %bb.1:
	v_mov_b32_e32 v9, v6
	; wave barrier
	s_and_saveexec_b64 s[4:5], s[0:1]
	s_cbranch_execz .LBB65_3
; %bb.2:
	v_add_u32_e32 v9, -4, v7
	ds_read_b32 v9, v9
	s_waitcnt lgkmcnt(0)
	v_add_f32_e32 v9, v6, v9
.LBB65_3:
	s_or_b64 exec, exec, s[4:5]
	; wave barrier
	s_and_saveexec_b64 s[4:5], s[0:1]
; %bb.4:
	ds_write_b32 v7, v9
; %bb.5:
	s_or_b64 exec, exec, s[4:5]
	; wave barrier
	ds_read_b32 v10, v4
	v_cmp_lt_u32_e32 vcc, 1, v8
	; wave barrier
	s_and_saveexec_b64 s[4:5], vcc
	s_cbranch_execz .LBB65_7
; %bb.6:
	s_waitcnt lgkmcnt(0)
	v_add_f32_e32 v9, v9, v10
	ds_write_b32 v7, v9
.LBB65_7:
	s_or_b64 exec, exec, s[4:5]
	; wave barrier
	s_branch .LBB65_16
.LBB65_8:
                                        ; implicit-def: $vgpr9
	s_cbranch_execz .LBB65_16
; %bb.9:
	; wave barrier
	s_and_saveexec_b64 s[4:5], s[0:1]
	s_cbranch_execz .LBB65_11
; %bb.10:
	v_add_u32_e32 v9, -4, v7
	ds_read_b32 v9, v9
	s_waitcnt lgkmcnt(0)
	v_add_f32_e32 v6, v6, v9
.LBB65_11:
	s_or_b64 exec, exec, s[4:5]
	; wave barrier
	s_and_saveexec_b64 s[4:5], s[0:1]
; %bb.12:
	ds_write_b32 v7, v6
; %bb.13:
	s_or_b64 exec, exec, s[4:5]
	; wave barrier
	ds_read_b32 v9, v4
	v_cmp_lt_u32_e32 vcc, 1, v8
	; wave barrier
	s_and_saveexec_b64 s[0:1], vcc
	s_cbranch_execz .LBB65_15
; %bb.14:
	s_waitcnt lgkmcnt(0)
	v_add_f32_e32 v6, v6, v9
	ds_write_b32 v7, v6
.LBB65_15:
	s_or_b64 exec, exec, s[0:1]
	; wave barrier
	s_waitcnt lgkmcnt(0)
	v_mov_b32_e32 v9, v6
.LBB65_16:
	v_mov_b32_e32 v6, s3
	v_add_co_u32_e32 v2, vcc, s2, v2
	v_addc_co_u32_e32 v3, vcc, v6, v3, vcc
	global_store_dword v[2:3], v9, off
	v_mul_lo_u16_e32 v2, 3, v5
	v_sub_u16_e32 v0, v0, v2
	v_cmp_eq_u16_e32 vcc, 0, v0
	s_and_saveexec_b64 s[0:1], vcc
	s_cbranch_execz .LBB65_18
; %bb.17:
	s_mov_b32 s0, 0xaaaaaaab
	v_mul_hi_u32 v0, v1, s0
	ds_read_b32 v2, v4 offset:8
	v_mov_b32_e32 v1, 0
	v_mov_b32_e32 v3, s9
	v_lshrrev_b32_e32 v0, 1, v0
	v_lshlrev_b64 v[0:1], 2, v[0:1]
	v_add_co_u32_e32 v0, vcc, s8, v0
	v_addc_co_u32_e32 v1, vcc, v3, v1, vcc
	s_waitcnt lgkmcnt(0)
	global_store_dword v[0:1], v2, off
.LBB65_18:
	s_endpgm
	.section	.rodata,"a",@progbits
	.p2align	6, 0x0
	.amdhsa_kernel _Z33warp_inclusive_scan_reduce_kernelIfLj63ELj3EENSt9enable_ifIXsr10test_utilsE35device_test_enabled_for_warp_size_vIXT1_EEEvE4typeEPT_S4_S4_
		.amdhsa_group_segment_fixed_size 252
		.amdhsa_private_segment_fixed_size 0
		.amdhsa_kernarg_size 24
		.amdhsa_user_sgpr_count 6
		.amdhsa_user_sgpr_private_segment_buffer 1
		.amdhsa_user_sgpr_dispatch_ptr 0
		.amdhsa_user_sgpr_queue_ptr 0
		.amdhsa_user_sgpr_kernarg_segment_ptr 1
		.amdhsa_user_sgpr_dispatch_id 0
		.amdhsa_user_sgpr_flat_scratch_init 0
		.amdhsa_user_sgpr_private_segment_size 0
		.amdhsa_uses_dynamic_stack 0
		.amdhsa_system_sgpr_private_segment_wavefront_offset 0
		.amdhsa_system_sgpr_workgroup_id_x 1
		.amdhsa_system_sgpr_workgroup_id_y 0
		.amdhsa_system_sgpr_workgroup_id_z 0
		.amdhsa_system_sgpr_workgroup_info 0
		.amdhsa_system_vgpr_workitem_id 0
		.amdhsa_next_free_vgpr 11
		.amdhsa_next_free_sgpr 10
		.amdhsa_reserve_vcc 1
		.amdhsa_reserve_flat_scratch 0
		.amdhsa_float_round_mode_32 0
		.amdhsa_float_round_mode_16_64 0
		.amdhsa_float_denorm_mode_32 3
		.amdhsa_float_denorm_mode_16_64 3
		.amdhsa_dx10_clamp 1
		.amdhsa_ieee_mode 1
		.amdhsa_fp16_overflow 0
		.amdhsa_exception_fp_ieee_invalid_op 0
		.amdhsa_exception_fp_denorm_src 0
		.amdhsa_exception_fp_ieee_div_zero 0
		.amdhsa_exception_fp_ieee_overflow 0
		.amdhsa_exception_fp_ieee_underflow 0
		.amdhsa_exception_fp_ieee_inexact 0
		.amdhsa_exception_int_div_zero 0
	.end_amdhsa_kernel
	.section	.text._Z33warp_inclusive_scan_reduce_kernelIfLj63ELj3EENSt9enable_ifIXsr10test_utilsE35device_test_enabled_for_warp_size_vIXT1_EEEvE4typeEPT_S4_S4_,"axG",@progbits,_Z33warp_inclusive_scan_reduce_kernelIfLj63ELj3EENSt9enable_ifIXsr10test_utilsE35device_test_enabled_for_warp_size_vIXT1_EEEvE4typeEPT_S4_S4_,comdat
.Lfunc_end65:
	.size	_Z33warp_inclusive_scan_reduce_kernelIfLj63ELj3EENSt9enable_ifIXsr10test_utilsE35device_test_enabled_for_warp_size_vIXT1_EEEvE4typeEPT_S4_S4_, .Lfunc_end65-_Z33warp_inclusive_scan_reduce_kernelIfLj63ELj3EENSt9enable_ifIXsr10test_utilsE35device_test_enabled_for_warp_size_vIXT1_EEEvE4typeEPT_S4_S4_
                                        ; -- End function
	.set _Z33warp_inclusive_scan_reduce_kernelIfLj63ELj3EENSt9enable_ifIXsr10test_utilsE35device_test_enabled_for_warp_size_vIXT1_EEEvE4typeEPT_S4_S4_.num_vgpr, 11
	.set _Z33warp_inclusive_scan_reduce_kernelIfLj63ELj3EENSt9enable_ifIXsr10test_utilsE35device_test_enabled_for_warp_size_vIXT1_EEEvE4typeEPT_S4_S4_.num_agpr, 0
	.set _Z33warp_inclusive_scan_reduce_kernelIfLj63ELj3EENSt9enable_ifIXsr10test_utilsE35device_test_enabled_for_warp_size_vIXT1_EEEvE4typeEPT_S4_S4_.numbered_sgpr, 10
	.set _Z33warp_inclusive_scan_reduce_kernelIfLj63ELj3EENSt9enable_ifIXsr10test_utilsE35device_test_enabled_for_warp_size_vIXT1_EEEvE4typeEPT_S4_S4_.num_named_barrier, 0
	.set _Z33warp_inclusive_scan_reduce_kernelIfLj63ELj3EENSt9enable_ifIXsr10test_utilsE35device_test_enabled_for_warp_size_vIXT1_EEEvE4typeEPT_S4_S4_.private_seg_size, 0
	.set _Z33warp_inclusive_scan_reduce_kernelIfLj63ELj3EENSt9enable_ifIXsr10test_utilsE35device_test_enabled_for_warp_size_vIXT1_EEEvE4typeEPT_S4_S4_.uses_vcc, 1
	.set _Z33warp_inclusive_scan_reduce_kernelIfLj63ELj3EENSt9enable_ifIXsr10test_utilsE35device_test_enabled_for_warp_size_vIXT1_EEEvE4typeEPT_S4_S4_.uses_flat_scratch, 0
	.set _Z33warp_inclusive_scan_reduce_kernelIfLj63ELj3EENSt9enable_ifIXsr10test_utilsE35device_test_enabled_for_warp_size_vIXT1_EEEvE4typeEPT_S4_S4_.has_dyn_sized_stack, 0
	.set _Z33warp_inclusive_scan_reduce_kernelIfLj63ELj3EENSt9enable_ifIXsr10test_utilsE35device_test_enabled_for_warp_size_vIXT1_EEEvE4typeEPT_S4_S4_.has_recursion, 0
	.set _Z33warp_inclusive_scan_reduce_kernelIfLj63ELj3EENSt9enable_ifIXsr10test_utilsE35device_test_enabled_for_warp_size_vIXT1_EEEvE4typeEPT_S4_S4_.has_indirect_call, 0
	.section	.AMDGPU.csdata,"",@progbits
; Kernel info:
; codeLenInByte = 468
; TotalNumSgprs: 14
; NumVgprs: 11
; ScratchSize: 0
; MemoryBound: 0
; FloatMode: 240
; IeeeMode: 1
; LDSByteSize: 252 bytes/workgroup (compile time only)
; SGPRBlocks: 1
; VGPRBlocks: 2
; NumSGPRsForWavesPerEU: 14
; NumVGPRsForWavesPerEU: 11
; Occupancy: 10
; WaveLimiterHint : 0
; COMPUTE_PGM_RSRC2:SCRATCH_EN: 0
; COMPUTE_PGM_RSRC2:USER_SGPR: 6
; COMPUTE_PGM_RSRC2:TRAP_HANDLER: 0
; COMPUTE_PGM_RSRC2:TGID_X_EN: 1
; COMPUTE_PGM_RSRC2:TGID_Y_EN: 0
; COMPUTE_PGM_RSRC2:TGID_Z_EN: 0
; COMPUTE_PGM_RSRC2:TIDIG_COMP_CNT: 0
	.section	.text._Z33warp_inclusive_scan_reduce_kernelIiLj1ELj61EENSt9enable_ifIXsr10test_utilsE35device_test_enabled_for_warp_size_vIXT1_EEEvE4typeEPT_S4_S4_,"axG",@progbits,_Z33warp_inclusive_scan_reduce_kernelIiLj1ELj61EENSt9enable_ifIXsr10test_utilsE35device_test_enabled_for_warp_size_vIXT1_EEEvE4typeEPT_S4_S4_,comdat
	.protected	_Z33warp_inclusive_scan_reduce_kernelIiLj1ELj61EENSt9enable_ifIXsr10test_utilsE35device_test_enabled_for_warp_size_vIXT1_EEEvE4typeEPT_S4_S4_ ; -- Begin function _Z33warp_inclusive_scan_reduce_kernelIiLj1ELj61EENSt9enable_ifIXsr10test_utilsE35device_test_enabled_for_warp_size_vIXT1_EEEvE4typeEPT_S4_S4_
	.globl	_Z33warp_inclusive_scan_reduce_kernelIiLj1ELj61EENSt9enable_ifIXsr10test_utilsE35device_test_enabled_for_warp_size_vIXT1_EEEvE4typeEPT_S4_S4_
	.p2align	8
	.type	_Z33warp_inclusive_scan_reduce_kernelIiLj1ELj61EENSt9enable_ifIXsr10test_utilsE35device_test_enabled_for_warp_size_vIXT1_EEEvE4typeEPT_S4_S4_,@function
_Z33warp_inclusive_scan_reduce_kernelIiLj1ELj61EENSt9enable_ifIXsr10test_utilsE35device_test_enabled_for_warp_size_vIXT1_EEEvE4typeEPT_S4_S4_: ; @_Z33warp_inclusive_scan_reduce_kernelIiLj1ELj61EENSt9enable_ifIXsr10test_utilsE35device_test_enabled_for_warp_size_vIXT1_EEEvE4typeEPT_S4_S4_
; %bb.0:
	s_load_dwordx4 s[0:3], s[4:5], 0x0
	s_mov_b32 s7, 0
	v_mbcnt_lo_u32_b32 v0, -1, 0
	s_lshl_b64 s[8:9], s[6:7], 2
	v_mbcnt_hi_u32_b32 v0, -1, v0
	s_mov_b32 s7, 0x4325c54
	v_mul_hi_u32 v1, v0, s7
	s_waitcnt lgkmcnt(0)
	s_add_u32 s0, s0, s8
	s_addc_u32 s1, s1, s9
	s_load_dword s12, s[0:1], 0x0
	s_bitcmp1_b32 s6, 0
	s_load_dwordx2 s[4:5], s[4:5], 0x10
	v_mul_u32_u24_e32 v1, 61, v1
	s_cselect_b64 s[0:1], -1, 0
	v_sub_u32_e32 v1, v0, v1
	s_and_b64 vcc, exec, s[0:1]
	v_cmp_ne_u32_e64 s[0:1], 0, v1
	v_readfirstlane_b32 s7, v1
	v_lshlrev_b32_e32 v0, 2, v1
	v_cndmask_b32_e64 v1, 0, 1, s[0:1]
	s_waitcnt lgkmcnt(0)
	v_mov_b32_e32 v2, s12
	v_cmp_ne_u32_e64 s[0:1], 1, v1
	ds_write_b32 v0, v2
	s_cbranch_vccz .LBB66_3
; %bb.1:
	s_and_b64 vcc, exec, s[0:1]
	; wave barrier
	s_cbranch_vccnz .LBB66_4
; %bb.2:
	v_add_u32_e32 v1, -4, v0
	ds_read_b32 v1, v1
	s_waitcnt lgkmcnt(0)
	v_add_u32_e32 v1, s12, v1
	s_branch .LBB66_5
.LBB66_3:
                                        ; implicit-def: $vgpr1
	s_cbranch_execnz .LBB66_28
	s_branch .LBB66_54
.LBB66_4:
	v_mov_b32_e32 v1, s12
.LBB66_5:
	s_and_b64 vcc, exec, s[0:1]
	; wave barrier
	s_cbranch_vccnz .LBB66_7
; %bb.6:
	ds_write_b32 v0, v1
.LBB66_7:
	s_cmp_gt_u32 s7, 1
	s_cselect_b64 s[10:11], -1, 0
	s_cmp_lt_u32 s7, 2
	; wave barrier
	s_cbranch_scc1 .LBB66_9
; %bb.8:
	v_add_u32_e32 v2, -8, v0
	ds_read_b32 v2, v2
	s_waitcnt lgkmcnt(0)
	v_add_u32_e32 v1, v2, v1
.LBB66_9:
	s_andn2_b64 vcc, exec, s[10:11]
	; wave barrier
	s_cbranch_vccnz .LBB66_11
; %bb.10:
	ds_write_b32 v0, v1
.LBB66_11:
	s_cmp_gt_u32 s7, 3
	s_cselect_b64 s[10:11], -1, 0
	s_cmp_lt_u32 s7, 4
	; wave barrier
	s_cbranch_scc1 .LBB66_13
; %bb.12:
	v_add_u32_e32 v2, -16, v0
	ds_read_b32 v2, v2
	s_waitcnt lgkmcnt(0)
	v_add_u32_e32 v1, v2, v1
.LBB66_13:
	s_andn2_b64 vcc, exec, s[10:11]
	; wave barrier
	s_cbranch_vccnz .LBB66_15
; %bb.14:
	ds_write_b32 v0, v1
.LBB66_15:
	s_cmp_gt_u32 s7, 7
	s_cselect_b64 s[10:11], -1, 0
	s_cmp_lt_u32 s7, 8
	; wave barrier
	s_cbranch_scc1 .LBB66_17
; %bb.16:
	v_subrev_u32_e32 v2, 32, v0
	ds_read_b32 v2, v2
	s_waitcnt lgkmcnt(0)
	v_add_u32_e32 v1, v2, v1
.LBB66_17:
	s_andn2_b64 vcc, exec, s[10:11]
	; wave barrier
	s_cbranch_vccnz .LBB66_19
; %bb.18:
	ds_write_b32 v0, v1
.LBB66_19:
	s_cmp_gt_u32 s7, 15
	s_cselect_b64 s[10:11], -1, 0
	s_cmp_lt_u32 s7, 16
	; wave barrier
	s_cbranch_scc1 .LBB66_21
; %bb.20:
	v_subrev_u32_e32 v2, 64, v0
	ds_read_b32 v2, v2
	s_waitcnt lgkmcnt(0)
	v_add_u32_e32 v1, v2, v1
.LBB66_21:
	s_andn2_b64 vcc, exec, s[10:11]
	; wave barrier
	s_cbranch_vccnz .LBB66_23
; %bb.22:
	ds_write_b32 v0, v1
.LBB66_23:
	s_cmp_gt_u32 s7, 31
	s_cselect_b64 s[10:11], -1, 0
	s_cmp_lt_u32 s7, 32
	; wave barrier
	s_cbranch_scc1 .LBB66_25
; %bb.24:
	v_add_u32_e32 v2, 0xffffff80, v0
	ds_read_b32 v2, v2
	s_waitcnt lgkmcnt(0)
	v_add_u32_e32 v1, v2, v1
.LBB66_25:
	s_andn2_b64 vcc, exec, s[10:11]
	; wave barrier
	s_cbranch_vccnz .LBB66_27
; %bb.26:
	ds_write_b32 v0, v1
.LBB66_27:
	; wave barrier
	s_branch .LBB66_54
.LBB66_28:
	s_and_b64 vcc, exec, s[0:1]
	; wave barrier
	s_cbranch_vccnz .LBB66_30
; %bb.29:
	v_add_u32_e32 v1, -4, v0
	ds_read_b32 v1, v1
	s_waitcnt lgkmcnt(0)
	v_add_u32_e32 v1, s12, v1
	s_branch .LBB66_31
.LBB66_30:
	v_mov_b32_e32 v1, s12
.LBB66_31:
	s_and_b64 vcc, exec, s[0:1]
	; wave barrier
	s_cbranch_vccnz .LBB66_33
; %bb.32:
	ds_write_b32 v0, v1
.LBB66_33:
	s_cmp_gt_u32 s7, 1
	s_cselect_b64 s[0:1], -1, 0
	s_cmp_lt_u32 s7, 2
	; wave barrier
	s_cbranch_scc1 .LBB66_35
; %bb.34:
	v_add_u32_e32 v2, -8, v0
	ds_read_b32 v2, v2
	s_waitcnt lgkmcnt(0)
	v_add_u32_e32 v1, v2, v1
.LBB66_35:
	s_andn2_b64 vcc, exec, s[0:1]
	; wave barrier
	s_cbranch_vccnz .LBB66_37
; %bb.36:
	ds_write_b32 v0, v1
.LBB66_37:
	s_cmp_gt_u32 s7, 3
	s_cselect_b64 s[0:1], -1, 0
	s_cmp_lt_u32 s7, 4
	; wave barrier
	s_cbranch_scc1 .LBB66_39
; %bb.38:
	v_add_u32_e32 v2, -16, v0
	ds_read_b32 v2, v2
	s_waitcnt lgkmcnt(0)
	v_add_u32_e32 v1, v2, v1
.LBB66_39:
	s_andn2_b64 vcc, exec, s[0:1]
	; wave barrier
	s_cbranch_vccnz .LBB66_41
; %bb.40:
	ds_write_b32 v0, v1
.LBB66_41:
	s_cmp_gt_u32 s7, 7
	s_cselect_b64 s[0:1], -1, 0
	s_cmp_lt_u32 s7, 8
	; wave barrier
	s_cbranch_scc1 .LBB66_43
; %bb.42:
	v_subrev_u32_e32 v2, 32, v0
	ds_read_b32 v2, v2
	s_waitcnt lgkmcnt(0)
	v_add_u32_e32 v1, v2, v1
.LBB66_43:
	s_andn2_b64 vcc, exec, s[0:1]
	; wave barrier
	s_cbranch_vccnz .LBB66_45
; %bb.44:
	ds_write_b32 v0, v1
.LBB66_45:
	s_cmp_gt_u32 s7, 15
	s_cselect_b64 s[0:1], -1, 0
	s_cmp_lt_u32 s7, 16
	; wave barrier
	s_cbranch_scc1 .LBB66_47
; %bb.46:
	v_subrev_u32_e32 v2, 64, v0
	ds_read_b32 v2, v2
	s_waitcnt lgkmcnt(0)
	v_add_u32_e32 v1, v2, v1
.LBB66_47:
	s_andn2_b64 vcc, exec, s[0:1]
	; wave barrier
	s_cbranch_vccnz .LBB66_49
; %bb.48:
	ds_write_b32 v0, v1
.LBB66_49:
	s_cmp_gt_u32 s7, 31
	s_cselect_b64 s[0:1], -1, 0
	s_cmp_lt_u32 s7, 32
	; wave barrier
	s_cbranch_scc1 .LBB66_51
; %bb.50:
	v_add_u32_e32 v2, 0xffffff80, v0
	ds_read_b32 v2, v2
	s_waitcnt lgkmcnt(0)
	v_add_u32_e32 v1, v2, v1
.LBB66_51:
	s_andn2_b64 vcc, exec, s[0:1]
	; wave barrier
	s_cbranch_vccnz .LBB66_53
; %bb.52:
	ds_write_b32 v0, v1
.LBB66_53:
	; wave barrier
.LBB66_54:
	s_add_u32 s0, s2, s8
	s_addc_u32 s1, s3, s9
	v_mov_b32_e32 v0, 0
	global_store_dword v0, v1, s[0:1]
	s_branch .LBB66_56
; %bb.55:
	s_endpgm
.LBB66_56:
	ds_read_b32 v0, v0 offset:240
	s_mul_hi_u32 s0, s6, 0x4325c53f
	s_lshr_b32 s0, s0, 2
	s_and_b32 s0, s0, 0x1ffffffc
	v_mov_b32_e32 v1, s0
	s_waitcnt lgkmcnt(0)
	global_store_dword v1, v0, s[4:5]
	s_endpgm
	.section	.rodata,"a",@progbits
	.p2align	6, 0x0
	.amdhsa_kernel _Z33warp_inclusive_scan_reduce_kernelIiLj1ELj61EENSt9enable_ifIXsr10test_utilsE35device_test_enabled_for_warp_size_vIXT1_EEEvE4typeEPT_S4_S4_
		.amdhsa_group_segment_fixed_size 244
		.amdhsa_private_segment_fixed_size 0
		.amdhsa_kernarg_size 24
		.amdhsa_user_sgpr_count 6
		.amdhsa_user_sgpr_private_segment_buffer 1
		.amdhsa_user_sgpr_dispatch_ptr 0
		.amdhsa_user_sgpr_queue_ptr 0
		.amdhsa_user_sgpr_kernarg_segment_ptr 1
		.amdhsa_user_sgpr_dispatch_id 0
		.amdhsa_user_sgpr_flat_scratch_init 0
		.amdhsa_user_sgpr_private_segment_size 0
		.amdhsa_uses_dynamic_stack 0
		.amdhsa_system_sgpr_private_segment_wavefront_offset 0
		.amdhsa_system_sgpr_workgroup_id_x 1
		.amdhsa_system_sgpr_workgroup_id_y 0
		.amdhsa_system_sgpr_workgroup_id_z 0
		.amdhsa_system_sgpr_workgroup_info 0
		.amdhsa_system_vgpr_workitem_id 0
		.amdhsa_next_free_vgpr 3
		.amdhsa_next_free_sgpr 13
		.amdhsa_reserve_vcc 1
		.amdhsa_reserve_flat_scratch 0
		.amdhsa_float_round_mode_32 0
		.amdhsa_float_round_mode_16_64 0
		.amdhsa_float_denorm_mode_32 3
		.amdhsa_float_denorm_mode_16_64 3
		.amdhsa_dx10_clamp 1
		.amdhsa_ieee_mode 1
		.amdhsa_fp16_overflow 0
		.amdhsa_exception_fp_ieee_invalid_op 0
		.amdhsa_exception_fp_denorm_src 0
		.amdhsa_exception_fp_ieee_div_zero 0
		.amdhsa_exception_fp_ieee_overflow 0
		.amdhsa_exception_fp_ieee_underflow 0
		.amdhsa_exception_fp_ieee_inexact 0
		.amdhsa_exception_int_div_zero 0
	.end_amdhsa_kernel
	.section	.text._Z33warp_inclusive_scan_reduce_kernelIiLj1ELj61EENSt9enable_ifIXsr10test_utilsE35device_test_enabled_for_warp_size_vIXT1_EEEvE4typeEPT_S4_S4_,"axG",@progbits,_Z33warp_inclusive_scan_reduce_kernelIiLj1ELj61EENSt9enable_ifIXsr10test_utilsE35device_test_enabled_for_warp_size_vIXT1_EEEvE4typeEPT_S4_S4_,comdat
.Lfunc_end66:
	.size	_Z33warp_inclusive_scan_reduce_kernelIiLj1ELj61EENSt9enable_ifIXsr10test_utilsE35device_test_enabled_for_warp_size_vIXT1_EEEvE4typeEPT_S4_S4_, .Lfunc_end66-_Z33warp_inclusive_scan_reduce_kernelIiLj1ELj61EENSt9enable_ifIXsr10test_utilsE35device_test_enabled_for_warp_size_vIXT1_EEEvE4typeEPT_S4_S4_
                                        ; -- End function
	.set _Z33warp_inclusive_scan_reduce_kernelIiLj1ELj61EENSt9enable_ifIXsr10test_utilsE35device_test_enabled_for_warp_size_vIXT1_EEEvE4typeEPT_S4_S4_.num_vgpr, 3
	.set _Z33warp_inclusive_scan_reduce_kernelIiLj1ELj61EENSt9enable_ifIXsr10test_utilsE35device_test_enabled_for_warp_size_vIXT1_EEEvE4typeEPT_S4_S4_.num_agpr, 0
	.set _Z33warp_inclusive_scan_reduce_kernelIiLj1ELj61EENSt9enable_ifIXsr10test_utilsE35device_test_enabled_for_warp_size_vIXT1_EEEvE4typeEPT_S4_S4_.numbered_sgpr, 13
	.set _Z33warp_inclusive_scan_reduce_kernelIiLj1ELj61EENSt9enable_ifIXsr10test_utilsE35device_test_enabled_for_warp_size_vIXT1_EEEvE4typeEPT_S4_S4_.num_named_barrier, 0
	.set _Z33warp_inclusive_scan_reduce_kernelIiLj1ELj61EENSt9enable_ifIXsr10test_utilsE35device_test_enabled_for_warp_size_vIXT1_EEEvE4typeEPT_S4_S4_.private_seg_size, 0
	.set _Z33warp_inclusive_scan_reduce_kernelIiLj1ELj61EENSt9enable_ifIXsr10test_utilsE35device_test_enabled_for_warp_size_vIXT1_EEEvE4typeEPT_S4_S4_.uses_vcc, 1
	.set _Z33warp_inclusive_scan_reduce_kernelIiLj1ELj61EENSt9enable_ifIXsr10test_utilsE35device_test_enabled_for_warp_size_vIXT1_EEEvE4typeEPT_S4_S4_.uses_flat_scratch, 0
	.set _Z33warp_inclusive_scan_reduce_kernelIiLj1ELj61EENSt9enable_ifIXsr10test_utilsE35device_test_enabled_for_warp_size_vIXT1_EEEvE4typeEPT_S4_S4_.has_dyn_sized_stack, 0
	.set _Z33warp_inclusive_scan_reduce_kernelIiLj1ELj61EENSt9enable_ifIXsr10test_utilsE35device_test_enabled_for_warp_size_vIXT1_EEEvE4typeEPT_S4_S4_.has_recursion, 0
	.set _Z33warp_inclusive_scan_reduce_kernelIiLj1ELj61EENSt9enable_ifIXsr10test_utilsE35device_test_enabled_for_warp_size_vIXT1_EEEvE4typeEPT_S4_S4_.has_indirect_call, 0
	.section	.AMDGPU.csdata,"",@progbits
; Kernel info:
; codeLenInByte = 868
; TotalNumSgprs: 17
; NumVgprs: 3
; ScratchSize: 0
; MemoryBound: 0
; FloatMode: 240
; IeeeMode: 1
; LDSByteSize: 244 bytes/workgroup (compile time only)
; SGPRBlocks: 2
; VGPRBlocks: 0
; NumSGPRsForWavesPerEU: 17
; NumVGPRsForWavesPerEU: 3
; Occupancy: 10
; WaveLimiterHint : 0
; COMPUTE_PGM_RSRC2:SCRATCH_EN: 0
; COMPUTE_PGM_RSRC2:USER_SGPR: 6
; COMPUTE_PGM_RSRC2:TRAP_HANDLER: 0
; COMPUTE_PGM_RSRC2:TGID_X_EN: 1
; COMPUTE_PGM_RSRC2:TGID_Y_EN: 0
; COMPUTE_PGM_RSRC2:TGID_Z_EN: 0
; COMPUTE_PGM_RSRC2:TIDIG_COMP_CNT: 0
	.section	.text._Z33warp_inclusive_scan_reduce_kernelIiLj61ELj61EENSt9enable_ifIXsr10test_utilsE35device_test_enabled_for_warp_size_vIXT1_EEEvE4typeEPT_S4_S4_,"axG",@progbits,_Z33warp_inclusive_scan_reduce_kernelIiLj61ELj61EENSt9enable_ifIXsr10test_utilsE35device_test_enabled_for_warp_size_vIXT1_EEEvE4typeEPT_S4_S4_,comdat
	.protected	_Z33warp_inclusive_scan_reduce_kernelIiLj61ELj61EENSt9enable_ifIXsr10test_utilsE35device_test_enabled_for_warp_size_vIXT1_EEEvE4typeEPT_S4_S4_ ; -- Begin function _Z33warp_inclusive_scan_reduce_kernelIiLj61ELj61EENSt9enable_ifIXsr10test_utilsE35device_test_enabled_for_warp_size_vIXT1_EEEvE4typeEPT_S4_S4_
	.globl	_Z33warp_inclusive_scan_reduce_kernelIiLj61ELj61EENSt9enable_ifIXsr10test_utilsE35device_test_enabled_for_warp_size_vIXT1_EEEvE4typeEPT_S4_S4_
	.p2align	8
	.type	_Z33warp_inclusive_scan_reduce_kernelIiLj61ELj61EENSt9enable_ifIXsr10test_utilsE35device_test_enabled_for_warp_size_vIXT1_EEEvE4typeEPT_S4_S4_,@function
_Z33warp_inclusive_scan_reduce_kernelIiLj61ELj61EENSt9enable_ifIXsr10test_utilsE35device_test_enabled_for_warp_size_vIXT1_EEEvE4typeEPT_S4_S4_: ; @_Z33warp_inclusive_scan_reduce_kernelIiLj61ELj61EENSt9enable_ifIXsr10test_utilsE35device_test_enabled_for_warp_size_vIXT1_EEEvE4typeEPT_S4_S4_
; %bb.0:
	v_mad_u64_u32 v[1:2], s[0:1], s6, 61, v[0:1]
	s_load_dwordx4 s[0:3], s[4:5], 0x0
	s_load_dwordx2 s[8:9], s[4:5], 0x10
	v_mov_b32_e32 v2, 0
	v_lshlrev_b64 v[2:3], 2, v[1:2]
	v_mul_u32_u24_e32 v6, 0x433, v0
	s_waitcnt lgkmcnt(0)
	v_mov_b32_e32 v5, s1
	v_add_co_u32_e32 v4, vcc, s0, v2
	v_addc_co_u32_e32 v5, vcc, v5, v3, vcc
	global_load_dword v5, v[4:5], off
	v_mbcnt_lo_u32_b32 v4, -1, 0
	s_mov_b32 s0, 0x4325c54
	v_mbcnt_hi_u32_b32 v7, -1, v4
	v_mul_hi_u32 v8, v7, s0
	v_lshrrev_b32_e32 v4, 16, v6
	s_bitcmp1_b32 s6, 0
	s_movk_i32 s4, 0xf4
	v_mul_u32_u24_e32 v6, 61, v8
	v_sub_u32_e32 v7, v7, v6
	s_cselect_b64 s[0:1], -1, 0
	v_lshlrev_b32_e32 v6, 2, v7
	s_and_b64 vcc, exec, s[0:1]
	v_cmp_ne_u32_e64 s[0:1], 0, v7
	v_mad_u32_u24 v6, v4, s4, v6
	s_waitcnt vmcnt(0)
	ds_write_b32 v6, v5
	s_cbranch_vccz .LBB67_26
; %bb.1:
	v_mov_b32_e32 v8, v5
	; wave barrier
	s_and_saveexec_b64 s[4:5], s[0:1]
	s_cbranch_execz .LBB67_3
; %bb.2:
	v_add_u32_e32 v8, -4, v6
	ds_read_b32 v8, v8
	s_waitcnt lgkmcnt(0)
	v_add_u32_e32 v8, v8, v5
.LBB67_3:
	s_or_b64 exec, exec, s[4:5]
	; wave barrier
	s_and_saveexec_b64 s[4:5], s[0:1]
; %bb.4:
	ds_write_b32 v6, v8
; %bb.5:
	s_or_b64 exec, exec, s[4:5]
	v_cmp_lt_u32_e32 vcc, 1, v7
	; wave barrier
	s_and_saveexec_b64 s[4:5], vcc
	s_cbranch_execz .LBB67_7
; %bb.6:
	v_add_u32_e32 v9, -8, v6
	ds_read_b32 v9, v9
	s_waitcnt lgkmcnt(0)
	v_add_u32_e32 v8, v9, v8
.LBB67_7:
	s_or_b64 exec, exec, s[4:5]
	; wave barrier
	s_and_saveexec_b64 s[4:5], vcc
; %bb.8:
	ds_write_b32 v6, v8
; %bb.9:
	s_or_b64 exec, exec, s[4:5]
	v_cmp_lt_u32_e32 vcc, 3, v7
	; wave barrier
	s_and_saveexec_b64 s[4:5], vcc
	s_cbranch_execz .LBB67_11
; %bb.10:
	v_add_u32_e32 v9, -16, v6
	ds_read_b32 v9, v9
	s_waitcnt lgkmcnt(0)
	v_add_u32_e32 v8, v9, v8
.LBB67_11:
	s_or_b64 exec, exec, s[4:5]
	; wave barrier
	s_and_saveexec_b64 s[4:5], vcc
; %bb.12:
	ds_write_b32 v6, v8
; %bb.13:
	s_or_b64 exec, exec, s[4:5]
	v_cmp_lt_u32_e32 vcc, 7, v7
	; wave barrier
	s_and_saveexec_b64 s[4:5], vcc
	s_cbranch_execz .LBB67_15
; %bb.14:
	v_subrev_u32_e32 v9, 32, v6
	ds_read_b32 v9, v9
	s_waitcnt lgkmcnt(0)
	v_add_u32_e32 v8, v9, v8
.LBB67_15:
	s_or_b64 exec, exec, s[4:5]
	; wave barrier
	s_and_saveexec_b64 s[4:5], vcc
; %bb.16:
	ds_write_b32 v6, v8
; %bb.17:
	s_or_b64 exec, exec, s[4:5]
	v_cmp_lt_u32_e32 vcc, 15, v7
	; wave barrier
	s_and_saveexec_b64 s[4:5], vcc
	s_cbranch_execz .LBB67_19
; %bb.18:
	v_subrev_u32_e32 v9, 64, v6
	ds_read_b32 v9, v9
	s_waitcnt lgkmcnt(0)
	v_add_u32_e32 v8, v9, v8
.LBB67_19:
	s_or_b64 exec, exec, s[4:5]
	; wave barrier
	s_and_saveexec_b64 s[4:5], vcc
; %bb.20:
	ds_write_b32 v6, v8
; %bb.21:
	s_or_b64 exec, exec, s[4:5]
	v_cmp_lt_u32_e32 vcc, 31, v7
	; wave barrier
	s_and_saveexec_b64 s[4:5], vcc
	s_cbranch_execz .LBB67_23
; %bb.22:
	v_add_u32_e32 v9, 0xffffff80, v6
	ds_read_b32 v9, v9
	s_waitcnt lgkmcnt(0)
	v_add_u32_e32 v8, v9, v8
.LBB67_23:
	s_or_b64 exec, exec, s[4:5]
	; wave barrier
	s_and_saveexec_b64 s[4:5], vcc
; %bb.24:
	ds_write_b32 v6, v8
; %bb.25:
	s_or_b64 exec, exec, s[4:5]
	; wave barrier
	s_branch .LBB67_52
.LBB67_26:
                                        ; implicit-def: $vgpr8
	s_cbranch_execz .LBB67_52
; %bb.27:
	; wave barrier
	s_and_saveexec_b64 s[4:5], s[0:1]
	s_cbranch_execz .LBB67_29
; %bb.28:
	v_add_u32_e32 v8, -4, v6
	ds_read_b32 v8, v8
	s_waitcnt lgkmcnt(0)
	v_add_u32_e32 v5, v8, v5
.LBB67_29:
	s_or_b64 exec, exec, s[4:5]
	; wave barrier
	s_and_saveexec_b64 s[4:5], s[0:1]
; %bb.30:
	ds_write_b32 v6, v5
; %bb.31:
	s_or_b64 exec, exec, s[4:5]
	v_cmp_lt_u32_e32 vcc, 1, v7
	; wave barrier
	s_and_saveexec_b64 s[0:1], vcc
	s_cbranch_execz .LBB67_33
; %bb.32:
	v_add_u32_e32 v8, -8, v6
	ds_read_b32 v8, v8
	s_waitcnt lgkmcnt(0)
	v_add_u32_e32 v5, v8, v5
.LBB67_33:
	s_or_b64 exec, exec, s[0:1]
	; wave barrier
	s_and_saveexec_b64 s[0:1], vcc
; %bb.34:
	ds_write_b32 v6, v5
; %bb.35:
	s_or_b64 exec, exec, s[0:1]
	v_cmp_lt_u32_e32 vcc, 3, v7
	; wave barrier
	s_and_saveexec_b64 s[0:1], vcc
	s_cbranch_execz .LBB67_37
; %bb.36:
	v_add_u32_e32 v8, -16, v6
	ds_read_b32 v8, v8
	s_waitcnt lgkmcnt(0)
	v_add_u32_e32 v5, v8, v5
.LBB67_37:
	s_or_b64 exec, exec, s[0:1]
	; wave barrier
	s_and_saveexec_b64 s[0:1], vcc
; %bb.38:
	ds_write_b32 v6, v5
; %bb.39:
	s_or_b64 exec, exec, s[0:1]
	v_cmp_lt_u32_e32 vcc, 7, v7
	; wave barrier
	s_and_saveexec_b64 s[0:1], vcc
	s_cbranch_execz .LBB67_41
; %bb.40:
	v_subrev_u32_e32 v8, 32, v6
	ds_read_b32 v8, v8
	s_waitcnt lgkmcnt(0)
	v_add_u32_e32 v5, v8, v5
.LBB67_41:
	s_or_b64 exec, exec, s[0:1]
	; wave barrier
	s_and_saveexec_b64 s[0:1], vcc
; %bb.42:
	ds_write_b32 v6, v5
; %bb.43:
	s_or_b64 exec, exec, s[0:1]
	v_cmp_lt_u32_e32 vcc, 15, v7
	; wave barrier
	s_and_saveexec_b64 s[0:1], vcc
	s_cbranch_execz .LBB67_45
; %bb.44:
	v_subrev_u32_e32 v8, 64, v6
	ds_read_b32 v8, v8
	s_waitcnt lgkmcnt(0)
	v_add_u32_e32 v5, v8, v5
.LBB67_45:
	s_or_b64 exec, exec, s[0:1]
	; wave barrier
	s_and_saveexec_b64 s[0:1], vcc
; %bb.46:
	ds_write_b32 v6, v5
; %bb.47:
	s_or_b64 exec, exec, s[0:1]
	v_cmp_lt_u32_e32 vcc, 31, v7
	; wave barrier
	s_and_saveexec_b64 s[0:1], vcc
	s_cbranch_execz .LBB67_49
; %bb.48:
	v_add_u32_e32 v7, 0xffffff80, v6
	ds_read_b32 v7, v7
	s_waitcnt lgkmcnt(0)
	v_add_u32_e32 v5, v7, v5
.LBB67_49:
	s_or_b64 exec, exec, s[0:1]
	; wave barrier
	s_and_saveexec_b64 s[0:1], vcc
; %bb.50:
	ds_write_b32 v6, v5
; %bb.51:
	s_or_b64 exec, exec, s[0:1]
	v_mov_b32_e32 v8, v5
	; wave barrier
.LBB67_52:
	v_mov_b32_e32 v6, s3
	v_add_co_u32_e32 v2, vcc, s2, v2
	v_addc_co_u32_e32 v3, vcc, v6, v3, vcc
	global_store_dword v[2:3], v8, off
	v_mul_lo_u16_e32 v2, 61, v4
	v_sub_u16_e32 v0, v0, v2
	v_mul_u32_u24_e32 v5, 0xf4, v4
	v_cmp_eq_u16_e32 vcc, 0, v0
	s_and_saveexec_b64 s[0:1], vcc
	s_cbranch_execz .LBB67_54
; %bb.53:
	s_mov_b32 s0, 0x4325c53f
	v_mul_hi_u32 v0, v1, s0
	ds_read_b32 v1, v5 offset:240
	v_lshrrev_b32_e32 v0, 2, v0
	v_and_b32_e32 v0, 0x1ffffffc, v0
	s_waitcnt lgkmcnt(0)
	global_store_dword v0, v1, s[8:9]
.LBB67_54:
	s_endpgm
	.section	.rodata,"a",@progbits
	.p2align	6, 0x0
	.amdhsa_kernel _Z33warp_inclusive_scan_reduce_kernelIiLj61ELj61EENSt9enable_ifIXsr10test_utilsE35device_test_enabled_for_warp_size_vIXT1_EEEvE4typeEPT_S4_S4_
		.amdhsa_group_segment_fixed_size 244
		.amdhsa_private_segment_fixed_size 0
		.amdhsa_kernarg_size 24
		.amdhsa_user_sgpr_count 6
		.amdhsa_user_sgpr_private_segment_buffer 1
		.amdhsa_user_sgpr_dispatch_ptr 0
		.amdhsa_user_sgpr_queue_ptr 0
		.amdhsa_user_sgpr_kernarg_segment_ptr 1
		.amdhsa_user_sgpr_dispatch_id 0
		.amdhsa_user_sgpr_flat_scratch_init 0
		.amdhsa_user_sgpr_private_segment_size 0
		.amdhsa_uses_dynamic_stack 0
		.amdhsa_system_sgpr_private_segment_wavefront_offset 0
		.amdhsa_system_sgpr_workgroup_id_x 1
		.amdhsa_system_sgpr_workgroup_id_y 0
		.amdhsa_system_sgpr_workgroup_id_z 0
		.amdhsa_system_sgpr_workgroup_info 0
		.amdhsa_system_vgpr_workitem_id 0
		.amdhsa_next_free_vgpr 10
		.amdhsa_next_free_sgpr 10
		.amdhsa_reserve_vcc 1
		.amdhsa_reserve_flat_scratch 0
		.amdhsa_float_round_mode_32 0
		.amdhsa_float_round_mode_16_64 0
		.amdhsa_float_denorm_mode_32 3
		.amdhsa_float_denorm_mode_16_64 3
		.amdhsa_dx10_clamp 1
		.amdhsa_ieee_mode 1
		.amdhsa_fp16_overflow 0
		.amdhsa_exception_fp_ieee_invalid_op 0
		.amdhsa_exception_fp_denorm_src 0
		.amdhsa_exception_fp_ieee_div_zero 0
		.amdhsa_exception_fp_ieee_overflow 0
		.amdhsa_exception_fp_ieee_underflow 0
		.amdhsa_exception_fp_ieee_inexact 0
		.amdhsa_exception_int_div_zero 0
	.end_amdhsa_kernel
	.section	.text._Z33warp_inclusive_scan_reduce_kernelIiLj61ELj61EENSt9enable_ifIXsr10test_utilsE35device_test_enabled_for_warp_size_vIXT1_EEEvE4typeEPT_S4_S4_,"axG",@progbits,_Z33warp_inclusive_scan_reduce_kernelIiLj61ELj61EENSt9enable_ifIXsr10test_utilsE35device_test_enabled_for_warp_size_vIXT1_EEEvE4typeEPT_S4_S4_,comdat
.Lfunc_end67:
	.size	_Z33warp_inclusive_scan_reduce_kernelIiLj61ELj61EENSt9enable_ifIXsr10test_utilsE35device_test_enabled_for_warp_size_vIXT1_EEEvE4typeEPT_S4_S4_, .Lfunc_end67-_Z33warp_inclusive_scan_reduce_kernelIiLj61ELj61EENSt9enable_ifIXsr10test_utilsE35device_test_enabled_for_warp_size_vIXT1_EEEvE4typeEPT_S4_S4_
                                        ; -- End function
	.set _Z33warp_inclusive_scan_reduce_kernelIiLj61ELj61EENSt9enable_ifIXsr10test_utilsE35device_test_enabled_for_warp_size_vIXT1_EEEvE4typeEPT_S4_S4_.num_vgpr, 10
	.set _Z33warp_inclusive_scan_reduce_kernelIiLj61ELj61EENSt9enable_ifIXsr10test_utilsE35device_test_enabled_for_warp_size_vIXT1_EEEvE4typeEPT_S4_S4_.num_agpr, 0
	.set _Z33warp_inclusive_scan_reduce_kernelIiLj61ELj61EENSt9enable_ifIXsr10test_utilsE35device_test_enabled_for_warp_size_vIXT1_EEEvE4typeEPT_S4_S4_.numbered_sgpr, 10
	.set _Z33warp_inclusive_scan_reduce_kernelIiLj61ELj61EENSt9enable_ifIXsr10test_utilsE35device_test_enabled_for_warp_size_vIXT1_EEEvE4typeEPT_S4_S4_.num_named_barrier, 0
	.set _Z33warp_inclusive_scan_reduce_kernelIiLj61ELj61EENSt9enable_ifIXsr10test_utilsE35device_test_enabled_for_warp_size_vIXT1_EEEvE4typeEPT_S4_S4_.private_seg_size, 0
	.set _Z33warp_inclusive_scan_reduce_kernelIiLj61ELj61EENSt9enable_ifIXsr10test_utilsE35device_test_enabled_for_warp_size_vIXT1_EEEvE4typeEPT_S4_S4_.uses_vcc, 1
	.set _Z33warp_inclusive_scan_reduce_kernelIiLj61ELj61EENSt9enable_ifIXsr10test_utilsE35device_test_enabled_for_warp_size_vIXT1_EEEvE4typeEPT_S4_S4_.uses_flat_scratch, 0
	.set _Z33warp_inclusive_scan_reduce_kernelIiLj61ELj61EENSt9enable_ifIXsr10test_utilsE35device_test_enabled_for_warp_size_vIXT1_EEEvE4typeEPT_S4_S4_.has_dyn_sized_stack, 0
	.set _Z33warp_inclusive_scan_reduce_kernelIiLj61ELj61EENSt9enable_ifIXsr10test_utilsE35device_test_enabled_for_warp_size_vIXT1_EEEvE4typeEPT_S4_S4_.has_recursion, 0
	.set _Z33warp_inclusive_scan_reduce_kernelIiLj61ELj61EENSt9enable_ifIXsr10test_utilsE35device_test_enabled_for_warp_size_vIXT1_EEEvE4typeEPT_S4_S4_.has_indirect_call, 0
	.section	.AMDGPU.csdata,"",@progbits
; Kernel info:
; codeLenInByte = 904
; TotalNumSgprs: 14
; NumVgprs: 10
; ScratchSize: 0
; MemoryBound: 0
; FloatMode: 240
; IeeeMode: 1
; LDSByteSize: 244 bytes/workgroup (compile time only)
; SGPRBlocks: 1
; VGPRBlocks: 2
; NumSGPRsForWavesPerEU: 14
; NumVGPRsForWavesPerEU: 10
; Occupancy: 10
; WaveLimiterHint : 0
; COMPUTE_PGM_RSRC2:SCRATCH_EN: 0
; COMPUTE_PGM_RSRC2:USER_SGPR: 6
; COMPUTE_PGM_RSRC2:TRAP_HANDLER: 0
; COMPUTE_PGM_RSRC2:TGID_X_EN: 1
; COMPUTE_PGM_RSRC2:TGID_Y_EN: 0
; COMPUTE_PGM_RSRC2:TGID_Z_EN: 0
; COMPUTE_PGM_RSRC2:TIDIG_COMP_CNT: 0
	.section	.text._Z33warp_inclusive_scan_reduce_kernelIiLj1ELj37EENSt9enable_ifIXsr10test_utilsE35device_test_enabled_for_warp_size_vIXT1_EEEvE4typeEPT_S4_S4_,"axG",@progbits,_Z33warp_inclusive_scan_reduce_kernelIiLj1ELj37EENSt9enable_ifIXsr10test_utilsE35device_test_enabled_for_warp_size_vIXT1_EEEvE4typeEPT_S4_S4_,comdat
	.protected	_Z33warp_inclusive_scan_reduce_kernelIiLj1ELj37EENSt9enable_ifIXsr10test_utilsE35device_test_enabled_for_warp_size_vIXT1_EEEvE4typeEPT_S4_S4_ ; -- Begin function _Z33warp_inclusive_scan_reduce_kernelIiLj1ELj37EENSt9enable_ifIXsr10test_utilsE35device_test_enabled_for_warp_size_vIXT1_EEEvE4typeEPT_S4_S4_
	.globl	_Z33warp_inclusive_scan_reduce_kernelIiLj1ELj37EENSt9enable_ifIXsr10test_utilsE35device_test_enabled_for_warp_size_vIXT1_EEEvE4typeEPT_S4_S4_
	.p2align	8
	.type	_Z33warp_inclusive_scan_reduce_kernelIiLj1ELj37EENSt9enable_ifIXsr10test_utilsE35device_test_enabled_for_warp_size_vIXT1_EEEvE4typeEPT_S4_S4_,@function
_Z33warp_inclusive_scan_reduce_kernelIiLj1ELj37EENSt9enable_ifIXsr10test_utilsE35device_test_enabled_for_warp_size_vIXT1_EEEvE4typeEPT_S4_S4_: ; @_Z33warp_inclusive_scan_reduce_kernelIiLj1ELj37EENSt9enable_ifIXsr10test_utilsE35device_test_enabled_for_warp_size_vIXT1_EEEvE4typeEPT_S4_S4_
; %bb.0:
	s_load_dwordx4 s[0:3], s[4:5], 0x0
	s_mov_b32 s7, 0
	v_mbcnt_lo_u32_b32 v0, -1, 0
	s_lshl_b64 s[8:9], s[6:7], 2
	v_mbcnt_hi_u32_b32 v0, -1, v0
	s_mov_b32 s7, 0x6eb3e46
	v_mul_hi_u32 v1, v0, s7
	s_waitcnt lgkmcnt(0)
	s_add_u32 s0, s0, s8
	s_addc_u32 s1, s1, s9
	s_load_dword s12, s[0:1], 0x0
	s_bitcmp1_b32 s6, 0
	s_load_dwordx2 s[4:5], s[4:5], 0x10
	v_mul_u32_u24_e32 v1, 37, v1
	s_cselect_b64 s[0:1], -1, 0
	v_sub_u32_e32 v1, v0, v1
	s_and_b64 vcc, exec, s[0:1]
	v_cmp_ne_u32_e64 s[0:1], 0, v1
	v_readfirstlane_b32 s7, v1
	v_lshlrev_b32_e32 v0, 2, v1
	v_cndmask_b32_e64 v1, 0, 1, s[0:1]
	s_waitcnt lgkmcnt(0)
	v_mov_b32_e32 v2, s12
	v_cmp_ne_u32_e64 s[0:1], 1, v1
	ds_write_b32 v0, v2
	s_cbranch_vccz .LBB68_3
; %bb.1:
	s_and_b64 vcc, exec, s[0:1]
	; wave barrier
	s_cbranch_vccnz .LBB68_4
; %bb.2:
	v_add_u32_e32 v1, -4, v0
	ds_read_b32 v1, v1
	s_waitcnt lgkmcnt(0)
	v_add_u32_e32 v1, s12, v1
	s_branch .LBB68_5
.LBB68_3:
                                        ; implicit-def: $vgpr1
	s_cbranch_execnz .LBB68_28
	s_branch .LBB68_54
.LBB68_4:
	v_mov_b32_e32 v1, s12
.LBB68_5:
	s_and_b64 vcc, exec, s[0:1]
	; wave barrier
	s_cbranch_vccnz .LBB68_7
; %bb.6:
	ds_write_b32 v0, v1
.LBB68_7:
	s_cmp_gt_u32 s7, 1
	s_cselect_b64 s[10:11], -1, 0
	s_cmp_lt_u32 s7, 2
	; wave barrier
	s_cbranch_scc1 .LBB68_9
; %bb.8:
	v_add_u32_e32 v2, -8, v0
	ds_read_b32 v2, v2
	s_waitcnt lgkmcnt(0)
	v_add_u32_e32 v1, v2, v1
.LBB68_9:
	s_andn2_b64 vcc, exec, s[10:11]
	; wave barrier
	s_cbranch_vccnz .LBB68_11
; %bb.10:
	ds_write_b32 v0, v1
.LBB68_11:
	s_cmp_gt_u32 s7, 3
	s_cselect_b64 s[10:11], -1, 0
	s_cmp_lt_u32 s7, 4
	; wave barrier
	s_cbranch_scc1 .LBB68_13
; %bb.12:
	v_add_u32_e32 v2, -16, v0
	ds_read_b32 v2, v2
	s_waitcnt lgkmcnt(0)
	v_add_u32_e32 v1, v2, v1
.LBB68_13:
	s_andn2_b64 vcc, exec, s[10:11]
	; wave barrier
	s_cbranch_vccnz .LBB68_15
; %bb.14:
	ds_write_b32 v0, v1
.LBB68_15:
	s_cmp_gt_u32 s7, 7
	s_cselect_b64 s[10:11], -1, 0
	s_cmp_lt_u32 s7, 8
	; wave barrier
	s_cbranch_scc1 .LBB68_17
; %bb.16:
	v_subrev_u32_e32 v2, 32, v0
	ds_read_b32 v2, v2
	s_waitcnt lgkmcnt(0)
	v_add_u32_e32 v1, v2, v1
.LBB68_17:
	s_andn2_b64 vcc, exec, s[10:11]
	; wave barrier
	s_cbranch_vccnz .LBB68_19
; %bb.18:
	ds_write_b32 v0, v1
.LBB68_19:
	s_cmp_gt_u32 s7, 15
	s_cselect_b64 s[10:11], -1, 0
	s_cmp_lt_u32 s7, 16
	; wave barrier
	s_cbranch_scc1 .LBB68_21
; %bb.20:
	v_subrev_u32_e32 v2, 64, v0
	ds_read_b32 v2, v2
	s_waitcnt lgkmcnt(0)
	v_add_u32_e32 v1, v2, v1
.LBB68_21:
	s_andn2_b64 vcc, exec, s[10:11]
	; wave barrier
	s_cbranch_vccnz .LBB68_23
; %bb.22:
	ds_write_b32 v0, v1
.LBB68_23:
	s_cmp_gt_u32 s7, 31
	s_cselect_b64 s[10:11], -1, 0
	s_cmp_lt_u32 s7, 32
	; wave barrier
	s_cbranch_scc1 .LBB68_25
; %bb.24:
	v_add_u32_e32 v2, 0xffffff80, v0
	ds_read_b32 v2, v2
	s_waitcnt lgkmcnt(0)
	v_add_u32_e32 v1, v2, v1
.LBB68_25:
	s_andn2_b64 vcc, exec, s[10:11]
	; wave barrier
	s_cbranch_vccnz .LBB68_27
; %bb.26:
	ds_write_b32 v0, v1
.LBB68_27:
	; wave barrier
	s_branch .LBB68_54
.LBB68_28:
	s_and_b64 vcc, exec, s[0:1]
	; wave barrier
	s_cbranch_vccnz .LBB68_30
; %bb.29:
	v_add_u32_e32 v1, -4, v0
	ds_read_b32 v1, v1
	s_waitcnt lgkmcnt(0)
	v_add_u32_e32 v1, s12, v1
	s_branch .LBB68_31
.LBB68_30:
	v_mov_b32_e32 v1, s12
.LBB68_31:
	s_and_b64 vcc, exec, s[0:1]
	; wave barrier
	s_cbranch_vccnz .LBB68_33
; %bb.32:
	ds_write_b32 v0, v1
.LBB68_33:
	s_cmp_gt_u32 s7, 1
	s_cselect_b64 s[0:1], -1, 0
	s_cmp_lt_u32 s7, 2
	; wave barrier
	s_cbranch_scc1 .LBB68_35
; %bb.34:
	v_add_u32_e32 v2, -8, v0
	ds_read_b32 v2, v2
	s_waitcnt lgkmcnt(0)
	v_add_u32_e32 v1, v2, v1
.LBB68_35:
	s_andn2_b64 vcc, exec, s[0:1]
	; wave barrier
	s_cbranch_vccnz .LBB68_37
; %bb.36:
	ds_write_b32 v0, v1
.LBB68_37:
	s_cmp_gt_u32 s7, 3
	s_cselect_b64 s[0:1], -1, 0
	s_cmp_lt_u32 s7, 4
	; wave barrier
	s_cbranch_scc1 .LBB68_39
; %bb.38:
	v_add_u32_e32 v2, -16, v0
	ds_read_b32 v2, v2
	s_waitcnt lgkmcnt(0)
	v_add_u32_e32 v1, v2, v1
.LBB68_39:
	s_andn2_b64 vcc, exec, s[0:1]
	; wave barrier
	s_cbranch_vccnz .LBB68_41
; %bb.40:
	ds_write_b32 v0, v1
.LBB68_41:
	s_cmp_gt_u32 s7, 7
	s_cselect_b64 s[0:1], -1, 0
	s_cmp_lt_u32 s7, 8
	; wave barrier
	s_cbranch_scc1 .LBB68_43
; %bb.42:
	v_subrev_u32_e32 v2, 32, v0
	ds_read_b32 v2, v2
	s_waitcnt lgkmcnt(0)
	v_add_u32_e32 v1, v2, v1
.LBB68_43:
	s_andn2_b64 vcc, exec, s[0:1]
	; wave barrier
	s_cbranch_vccnz .LBB68_45
; %bb.44:
	ds_write_b32 v0, v1
.LBB68_45:
	s_cmp_gt_u32 s7, 15
	s_cselect_b64 s[0:1], -1, 0
	s_cmp_lt_u32 s7, 16
	; wave barrier
	s_cbranch_scc1 .LBB68_47
; %bb.46:
	v_subrev_u32_e32 v2, 64, v0
	ds_read_b32 v2, v2
	s_waitcnt lgkmcnt(0)
	v_add_u32_e32 v1, v2, v1
.LBB68_47:
	s_andn2_b64 vcc, exec, s[0:1]
	; wave barrier
	s_cbranch_vccnz .LBB68_49
; %bb.48:
	ds_write_b32 v0, v1
.LBB68_49:
	s_cmp_gt_u32 s7, 31
	s_cselect_b64 s[0:1], -1, 0
	s_cmp_lt_u32 s7, 32
	; wave barrier
	s_cbranch_scc1 .LBB68_51
; %bb.50:
	v_add_u32_e32 v2, 0xffffff80, v0
	ds_read_b32 v2, v2
	s_waitcnt lgkmcnt(0)
	v_add_u32_e32 v1, v2, v1
.LBB68_51:
	s_andn2_b64 vcc, exec, s[0:1]
	; wave barrier
	s_cbranch_vccnz .LBB68_53
; %bb.52:
	ds_write_b32 v0, v1
.LBB68_53:
	; wave barrier
.LBB68_54:
	s_add_u32 s0, s2, s8
	s_addc_u32 s1, s3, s9
	v_mov_b32_e32 v0, 0
	global_store_dword v0, v1, s[0:1]
	s_branch .LBB68_56
; %bb.55:
	s_endpgm
.LBB68_56:
	s_mul_hi_u32 s0, s6, 0xbacf914d
	s_sub_i32 s1, s6, s0
	ds_read_b32 v0, v0 offset:144
	s_lshr_b32 s1, s1, 1
	s_add_i32 s1, s1, s0
	s_lshr_b32 s0, s1, 3
	s_and_b32 s0, s0, 0x1ffffffc
	v_mov_b32_e32 v1, s0
	s_waitcnt lgkmcnt(0)
	global_store_dword v1, v0, s[4:5]
	s_endpgm
	.section	.rodata,"a",@progbits
	.p2align	6, 0x0
	.amdhsa_kernel _Z33warp_inclusive_scan_reduce_kernelIiLj1ELj37EENSt9enable_ifIXsr10test_utilsE35device_test_enabled_for_warp_size_vIXT1_EEEvE4typeEPT_S4_S4_
		.amdhsa_group_segment_fixed_size 148
		.amdhsa_private_segment_fixed_size 0
		.amdhsa_kernarg_size 24
		.amdhsa_user_sgpr_count 6
		.amdhsa_user_sgpr_private_segment_buffer 1
		.amdhsa_user_sgpr_dispatch_ptr 0
		.amdhsa_user_sgpr_queue_ptr 0
		.amdhsa_user_sgpr_kernarg_segment_ptr 1
		.amdhsa_user_sgpr_dispatch_id 0
		.amdhsa_user_sgpr_flat_scratch_init 0
		.amdhsa_user_sgpr_private_segment_size 0
		.amdhsa_uses_dynamic_stack 0
		.amdhsa_system_sgpr_private_segment_wavefront_offset 0
		.amdhsa_system_sgpr_workgroup_id_x 1
		.amdhsa_system_sgpr_workgroup_id_y 0
		.amdhsa_system_sgpr_workgroup_id_z 0
		.amdhsa_system_sgpr_workgroup_info 0
		.amdhsa_system_vgpr_workitem_id 0
		.amdhsa_next_free_vgpr 3
		.amdhsa_next_free_sgpr 13
		.amdhsa_reserve_vcc 1
		.amdhsa_reserve_flat_scratch 0
		.amdhsa_float_round_mode_32 0
		.amdhsa_float_round_mode_16_64 0
		.amdhsa_float_denorm_mode_32 3
		.amdhsa_float_denorm_mode_16_64 3
		.amdhsa_dx10_clamp 1
		.amdhsa_ieee_mode 1
		.amdhsa_fp16_overflow 0
		.amdhsa_exception_fp_ieee_invalid_op 0
		.amdhsa_exception_fp_denorm_src 0
		.amdhsa_exception_fp_ieee_div_zero 0
		.amdhsa_exception_fp_ieee_overflow 0
		.amdhsa_exception_fp_ieee_underflow 0
		.amdhsa_exception_fp_ieee_inexact 0
		.amdhsa_exception_int_div_zero 0
	.end_amdhsa_kernel
	.section	.text._Z33warp_inclusive_scan_reduce_kernelIiLj1ELj37EENSt9enable_ifIXsr10test_utilsE35device_test_enabled_for_warp_size_vIXT1_EEEvE4typeEPT_S4_S4_,"axG",@progbits,_Z33warp_inclusive_scan_reduce_kernelIiLj1ELj37EENSt9enable_ifIXsr10test_utilsE35device_test_enabled_for_warp_size_vIXT1_EEEvE4typeEPT_S4_S4_,comdat
.Lfunc_end68:
	.size	_Z33warp_inclusive_scan_reduce_kernelIiLj1ELj37EENSt9enable_ifIXsr10test_utilsE35device_test_enabled_for_warp_size_vIXT1_EEEvE4typeEPT_S4_S4_, .Lfunc_end68-_Z33warp_inclusive_scan_reduce_kernelIiLj1ELj37EENSt9enable_ifIXsr10test_utilsE35device_test_enabled_for_warp_size_vIXT1_EEEvE4typeEPT_S4_S4_
                                        ; -- End function
	.set _Z33warp_inclusive_scan_reduce_kernelIiLj1ELj37EENSt9enable_ifIXsr10test_utilsE35device_test_enabled_for_warp_size_vIXT1_EEEvE4typeEPT_S4_S4_.num_vgpr, 3
	.set _Z33warp_inclusive_scan_reduce_kernelIiLj1ELj37EENSt9enable_ifIXsr10test_utilsE35device_test_enabled_for_warp_size_vIXT1_EEEvE4typeEPT_S4_S4_.num_agpr, 0
	.set _Z33warp_inclusive_scan_reduce_kernelIiLj1ELj37EENSt9enable_ifIXsr10test_utilsE35device_test_enabled_for_warp_size_vIXT1_EEEvE4typeEPT_S4_S4_.numbered_sgpr, 13
	.set _Z33warp_inclusive_scan_reduce_kernelIiLj1ELj37EENSt9enable_ifIXsr10test_utilsE35device_test_enabled_for_warp_size_vIXT1_EEEvE4typeEPT_S4_S4_.num_named_barrier, 0
	.set _Z33warp_inclusive_scan_reduce_kernelIiLj1ELj37EENSt9enable_ifIXsr10test_utilsE35device_test_enabled_for_warp_size_vIXT1_EEEvE4typeEPT_S4_S4_.private_seg_size, 0
	.set _Z33warp_inclusive_scan_reduce_kernelIiLj1ELj37EENSt9enable_ifIXsr10test_utilsE35device_test_enabled_for_warp_size_vIXT1_EEEvE4typeEPT_S4_S4_.uses_vcc, 1
	.set _Z33warp_inclusive_scan_reduce_kernelIiLj1ELj37EENSt9enable_ifIXsr10test_utilsE35device_test_enabled_for_warp_size_vIXT1_EEEvE4typeEPT_S4_S4_.uses_flat_scratch, 0
	.set _Z33warp_inclusive_scan_reduce_kernelIiLj1ELj37EENSt9enable_ifIXsr10test_utilsE35device_test_enabled_for_warp_size_vIXT1_EEEvE4typeEPT_S4_S4_.has_dyn_sized_stack, 0
	.set _Z33warp_inclusive_scan_reduce_kernelIiLj1ELj37EENSt9enable_ifIXsr10test_utilsE35device_test_enabled_for_warp_size_vIXT1_EEEvE4typeEPT_S4_S4_.has_recursion, 0
	.set _Z33warp_inclusive_scan_reduce_kernelIiLj1ELj37EENSt9enable_ifIXsr10test_utilsE35device_test_enabled_for_warp_size_vIXT1_EEEvE4typeEPT_S4_S4_.has_indirect_call, 0
	.section	.AMDGPU.csdata,"",@progbits
; Kernel info:
; codeLenInByte = 880
; TotalNumSgprs: 17
; NumVgprs: 3
; ScratchSize: 0
; MemoryBound: 0
; FloatMode: 240
; IeeeMode: 1
; LDSByteSize: 148 bytes/workgroup (compile time only)
; SGPRBlocks: 2
; VGPRBlocks: 0
; NumSGPRsForWavesPerEU: 17
; NumVGPRsForWavesPerEU: 3
; Occupancy: 10
; WaveLimiterHint : 0
; COMPUTE_PGM_RSRC2:SCRATCH_EN: 0
; COMPUTE_PGM_RSRC2:USER_SGPR: 6
; COMPUTE_PGM_RSRC2:TRAP_HANDLER: 0
; COMPUTE_PGM_RSRC2:TGID_X_EN: 1
; COMPUTE_PGM_RSRC2:TGID_Y_EN: 0
; COMPUTE_PGM_RSRC2:TGID_Z_EN: 0
; COMPUTE_PGM_RSRC2:TIDIG_COMP_CNT: 0
	.section	.text._Z33warp_inclusive_scan_reduce_kernelIiLj37ELj37EENSt9enable_ifIXsr10test_utilsE35device_test_enabled_for_warp_size_vIXT1_EEEvE4typeEPT_S4_S4_,"axG",@progbits,_Z33warp_inclusive_scan_reduce_kernelIiLj37ELj37EENSt9enable_ifIXsr10test_utilsE35device_test_enabled_for_warp_size_vIXT1_EEEvE4typeEPT_S4_S4_,comdat
	.protected	_Z33warp_inclusive_scan_reduce_kernelIiLj37ELj37EENSt9enable_ifIXsr10test_utilsE35device_test_enabled_for_warp_size_vIXT1_EEEvE4typeEPT_S4_S4_ ; -- Begin function _Z33warp_inclusive_scan_reduce_kernelIiLj37ELj37EENSt9enable_ifIXsr10test_utilsE35device_test_enabled_for_warp_size_vIXT1_EEEvE4typeEPT_S4_S4_
	.globl	_Z33warp_inclusive_scan_reduce_kernelIiLj37ELj37EENSt9enable_ifIXsr10test_utilsE35device_test_enabled_for_warp_size_vIXT1_EEEvE4typeEPT_S4_S4_
	.p2align	8
	.type	_Z33warp_inclusive_scan_reduce_kernelIiLj37ELj37EENSt9enable_ifIXsr10test_utilsE35device_test_enabled_for_warp_size_vIXT1_EEEvE4typeEPT_S4_S4_,@function
_Z33warp_inclusive_scan_reduce_kernelIiLj37ELj37EENSt9enable_ifIXsr10test_utilsE35device_test_enabled_for_warp_size_vIXT1_EEEvE4typeEPT_S4_S4_: ; @_Z33warp_inclusive_scan_reduce_kernelIiLj37ELj37EENSt9enable_ifIXsr10test_utilsE35device_test_enabled_for_warp_size_vIXT1_EEEvE4typeEPT_S4_S4_
; %bb.0:
	v_mad_u64_u32 v[1:2], s[0:1], s6, 37, v[0:1]
	s_load_dwordx4 s[0:3], s[4:5], 0x0
	s_load_dwordx2 s[8:9], s[4:5], 0x10
	v_mov_b32_e32 v2, 0
	v_lshlrev_b64 v[2:3], 2, v[1:2]
	v_mul_u32_u24_e32 v6, 0x6ec, v0
	s_waitcnt lgkmcnt(0)
	v_mov_b32_e32 v5, s1
	v_add_co_u32_e32 v4, vcc, s0, v2
	v_addc_co_u32_e32 v5, vcc, v5, v3, vcc
	global_load_dword v5, v[4:5], off
	v_mbcnt_lo_u32_b32 v4, -1, 0
	s_mov_b32 s0, 0x6eb3e46
	v_mbcnt_hi_u32_b32 v7, -1, v4
	v_mul_hi_u32 v8, v7, s0
	v_lshrrev_b32_e32 v4, 16, v6
	s_bitcmp1_b32 s6, 0
	s_movk_i32 s4, 0x94
	v_mul_u32_u24_e32 v6, 37, v8
	v_sub_u32_e32 v7, v7, v6
	s_cselect_b64 s[0:1], -1, 0
	v_lshlrev_b32_e32 v6, 2, v7
	s_and_b64 vcc, exec, s[0:1]
	v_cmp_ne_u32_e64 s[0:1], 0, v7
	v_mad_u32_u24 v6, v4, s4, v6
	s_waitcnt vmcnt(0)
	ds_write_b32 v6, v5
	s_cbranch_vccz .LBB69_26
; %bb.1:
	v_mov_b32_e32 v8, v5
	; wave barrier
	s_and_saveexec_b64 s[4:5], s[0:1]
	s_cbranch_execz .LBB69_3
; %bb.2:
	v_add_u32_e32 v8, -4, v6
	ds_read_b32 v8, v8
	s_waitcnt lgkmcnt(0)
	v_add_u32_e32 v8, v8, v5
.LBB69_3:
	s_or_b64 exec, exec, s[4:5]
	; wave barrier
	s_and_saveexec_b64 s[4:5], s[0:1]
; %bb.4:
	ds_write_b32 v6, v8
; %bb.5:
	s_or_b64 exec, exec, s[4:5]
	v_cmp_lt_u32_e32 vcc, 1, v7
	; wave barrier
	s_and_saveexec_b64 s[4:5], vcc
	s_cbranch_execz .LBB69_7
; %bb.6:
	v_add_u32_e32 v9, -8, v6
	ds_read_b32 v9, v9
	s_waitcnt lgkmcnt(0)
	v_add_u32_e32 v8, v9, v8
.LBB69_7:
	s_or_b64 exec, exec, s[4:5]
	; wave barrier
	s_and_saveexec_b64 s[4:5], vcc
; %bb.8:
	ds_write_b32 v6, v8
; %bb.9:
	s_or_b64 exec, exec, s[4:5]
	v_cmp_lt_u32_e32 vcc, 3, v7
	; wave barrier
	s_and_saveexec_b64 s[4:5], vcc
	s_cbranch_execz .LBB69_11
; %bb.10:
	v_add_u32_e32 v9, -16, v6
	ds_read_b32 v9, v9
	s_waitcnt lgkmcnt(0)
	v_add_u32_e32 v8, v9, v8
.LBB69_11:
	s_or_b64 exec, exec, s[4:5]
	; wave barrier
	s_and_saveexec_b64 s[4:5], vcc
; %bb.12:
	ds_write_b32 v6, v8
; %bb.13:
	s_or_b64 exec, exec, s[4:5]
	v_cmp_lt_u32_e32 vcc, 7, v7
	; wave barrier
	s_and_saveexec_b64 s[4:5], vcc
	s_cbranch_execz .LBB69_15
; %bb.14:
	v_subrev_u32_e32 v9, 32, v6
	ds_read_b32 v9, v9
	s_waitcnt lgkmcnt(0)
	v_add_u32_e32 v8, v9, v8
.LBB69_15:
	s_or_b64 exec, exec, s[4:5]
	; wave barrier
	s_and_saveexec_b64 s[4:5], vcc
; %bb.16:
	ds_write_b32 v6, v8
; %bb.17:
	s_or_b64 exec, exec, s[4:5]
	v_cmp_lt_u32_e32 vcc, 15, v7
	; wave barrier
	s_and_saveexec_b64 s[4:5], vcc
	s_cbranch_execz .LBB69_19
; %bb.18:
	v_subrev_u32_e32 v9, 64, v6
	ds_read_b32 v9, v9
	s_waitcnt lgkmcnt(0)
	v_add_u32_e32 v8, v9, v8
.LBB69_19:
	s_or_b64 exec, exec, s[4:5]
	; wave barrier
	s_and_saveexec_b64 s[4:5], vcc
; %bb.20:
	ds_write_b32 v6, v8
; %bb.21:
	s_or_b64 exec, exec, s[4:5]
	v_cmp_lt_u32_e32 vcc, 31, v7
	; wave barrier
	s_and_saveexec_b64 s[4:5], vcc
	s_cbranch_execz .LBB69_23
; %bb.22:
	v_add_u32_e32 v9, 0xffffff80, v6
	ds_read_b32 v9, v9
	s_waitcnt lgkmcnt(0)
	v_add_u32_e32 v8, v9, v8
.LBB69_23:
	s_or_b64 exec, exec, s[4:5]
	; wave barrier
	s_and_saveexec_b64 s[4:5], vcc
; %bb.24:
	ds_write_b32 v6, v8
; %bb.25:
	s_or_b64 exec, exec, s[4:5]
	; wave barrier
	s_branch .LBB69_52
.LBB69_26:
                                        ; implicit-def: $vgpr8
	s_cbranch_execz .LBB69_52
; %bb.27:
	; wave barrier
	s_and_saveexec_b64 s[4:5], s[0:1]
	s_cbranch_execz .LBB69_29
; %bb.28:
	v_add_u32_e32 v8, -4, v6
	ds_read_b32 v8, v8
	s_waitcnt lgkmcnt(0)
	v_add_u32_e32 v5, v8, v5
.LBB69_29:
	s_or_b64 exec, exec, s[4:5]
	; wave barrier
	s_and_saveexec_b64 s[4:5], s[0:1]
; %bb.30:
	ds_write_b32 v6, v5
; %bb.31:
	s_or_b64 exec, exec, s[4:5]
	v_cmp_lt_u32_e32 vcc, 1, v7
	; wave barrier
	s_and_saveexec_b64 s[0:1], vcc
	s_cbranch_execz .LBB69_33
; %bb.32:
	v_add_u32_e32 v8, -8, v6
	ds_read_b32 v8, v8
	s_waitcnt lgkmcnt(0)
	v_add_u32_e32 v5, v8, v5
.LBB69_33:
	s_or_b64 exec, exec, s[0:1]
	; wave barrier
	s_and_saveexec_b64 s[0:1], vcc
; %bb.34:
	ds_write_b32 v6, v5
; %bb.35:
	s_or_b64 exec, exec, s[0:1]
	v_cmp_lt_u32_e32 vcc, 3, v7
	; wave barrier
	s_and_saveexec_b64 s[0:1], vcc
	s_cbranch_execz .LBB69_37
; %bb.36:
	v_add_u32_e32 v8, -16, v6
	ds_read_b32 v8, v8
	s_waitcnt lgkmcnt(0)
	v_add_u32_e32 v5, v8, v5
.LBB69_37:
	s_or_b64 exec, exec, s[0:1]
	; wave barrier
	s_and_saveexec_b64 s[0:1], vcc
; %bb.38:
	ds_write_b32 v6, v5
; %bb.39:
	s_or_b64 exec, exec, s[0:1]
	v_cmp_lt_u32_e32 vcc, 7, v7
	; wave barrier
	s_and_saveexec_b64 s[0:1], vcc
	s_cbranch_execz .LBB69_41
; %bb.40:
	v_subrev_u32_e32 v8, 32, v6
	ds_read_b32 v8, v8
	s_waitcnt lgkmcnt(0)
	v_add_u32_e32 v5, v8, v5
.LBB69_41:
	s_or_b64 exec, exec, s[0:1]
	; wave barrier
	s_and_saveexec_b64 s[0:1], vcc
; %bb.42:
	ds_write_b32 v6, v5
; %bb.43:
	s_or_b64 exec, exec, s[0:1]
	v_cmp_lt_u32_e32 vcc, 15, v7
	; wave barrier
	s_and_saveexec_b64 s[0:1], vcc
	s_cbranch_execz .LBB69_45
; %bb.44:
	v_subrev_u32_e32 v8, 64, v6
	ds_read_b32 v8, v8
	s_waitcnt lgkmcnt(0)
	v_add_u32_e32 v5, v8, v5
.LBB69_45:
	s_or_b64 exec, exec, s[0:1]
	; wave barrier
	s_and_saveexec_b64 s[0:1], vcc
; %bb.46:
	ds_write_b32 v6, v5
; %bb.47:
	s_or_b64 exec, exec, s[0:1]
	v_cmp_lt_u32_e32 vcc, 31, v7
	; wave barrier
	s_and_saveexec_b64 s[0:1], vcc
	s_cbranch_execz .LBB69_49
; %bb.48:
	v_add_u32_e32 v7, 0xffffff80, v6
	ds_read_b32 v7, v7
	s_waitcnt lgkmcnt(0)
	v_add_u32_e32 v5, v7, v5
.LBB69_49:
	s_or_b64 exec, exec, s[0:1]
	; wave barrier
	s_and_saveexec_b64 s[0:1], vcc
; %bb.50:
	ds_write_b32 v6, v5
; %bb.51:
	s_or_b64 exec, exec, s[0:1]
	v_mov_b32_e32 v8, v5
	; wave barrier
.LBB69_52:
	v_mov_b32_e32 v6, s3
	v_add_co_u32_e32 v2, vcc, s2, v2
	v_addc_co_u32_e32 v3, vcc, v6, v3, vcc
	global_store_dword v[2:3], v8, off
	v_mul_lo_u16_e32 v2, 37, v4
	v_sub_u16_e32 v0, v0, v2
	v_mul_u32_u24_e32 v5, 0x94, v4
	v_cmp_eq_u16_e32 vcc, 0, v0
	s_and_saveexec_b64 s[0:1], vcc
	s_cbranch_execz .LBB69_54
; %bb.53:
	s_mov_b32 s0, 0xbacf914d
	v_mul_hi_u32 v0, v1, s0
	ds_read_b32 v2, v5 offset:144
	v_sub_u32_e32 v1, v1, v0
	v_lshrrev_b32_e32 v1, 1, v1
	v_add_u32_e32 v0, v1, v0
	v_lshrrev_b32_e32 v0, 3, v0
	v_and_b32_e32 v0, 0x1ffffffc, v0
	s_waitcnt lgkmcnt(0)
	global_store_dword v0, v2, s[8:9]
.LBB69_54:
	s_endpgm
	.section	.rodata,"a",@progbits
	.p2align	6, 0x0
	.amdhsa_kernel _Z33warp_inclusive_scan_reduce_kernelIiLj37ELj37EENSt9enable_ifIXsr10test_utilsE35device_test_enabled_for_warp_size_vIXT1_EEEvE4typeEPT_S4_S4_
		.amdhsa_group_segment_fixed_size 148
		.amdhsa_private_segment_fixed_size 0
		.amdhsa_kernarg_size 24
		.amdhsa_user_sgpr_count 6
		.amdhsa_user_sgpr_private_segment_buffer 1
		.amdhsa_user_sgpr_dispatch_ptr 0
		.amdhsa_user_sgpr_queue_ptr 0
		.amdhsa_user_sgpr_kernarg_segment_ptr 1
		.amdhsa_user_sgpr_dispatch_id 0
		.amdhsa_user_sgpr_flat_scratch_init 0
		.amdhsa_user_sgpr_private_segment_size 0
		.amdhsa_uses_dynamic_stack 0
		.amdhsa_system_sgpr_private_segment_wavefront_offset 0
		.amdhsa_system_sgpr_workgroup_id_x 1
		.amdhsa_system_sgpr_workgroup_id_y 0
		.amdhsa_system_sgpr_workgroup_id_z 0
		.amdhsa_system_sgpr_workgroup_info 0
		.amdhsa_system_vgpr_workitem_id 0
		.amdhsa_next_free_vgpr 10
		.amdhsa_next_free_sgpr 10
		.amdhsa_reserve_vcc 1
		.amdhsa_reserve_flat_scratch 0
		.amdhsa_float_round_mode_32 0
		.amdhsa_float_round_mode_16_64 0
		.amdhsa_float_denorm_mode_32 3
		.amdhsa_float_denorm_mode_16_64 3
		.amdhsa_dx10_clamp 1
		.amdhsa_ieee_mode 1
		.amdhsa_fp16_overflow 0
		.amdhsa_exception_fp_ieee_invalid_op 0
		.amdhsa_exception_fp_denorm_src 0
		.amdhsa_exception_fp_ieee_div_zero 0
		.amdhsa_exception_fp_ieee_overflow 0
		.amdhsa_exception_fp_ieee_underflow 0
		.amdhsa_exception_fp_ieee_inexact 0
		.amdhsa_exception_int_div_zero 0
	.end_amdhsa_kernel
	.section	.text._Z33warp_inclusive_scan_reduce_kernelIiLj37ELj37EENSt9enable_ifIXsr10test_utilsE35device_test_enabled_for_warp_size_vIXT1_EEEvE4typeEPT_S4_S4_,"axG",@progbits,_Z33warp_inclusive_scan_reduce_kernelIiLj37ELj37EENSt9enable_ifIXsr10test_utilsE35device_test_enabled_for_warp_size_vIXT1_EEEvE4typeEPT_S4_S4_,comdat
.Lfunc_end69:
	.size	_Z33warp_inclusive_scan_reduce_kernelIiLj37ELj37EENSt9enable_ifIXsr10test_utilsE35device_test_enabled_for_warp_size_vIXT1_EEEvE4typeEPT_S4_S4_, .Lfunc_end69-_Z33warp_inclusive_scan_reduce_kernelIiLj37ELj37EENSt9enable_ifIXsr10test_utilsE35device_test_enabled_for_warp_size_vIXT1_EEEvE4typeEPT_S4_S4_
                                        ; -- End function
	.set _Z33warp_inclusive_scan_reduce_kernelIiLj37ELj37EENSt9enable_ifIXsr10test_utilsE35device_test_enabled_for_warp_size_vIXT1_EEEvE4typeEPT_S4_S4_.num_vgpr, 10
	.set _Z33warp_inclusive_scan_reduce_kernelIiLj37ELj37EENSt9enable_ifIXsr10test_utilsE35device_test_enabled_for_warp_size_vIXT1_EEEvE4typeEPT_S4_S4_.num_agpr, 0
	.set _Z33warp_inclusive_scan_reduce_kernelIiLj37ELj37EENSt9enable_ifIXsr10test_utilsE35device_test_enabled_for_warp_size_vIXT1_EEEvE4typeEPT_S4_S4_.numbered_sgpr, 10
	.set _Z33warp_inclusive_scan_reduce_kernelIiLj37ELj37EENSt9enable_ifIXsr10test_utilsE35device_test_enabled_for_warp_size_vIXT1_EEEvE4typeEPT_S4_S4_.num_named_barrier, 0
	.set _Z33warp_inclusive_scan_reduce_kernelIiLj37ELj37EENSt9enable_ifIXsr10test_utilsE35device_test_enabled_for_warp_size_vIXT1_EEEvE4typeEPT_S4_S4_.private_seg_size, 0
	.set _Z33warp_inclusive_scan_reduce_kernelIiLj37ELj37EENSt9enable_ifIXsr10test_utilsE35device_test_enabled_for_warp_size_vIXT1_EEEvE4typeEPT_S4_S4_.uses_vcc, 1
	.set _Z33warp_inclusive_scan_reduce_kernelIiLj37ELj37EENSt9enable_ifIXsr10test_utilsE35device_test_enabled_for_warp_size_vIXT1_EEEvE4typeEPT_S4_S4_.uses_flat_scratch, 0
	.set _Z33warp_inclusive_scan_reduce_kernelIiLj37ELj37EENSt9enable_ifIXsr10test_utilsE35device_test_enabled_for_warp_size_vIXT1_EEEvE4typeEPT_S4_S4_.has_dyn_sized_stack, 0
	.set _Z33warp_inclusive_scan_reduce_kernelIiLj37ELj37EENSt9enable_ifIXsr10test_utilsE35device_test_enabled_for_warp_size_vIXT1_EEEvE4typeEPT_S4_S4_.has_recursion, 0
	.set _Z33warp_inclusive_scan_reduce_kernelIiLj37ELj37EENSt9enable_ifIXsr10test_utilsE35device_test_enabled_for_warp_size_vIXT1_EEEvE4typeEPT_S4_S4_.has_indirect_call, 0
	.section	.AMDGPU.csdata,"",@progbits
; Kernel info:
; codeLenInByte = 916
; TotalNumSgprs: 14
; NumVgprs: 10
; ScratchSize: 0
; MemoryBound: 0
; FloatMode: 240
; IeeeMode: 1
; LDSByteSize: 148 bytes/workgroup (compile time only)
; SGPRBlocks: 1
; VGPRBlocks: 2
; NumSGPRsForWavesPerEU: 14
; NumVGPRsForWavesPerEU: 10
; Occupancy: 10
; WaveLimiterHint : 0
; COMPUTE_PGM_RSRC2:SCRATCH_EN: 0
; COMPUTE_PGM_RSRC2:USER_SGPR: 6
; COMPUTE_PGM_RSRC2:TRAP_HANDLER: 0
; COMPUTE_PGM_RSRC2:TGID_X_EN: 1
; COMPUTE_PGM_RSRC2:TGID_Y_EN: 0
; COMPUTE_PGM_RSRC2:TGID_Z_EN: 0
; COMPUTE_PGM_RSRC2:TIDIG_COMP_CNT: 0
	.section	.text._Z33warp_inclusive_scan_reduce_kernelIiLj30ELj15EENSt9enable_ifIXsr10test_utilsE35device_test_enabled_for_warp_size_vIXT1_EEEvE4typeEPT_S4_S4_,"axG",@progbits,_Z33warp_inclusive_scan_reduce_kernelIiLj30ELj15EENSt9enable_ifIXsr10test_utilsE35device_test_enabled_for_warp_size_vIXT1_EEEvE4typeEPT_S4_S4_,comdat
	.protected	_Z33warp_inclusive_scan_reduce_kernelIiLj30ELj15EENSt9enable_ifIXsr10test_utilsE35device_test_enabled_for_warp_size_vIXT1_EEEvE4typeEPT_S4_S4_ ; -- Begin function _Z33warp_inclusive_scan_reduce_kernelIiLj30ELj15EENSt9enable_ifIXsr10test_utilsE35device_test_enabled_for_warp_size_vIXT1_EEEvE4typeEPT_S4_S4_
	.globl	_Z33warp_inclusive_scan_reduce_kernelIiLj30ELj15EENSt9enable_ifIXsr10test_utilsE35device_test_enabled_for_warp_size_vIXT1_EEEvE4typeEPT_S4_S4_
	.p2align	8
	.type	_Z33warp_inclusive_scan_reduce_kernelIiLj30ELj15EENSt9enable_ifIXsr10test_utilsE35device_test_enabled_for_warp_size_vIXT1_EEEvE4typeEPT_S4_S4_,@function
_Z33warp_inclusive_scan_reduce_kernelIiLj30ELj15EENSt9enable_ifIXsr10test_utilsE35device_test_enabled_for_warp_size_vIXT1_EEEvE4typeEPT_S4_S4_: ; @_Z33warp_inclusive_scan_reduce_kernelIiLj30ELj15EENSt9enable_ifIXsr10test_utilsE35device_test_enabled_for_warp_size_vIXT1_EEEvE4typeEPT_S4_S4_
; %bb.0:
	v_mad_u64_u32 v[1:2], s[0:1], s6, 30, v[0:1]
	s_load_dwordx4 s[0:3], s[4:5], 0x0
	s_load_dwordx2 s[8:9], s[4:5], 0x10
	v_mov_b32_e32 v2, 0
	v_lshlrev_b64 v[2:3], 2, v[1:2]
	v_mul_u32_u24_e32 v6, 0x1112, v0
	s_waitcnt lgkmcnt(0)
	v_mov_b32_e32 v5, s1
	v_add_co_u32_e32 v4, vcc, s0, v2
	v_addc_co_u32_e32 v5, vcc, v5, v3, vcc
	global_load_dword v5, v[4:5], off
	v_mbcnt_lo_u32_b32 v4, -1, 0
	s_mov_b32 s0, 0x11111112
	v_mbcnt_hi_u32_b32 v7, -1, v4
	v_mul_hi_u32 v8, v7, s0
	v_lshrrev_b32_e32 v4, 16, v6
	s_bitcmp1_b32 s6, 0
	s_cselect_b64 s[0:1], -1, 0
	v_mul_u32_u24_e32 v6, 15, v8
	v_sub_u32_e32 v7, v7, v6
	v_lshlrev_b32_e32 v6, 2, v7
	s_and_b64 vcc, exec, s[0:1]
	v_cmp_ne_u32_e64 s[0:1], 0, v7
	v_mad_u32_u24 v6, v4, 60, v6
	s_waitcnt vmcnt(0)
	ds_write_b32 v6, v5
	s_cbranch_vccz .LBB70_18
; %bb.1:
	v_mov_b32_e32 v8, v5
	; wave barrier
	s_and_saveexec_b64 s[4:5], s[0:1]
	s_cbranch_execz .LBB70_3
; %bb.2:
	v_add_u32_e32 v8, -4, v6
	ds_read_b32 v8, v8
	s_waitcnt lgkmcnt(0)
	v_add_u32_e32 v8, v8, v5
.LBB70_3:
	s_or_b64 exec, exec, s[4:5]
	; wave barrier
	s_and_saveexec_b64 s[4:5], s[0:1]
; %bb.4:
	ds_write_b32 v6, v8
; %bb.5:
	s_or_b64 exec, exec, s[4:5]
	v_cmp_lt_u32_e32 vcc, 1, v7
	; wave barrier
	s_and_saveexec_b64 s[4:5], vcc
	s_cbranch_execz .LBB70_7
; %bb.6:
	v_add_u32_e32 v9, -8, v6
	ds_read_b32 v9, v9
	s_waitcnt lgkmcnt(0)
	v_add_u32_e32 v8, v9, v8
.LBB70_7:
	s_or_b64 exec, exec, s[4:5]
	; wave barrier
	s_and_saveexec_b64 s[4:5], vcc
; %bb.8:
	ds_write_b32 v6, v8
; %bb.9:
	s_or_b64 exec, exec, s[4:5]
	v_cmp_lt_u32_e32 vcc, 3, v7
	; wave barrier
	s_and_saveexec_b64 s[4:5], vcc
	s_cbranch_execz .LBB70_11
; %bb.10:
	v_add_u32_e32 v9, -16, v6
	ds_read_b32 v9, v9
	s_waitcnt lgkmcnt(0)
	v_add_u32_e32 v8, v9, v8
.LBB70_11:
	s_or_b64 exec, exec, s[4:5]
	; wave barrier
	s_and_saveexec_b64 s[4:5], vcc
; %bb.12:
	ds_write_b32 v6, v8
; %bb.13:
	s_or_b64 exec, exec, s[4:5]
	v_cmp_lt_u32_e32 vcc, 7, v7
	; wave barrier
	s_and_saveexec_b64 s[4:5], vcc
	s_cbranch_execz .LBB70_15
; %bb.14:
	v_subrev_u32_e32 v9, 32, v6
	ds_read_b32 v9, v9
	s_waitcnt lgkmcnt(0)
	v_add_u32_e32 v8, v9, v8
.LBB70_15:
	s_or_b64 exec, exec, s[4:5]
	; wave barrier
	s_and_saveexec_b64 s[4:5], vcc
; %bb.16:
	ds_write_b32 v6, v8
; %bb.17:
	s_or_b64 exec, exec, s[4:5]
	; wave barrier
	s_branch .LBB70_36
.LBB70_18:
                                        ; implicit-def: $vgpr8
	s_cbranch_execz .LBB70_36
; %bb.19:
	; wave barrier
	s_and_saveexec_b64 s[4:5], s[0:1]
	s_cbranch_execz .LBB70_21
; %bb.20:
	v_add_u32_e32 v8, -4, v6
	ds_read_b32 v8, v8
	s_waitcnt lgkmcnt(0)
	v_add_u32_e32 v5, v8, v5
.LBB70_21:
	s_or_b64 exec, exec, s[4:5]
	; wave barrier
	s_and_saveexec_b64 s[4:5], s[0:1]
; %bb.22:
	ds_write_b32 v6, v5
; %bb.23:
	s_or_b64 exec, exec, s[4:5]
	v_cmp_lt_u32_e32 vcc, 1, v7
	; wave barrier
	s_and_saveexec_b64 s[0:1], vcc
	s_cbranch_execz .LBB70_25
; %bb.24:
	v_add_u32_e32 v8, -8, v6
	ds_read_b32 v8, v8
	s_waitcnt lgkmcnt(0)
	v_add_u32_e32 v5, v8, v5
.LBB70_25:
	s_or_b64 exec, exec, s[0:1]
	; wave barrier
	s_and_saveexec_b64 s[0:1], vcc
; %bb.26:
	ds_write_b32 v6, v5
; %bb.27:
	s_or_b64 exec, exec, s[0:1]
	v_cmp_lt_u32_e32 vcc, 3, v7
	; wave barrier
	s_and_saveexec_b64 s[0:1], vcc
	s_cbranch_execz .LBB70_29
; %bb.28:
	v_add_u32_e32 v8, -16, v6
	ds_read_b32 v8, v8
	s_waitcnt lgkmcnt(0)
	v_add_u32_e32 v5, v8, v5
.LBB70_29:
	s_or_b64 exec, exec, s[0:1]
	; wave barrier
	s_and_saveexec_b64 s[0:1], vcc
; %bb.30:
	ds_write_b32 v6, v5
; %bb.31:
	s_or_b64 exec, exec, s[0:1]
	v_cmp_lt_u32_e32 vcc, 7, v7
	; wave barrier
	s_and_saveexec_b64 s[0:1], vcc
	s_cbranch_execz .LBB70_33
; %bb.32:
	v_subrev_u32_e32 v7, 32, v6
	ds_read_b32 v7, v7
	s_waitcnt lgkmcnt(0)
	v_add_u32_e32 v5, v7, v5
.LBB70_33:
	s_or_b64 exec, exec, s[0:1]
	; wave barrier
	s_and_saveexec_b64 s[0:1], vcc
; %bb.34:
	ds_write_b32 v6, v5
; %bb.35:
	s_or_b64 exec, exec, s[0:1]
	v_mov_b32_e32 v8, v5
	; wave barrier
.LBB70_36:
	v_mov_b32_e32 v6, s3
	v_add_co_u32_e32 v2, vcc, s2, v2
	v_addc_co_u32_e32 v3, vcc, v6, v3, vcc
	global_store_dword v[2:3], v8, off
	v_mul_lo_u16_e32 v2, 15, v4
	v_sub_u16_e32 v0, v0, v2
	v_mul_u32_u24_e32 v5, 60, v4
	v_cmp_eq_u16_e32 vcc, 0, v0
	s_and_saveexec_b64 s[0:1], vcc
	s_cbranch_execz .LBB70_38
; %bb.37:
	s_mov_b32 s0, 0x88888889
	v_mul_hi_u32 v0, v1, s0
	ds_read_b32 v1, v5 offset:56
	v_lshrrev_b32_e32 v0, 1, v0
	v_and_b32_e32 v0, 0x7ffffffc, v0
	s_waitcnt lgkmcnt(0)
	global_store_dword v0, v1, s[8:9]
.LBB70_38:
	s_endpgm
	.section	.rodata,"a",@progbits
	.p2align	6, 0x0
	.amdhsa_kernel _Z33warp_inclusive_scan_reduce_kernelIiLj30ELj15EENSt9enable_ifIXsr10test_utilsE35device_test_enabled_for_warp_size_vIXT1_EEEvE4typeEPT_S4_S4_
		.amdhsa_group_segment_fixed_size 120
		.amdhsa_private_segment_fixed_size 0
		.amdhsa_kernarg_size 24
		.amdhsa_user_sgpr_count 6
		.amdhsa_user_sgpr_private_segment_buffer 1
		.amdhsa_user_sgpr_dispatch_ptr 0
		.amdhsa_user_sgpr_queue_ptr 0
		.amdhsa_user_sgpr_kernarg_segment_ptr 1
		.amdhsa_user_sgpr_dispatch_id 0
		.amdhsa_user_sgpr_flat_scratch_init 0
		.amdhsa_user_sgpr_private_segment_size 0
		.amdhsa_uses_dynamic_stack 0
		.amdhsa_system_sgpr_private_segment_wavefront_offset 0
		.amdhsa_system_sgpr_workgroup_id_x 1
		.amdhsa_system_sgpr_workgroup_id_y 0
		.amdhsa_system_sgpr_workgroup_id_z 0
		.amdhsa_system_sgpr_workgroup_info 0
		.amdhsa_system_vgpr_workitem_id 0
		.amdhsa_next_free_vgpr 10
		.amdhsa_next_free_sgpr 10
		.amdhsa_reserve_vcc 1
		.amdhsa_reserve_flat_scratch 0
		.amdhsa_float_round_mode_32 0
		.amdhsa_float_round_mode_16_64 0
		.amdhsa_float_denorm_mode_32 3
		.amdhsa_float_denorm_mode_16_64 3
		.amdhsa_dx10_clamp 1
		.amdhsa_ieee_mode 1
		.amdhsa_fp16_overflow 0
		.amdhsa_exception_fp_ieee_invalid_op 0
		.amdhsa_exception_fp_denorm_src 0
		.amdhsa_exception_fp_ieee_div_zero 0
		.amdhsa_exception_fp_ieee_overflow 0
		.amdhsa_exception_fp_ieee_underflow 0
		.amdhsa_exception_fp_ieee_inexact 0
		.amdhsa_exception_int_div_zero 0
	.end_amdhsa_kernel
	.section	.text._Z33warp_inclusive_scan_reduce_kernelIiLj30ELj15EENSt9enable_ifIXsr10test_utilsE35device_test_enabled_for_warp_size_vIXT1_EEEvE4typeEPT_S4_S4_,"axG",@progbits,_Z33warp_inclusive_scan_reduce_kernelIiLj30ELj15EENSt9enable_ifIXsr10test_utilsE35device_test_enabled_for_warp_size_vIXT1_EEEvE4typeEPT_S4_S4_,comdat
.Lfunc_end70:
	.size	_Z33warp_inclusive_scan_reduce_kernelIiLj30ELj15EENSt9enable_ifIXsr10test_utilsE35device_test_enabled_for_warp_size_vIXT1_EEEvE4typeEPT_S4_S4_, .Lfunc_end70-_Z33warp_inclusive_scan_reduce_kernelIiLj30ELj15EENSt9enable_ifIXsr10test_utilsE35device_test_enabled_for_warp_size_vIXT1_EEEvE4typeEPT_S4_S4_
                                        ; -- End function
	.set _Z33warp_inclusive_scan_reduce_kernelIiLj30ELj15EENSt9enable_ifIXsr10test_utilsE35device_test_enabled_for_warp_size_vIXT1_EEEvE4typeEPT_S4_S4_.num_vgpr, 10
	.set _Z33warp_inclusive_scan_reduce_kernelIiLj30ELj15EENSt9enable_ifIXsr10test_utilsE35device_test_enabled_for_warp_size_vIXT1_EEEvE4typeEPT_S4_S4_.num_agpr, 0
	.set _Z33warp_inclusive_scan_reduce_kernelIiLj30ELj15EENSt9enable_ifIXsr10test_utilsE35device_test_enabled_for_warp_size_vIXT1_EEEvE4typeEPT_S4_S4_.numbered_sgpr, 10
	.set _Z33warp_inclusive_scan_reduce_kernelIiLj30ELj15EENSt9enable_ifIXsr10test_utilsE35device_test_enabled_for_warp_size_vIXT1_EEEvE4typeEPT_S4_S4_.num_named_barrier, 0
	.set _Z33warp_inclusive_scan_reduce_kernelIiLj30ELj15EENSt9enable_ifIXsr10test_utilsE35device_test_enabled_for_warp_size_vIXT1_EEEvE4typeEPT_S4_S4_.private_seg_size, 0
	.set _Z33warp_inclusive_scan_reduce_kernelIiLj30ELj15EENSt9enable_ifIXsr10test_utilsE35device_test_enabled_for_warp_size_vIXT1_EEEvE4typeEPT_S4_S4_.uses_vcc, 1
	.set _Z33warp_inclusive_scan_reduce_kernelIiLj30ELj15EENSt9enable_ifIXsr10test_utilsE35device_test_enabled_for_warp_size_vIXT1_EEEvE4typeEPT_S4_S4_.uses_flat_scratch, 0
	.set _Z33warp_inclusive_scan_reduce_kernelIiLj30ELj15EENSt9enable_ifIXsr10test_utilsE35device_test_enabled_for_warp_size_vIXT1_EEEvE4typeEPT_S4_S4_.has_dyn_sized_stack, 0
	.set _Z33warp_inclusive_scan_reduce_kernelIiLj30ELj15EENSt9enable_ifIXsr10test_utilsE35device_test_enabled_for_warp_size_vIXT1_EEEvE4typeEPT_S4_S4_.has_recursion, 0
	.set _Z33warp_inclusive_scan_reduce_kernelIiLj30ELj15EENSt9enable_ifIXsr10test_utilsE35device_test_enabled_for_warp_size_vIXT1_EEEvE4typeEPT_S4_S4_.has_indirect_call, 0
	.section	.AMDGPU.csdata,"",@progbits
; Kernel info:
; codeLenInByte = 680
; TotalNumSgprs: 14
; NumVgprs: 10
; ScratchSize: 0
; MemoryBound: 0
; FloatMode: 240
; IeeeMode: 1
; LDSByteSize: 120 bytes/workgroup (compile time only)
; SGPRBlocks: 1
; VGPRBlocks: 2
; NumSGPRsForWavesPerEU: 14
; NumVGPRsForWavesPerEU: 10
; Occupancy: 10
; WaveLimiterHint : 0
; COMPUTE_PGM_RSRC2:SCRATCH_EN: 0
; COMPUTE_PGM_RSRC2:USER_SGPR: 6
; COMPUTE_PGM_RSRC2:TRAP_HANDLER: 0
; COMPUTE_PGM_RSRC2:TGID_X_EN: 1
; COMPUTE_PGM_RSRC2:TGID_Y_EN: 0
; COMPUTE_PGM_RSRC2:TGID_Z_EN: 0
; COMPUTE_PGM_RSRC2:TIDIG_COMP_CNT: 0
	.section	.text._Z33warp_inclusive_scan_reduce_kernelIiLj60ELj15EENSt9enable_ifIXsr10test_utilsE35device_test_enabled_for_warp_size_vIXT1_EEEvE4typeEPT_S4_S4_,"axG",@progbits,_Z33warp_inclusive_scan_reduce_kernelIiLj60ELj15EENSt9enable_ifIXsr10test_utilsE35device_test_enabled_for_warp_size_vIXT1_EEEvE4typeEPT_S4_S4_,comdat
	.protected	_Z33warp_inclusive_scan_reduce_kernelIiLj60ELj15EENSt9enable_ifIXsr10test_utilsE35device_test_enabled_for_warp_size_vIXT1_EEEvE4typeEPT_S4_S4_ ; -- Begin function _Z33warp_inclusive_scan_reduce_kernelIiLj60ELj15EENSt9enable_ifIXsr10test_utilsE35device_test_enabled_for_warp_size_vIXT1_EEEvE4typeEPT_S4_S4_
	.globl	_Z33warp_inclusive_scan_reduce_kernelIiLj60ELj15EENSt9enable_ifIXsr10test_utilsE35device_test_enabled_for_warp_size_vIXT1_EEEvE4typeEPT_S4_S4_
	.p2align	8
	.type	_Z33warp_inclusive_scan_reduce_kernelIiLj60ELj15EENSt9enable_ifIXsr10test_utilsE35device_test_enabled_for_warp_size_vIXT1_EEEvE4typeEPT_S4_S4_,@function
_Z33warp_inclusive_scan_reduce_kernelIiLj60ELj15EENSt9enable_ifIXsr10test_utilsE35device_test_enabled_for_warp_size_vIXT1_EEEvE4typeEPT_S4_S4_: ; @_Z33warp_inclusive_scan_reduce_kernelIiLj60ELj15EENSt9enable_ifIXsr10test_utilsE35device_test_enabled_for_warp_size_vIXT1_EEEvE4typeEPT_S4_S4_
; %bb.0:
	v_mad_u64_u32 v[1:2], s[0:1], s6, 60, v[0:1]
	s_load_dwordx4 s[0:3], s[4:5], 0x0
	s_load_dwordx2 s[8:9], s[4:5], 0x10
	v_mov_b32_e32 v2, 0
	v_lshlrev_b64 v[2:3], 2, v[1:2]
	v_mul_u32_u24_e32 v6, 0x1112, v0
	s_waitcnt lgkmcnt(0)
	v_mov_b32_e32 v5, s1
	v_add_co_u32_e32 v4, vcc, s0, v2
	v_addc_co_u32_e32 v5, vcc, v5, v3, vcc
	global_load_dword v5, v[4:5], off
	v_mbcnt_lo_u32_b32 v4, -1, 0
	s_mov_b32 s0, 0x11111112
	v_mbcnt_hi_u32_b32 v7, -1, v4
	v_mul_hi_u32 v8, v7, s0
	v_lshrrev_b32_e32 v4, 16, v6
	s_bitcmp1_b32 s6, 0
	s_cselect_b64 s[0:1], -1, 0
	v_mul_u32_u24_e32 v6, 15, v8
	v_sub_u32_e32 v7, v7, v6
	v_lshlrev_b32_e32 v6, 2, v7
	s_and_b64 vcc, exec, s[0:1]
	v_cmp_ne_u32_e64 s[0:1], 0, v7
	v_mad_u32_u24 v6, v4, 60, v6
	s_waitcnt vmcnt(0)
	ds_write_b32 v6, v5
	s_cbranch_vccz .LBB71_18
; %bb.1:
	v_mov_b32_e32 v8, v5
	; wave barrier
	s_and_saveexec_b64 s[4:5], s[0:1]
	s_cbranch_execz .LBB71_3
; %bb.2:
	v_add_u32_e32 v8, -4, v6
	ds_read_b32 v8, v8
	s_waitcnt lgkmcnt(0)
	v_add_u32_e32 v8, v8, v5
.LBB71_3:
	s_or_b64 exec, exec, s[4:5]
	; wave barrier
	s_and_saveexec_b64 s[4:5], s[0:1]
; %bb.4:
	ds_write_b32 v6, v8
; %bb.5:
	s_or_b64 exec, exec, s[4:5]
	v_cmp_lt_u32_e32 vcc, 1, v7
	; wave barrier
	s_and_saveexec_b64 s[4:5], vcc
	s_cbranch_execz .LBB71_7
; %bb.6:
	v_add_u32_e32 v9, -8, v6
	ds_read_b32 v9, v9
	s_waitcnt lgkmcnt(0)
	v_add_u32_e32 v8, v9, v8
.LBB71_7:
	s_or_b64 exec, exec, s[4:5]
	; wave barrier
	s_and_saveexec_b64 s[4:5], vcc
; %bb.8:
	ds_write_b32 v6, v8
; %bb.9:
	s_or_b64 exec, exec, s[4:5]
	v_cmp_lt_u32_e32 vcc, 3, v7
	; wave barrier
	s_and_saveexec_b64 s[4:5], vcc
	s_cbranch_execz .LBB71_11
; %bb.10:
	v_add_u32_e32 v9, -16, v6
	ds_read_b32 v9, v9
	s_waitcnt lgkmcnt(0)
	v_add_u32_e32 v8, v9, v8
.LBB71_11:
	s_or_b64 exec, exec, s[4:5]
	; wave barrier
	s_and_saveexec_b64 s[4:5], vcc
; %bb.12:
	ds_write_b32 v6, v8
; %bb.13:
	s_or_b64 exec, exec, s[4:5]
	v_cmp_lt_u32_e32 vcc, 7, v7
	; wave barrier
	s_and_saveexec_b64 s[4:5], vcc
	s_cbranch_execz .LBB71_15
; %bb.14:
	v_subrev_u32_e32 v9, 32, v6
	ds_read_b32 v9, v9
	s_waitcnt lgkmcnt(0)
	v_add_u32_e32 v8, v9, v8
.LBB71_15:
	s_or_b64 exec, exec, s[4:5]
	; wave barrier
	s_and_saveexec_b64 s[4:5], vcc
; %bb.16:
	ds_write_b32 v6, v8
; %bb.17:
	s_or_b64 exec, exec, s[4:5]
	; wave barrier
	s_branch .LBB71_36
.LBB71_18:
                                        ; implicit-def: $vgpr8
	s_cbranch_execz .LBB71_36
; %bb.19:
	; wave barrier
	s_and_saveexec_b64 s[4:5], s[0:1]
	s_cbranch_execz .LBB71_21
; %bb.20:
	v_add_u32_e32 v8, -4, v6
	ds_read_b32 v8, v8
	s_waitcnt lgkmcnt(0)
	v_add_u32_e32 v5, v8, v5
.LBB71_21:
	s_or_b64 exec, exec, s[4:5]
	; wave barrier
	s_and_saveexec_b64 s[4:5], s[0:1]
; %bb.22:
	ds_write_b32 v6, v5
; %bb.23:
	s_or_b64 exec, exec, s[4:5]
	v_cmp_lt_u32_e32 vcc, 1, v7
	; wave barrier
	s_and_saveexec_b64 s[0:1], vcc
	s_cbranch_execz .LBB71_25
; %bb.24:
	v_add_u32_e32 v8, -8, v6
	ds_read_b32 v8, v8
	s_waitcnt lgkmcnt(0)
	v_add_u32_e32 v5, v8, v5
.LBB71_25:
	s_or_b64 exec, exec, s[0:1]
	; wave barrier
	s_and_saveexec_b64 s[0:1], vcc
; %bb.26:
	ds_write_b32 v6, v5
; %bb.27:
	s_or_b64 exec, exec, s[0:1]
	v_cmp_lt_u32_e32 vcc, 3, v7
	; wave barrier
	s_and_saveexec_b64 s[0:1], vcc
	s_cbranch_execz .LBB71_29
; %bb.28:
	v_add_u32_e32 v8, -16, v6
	ds_read_b32 v8, v8
	s_waitcnt lgkmcnt(0)
	v_add_u32_e32 v5, v8, v5
.LBB71_29:
	s_or_b64 exec, exec, s[0:1]
	; wave barrier
	s_and_saveexec_b64 s[0:1], vcc
; %bb.30:
	ds_write_b32 v6, v5
; %bb.31:
	s_or_b64 exec, exec, s[0:1]
	v_cmp_lt_u32_e32 vcc, 7, v7
	; wave barrier
	s_and_saveexec_b64 s[0:1], vcc
	s_cbranch_execz .LBB71_33
; %bb.32:
	v_subrev_u32_e32 v7, 32, v6
	ds_read_b32 v7, v7
	s_waitcnt lgkmcnt(0)
	v_add_u32_e32 v5, v7, v5
.LBB71_33:
	s_or_b64 exec, exec, s[0:1]
	; wave barrier
	s_and_saveexec_b64 s[0:1], vcc
; %bb.34:
	ds_write_b32 v6, v5
; %bb.35:
	s_or_b64 exec, exec, s[0:1]
	v_mov_b32_e32 v8, v5
	; wave barrier
.LBB71_36:
	v_mov_b32_e32 v6, s3
	v_add_co_u32_e32 v2, vcc, s2, v2
	v_addc_co_u32_e32 v3, vcc, v6, v3, vcc
	global_store_dword v[2:3], v8, off
	v_mul_lo_u16_e32 v2, 15, v4
	v_sub_u16_e32 v0, v0, v2
	v_mul_u32_u24_e32 v5, 60, v4
	v_cmp_eq_u16_e32 vcc, 0, v0
	s_and_saveexec_b64 s[0:1], vcc
	s_cbranch_execz .LBB71_38
; %bb.37:
	s_mov_b32 s0, 0x88888889
	v_mul_hi_u32 v0, v1, s0
	ds_read_b32 v1, v5 offset:56
	v_lshrrev_b32_e32 v0, 1, v0
	v_and_b32_e32 v0, 0x7ffffffc, v0
	s_waitcnt lgkmcnt(0)
	global_store_dword v0, v1, s[8:9]
.LBB71_38:
	s_endpgm
	.section	.rodata,"a",@progbits
	.p2align	6, 0x0
	.amdhsa_kernel _Z33warp_inclusive_scan_reduce_kernelIiLj60ELj15EENSt9enable_ifIXsr10test_utilsE35device_test_enabled_for_warp_size_vIXT1_EEEvE4typeEPT_S4_S4_
		.amdhsa_group_segment_fixed_size 240
		.amdhsa_private_segment_fixed_size 0
		.amdhsa_kernarg_size 24
		.amdhsa_user_sgpr_count 6
		.amdhsa_user_sgpr_private_segment_buffer 1
		.amdhsa_user_sgpr_dispatch_ptr 0
		.amdhsa_user_sgpr_queue_ptr 0
		.amdhsa_user_sgpr_kernarg_segment_ptr 1
		.amdhsa_user_sgpr_dispatch_id 0
		.amdhsa_user_sgpr_flat_scratch_init 0
		.amdhsa_user_sgpr_private_segment_size 0
		.amdhsa_uses_dynamic_stack 0
		.amdhsa_system_sgpr_private_segment_wavefront_offset 0
		.amdhsa_system_sgpr_workgroup_id_x 1
		.amdhsa_system_sgpr_workgroup_id_y 0
		.amdhsa_system_sgpr_workgroup_id_z 0
		.amdhsa_system_sgpr_workgroup_info 0
		.amdhsa_system_vgpr_workitem_id 0
		.amdhsa_next_free_vgpr 10
		.amdhsa_next_free_sgpr 10
		.amdhsa_reserve_vcc 1
		.amdhsa_reserve_flat_scratch 0
		.amdhsa_float_round_mode_32 0
		.amdhsa_float_round_mode_16_64 0
		.amdhsa_float_denorm_mode_32 3
		.amdhsa_float_denorm_mode_16_64 3
		.amdhsa_dx10_clamp 1
		.amdhsa_ieee_mode 1
		.amdhsa_fp16_overflow 0
		.amdhsa_exception_fp_ieee_invalid_op 0
		.amdhsa_exception_fp_denorm_src 0
		.amdhsa_exception_fp_ieee_div_zero 0
		.amdhsa_exception_fp_ieee_overflow 0
		.amdhsa_exception_fp_ieee_underflow 0
		.amdhsa_exception_fp_ieee_inexact 0
		.amdhsa_exception_int_div_zero 0
	.end_amdhsa_kernel
	.section	.text._Z33warp_inclusive_scan_reduce_kernelIiLj60ELj15EENSt9enable_ifIXsr10test_utilsE35device_test_enabled_for_warp_size_vIXT1_EEEvE4typeEPT_S4_S4_,"axG",@progbits,_Z33warp_inclusive_scan_reduce_kernelIiLj60ELj15EENSt9enable_ifIXsr10test_utilsE35device_test_enabled_for_warp_size_vIXT1_EEEvE4typeEPT_S4_S4_,comdat
.Lfunc_end71:
	.size	_Z33warp_inclusive_scan_reduce_kernelIiLj60ELj15EENSt9enable_ifIXsr10test_utilsE35device_test_enabled_for_warp_size_vIXT1_EEEvE4typeEPT_S4_S4_, .Lfunc_end71-_Z33warp_inclusive_scan_reduce_kernelIiLj60ELj15EENSt9enable_ifIXsr10test_utilsE35device_test_enabled_for_warp_size_vIXT1_EEEvE4typeEPT_S4_S4_
                                        ; -- End function
	.set _Z33warp_inclusive_scan_reduce_kernelIiLj60ELj15EENSt9enable_ifIXsr10test_utilsE35device_test_enabled_for_warp_size_vIXT1_EEEvE4typeEPT_S4_S4_.num_vgpr, 10
	.set _Z33warp_inclusive_scan_reduce_kernelIiLj60ELj15EENSt9enable_ifIXsr10test_utilsE35device_test_enabled_for_warp_size_vIXT1_EEEvE4typeEPT_S4_S4_.num_agpr, 0
	.set _Z33warp_inclusive_scan_reduce_kernelIiLj60ELj15EENSt9enable_ifIXsr10test_utilsE35device_test_enabled_for_warp_size_vIXT1_EEEvE4typeEPT_S4_S4_.numbered_sgpr, 10
	.set _Z33warp_inclusive_scan_reduce_kernelIiLj60ELj15EENSt9enable_ifIXsr10test_utilsE35device_test_enabled_for_warp_size_vIXT1_EEEvE4typeEPT_S4_S4_.num_named_barrier, 0
	.set _Z33warp_inclusive_scan_reduce_kernelIiLj60ELj15EENSt9enable_ifIXsr10test_utilsE35device_test_enabled_for_warp_size_vIXT1_EEEvE4typeEPT_S4_S4_.private_seg_size, 0
	.set _Z33warp_inclusive_scan_reduce_kernelIiLj60ELj15EENSt9enable_ifIXsr10test_utilsE35device_test_enabled_for_warp_size_vIXT1_EEEvE4typeEPT_S4_S4_.uses_vcc, 1
	.set _Z33warp_inclusive_scan_reduce_kernelIiLj60ELj15EENSt9enable_ifIXsr10test_utilsE35device_test_enabled_for_warp_size_vIXT1_EEEvE4typeEPT_S4_S4_.uses_flat_scratch, 0
	.set _Z33warp_inclusive_scan_reduce_kernelIiLj60ELj15EENSt9enable_ifIXsr10test_utilsE35device_test_enabled_for_warp_size_vIXT1_EEEvE4typeEPT_S4_S4_.has_dyn_sized_stack, 0
	.set _Z33warp_inclusive_scan_reduce_kernelIiLj60ELj15EENSt9enable_ifIXsr10test_utilsE35device_test_enabled_for_warp_size_vIXT1_EEEvE4typeEPT_S4_S4_.has_recursion, 0
	.set _Z33warp_inclusive_scan_reduce_kernelIiLj60ELj15EENSt9enable_ifIXsr10test_utilsE35device_test_enabled_for_warp_size_vIXT1_EEEvE4typeEPT_S4_S4_.has_indirect_call, 0
	.section	.AMDGPU.csdata,"",@progbits
; Kernel info:
; codeLenInByte = 680
; TotalNumSgprs: 14
; NumVgprs: 10
; ScratchSize: 0
; MemoryBound: 0
; FloatMode: 240
; IeeeMode: 1
; LDSByteSize: 240 bytes/workgroup (compile time only)
; SGPRBlocks: 1
; VGPRBlocks: 2
; NumSGPRsForWavesPerEU: 14
; NumVGPRsForWavesPerEU: 10
; Occupancy: 10
; WaveLimiterHint : 0
; COMPUTE_PGM_RSRC2:SCRATCH_EN: 0
; COMPUTE_PGM_RSRC2:USER_SGPR: 6
; COMPUTE_PGM_RSRC2:TRAP_HANDLER: 0
; COMPUTE_PGM_RSRC2:TGID_X_EN: 1
; COMPUTE_PGM_RSRC2:TGID_Y_EN: 0
; COMPUTE_PGM_RSRC2:TGID_Z_EN: 0
; COMPUTE_PGM_RSRC2:TIDIG_COMP_CNT: 0
	.section	.text._Z33warp_inclusive_scan_reduce_kernelIiLj28ELj7EENSt9enable_ifIXsr10test_utilsE35device_test_enabled_for_warp_size_vIXT1_EEEvE4typeEPT_S4_S4_,"axG",@progbits,_Z33warp_inclusive_scan_reduce_kernelIiLj28ELj7EENSt9enable_ifIXsr10test_utilsE35device_test_enabled_for_warp_size_vIXT1_EEEvE4typeEPT_S4_S4_,comdat
	.protected	_Z33warp_inclusive_scan_reduce_kernelIiLj28ELj7EENSt9enable_ifIXsr10test_utilsE35device_test_enabled_for_warp_size_vIXT1_EEEvE4typeEPT_S4_S4_ ; -- Begin function _Z33warp_inclusive_scan_reduce_kernelIiLj28ELj7EENSt9enable_ifIXsr10test_utilsE35device_test_enabled_for_warp_size_vIXT1_EEEvE4typeEPT_S4_S4_
	.globl	_Z33warp_inclusive_scan_reduce_kernelIiLj28ELj7EENSt9enable_ifIXsr10test_utilsE35device_test_enabled_for_warp_size_vIXT1_EEEvE4typeEPT_S4_S4_
	.p2align	8
	.type	_Z33warp_inclusive_scan_reduce_kernelIiLj28ELj7EENSt9enable_ifIXsr10test_utilsE35device_test_enabled_for_warp_size_vIXT1_EEEvE4typeEPT_S4_S4_,@function
_Z33warp_inclusive_scan_reduce_kernelIiLj28ELj7EENSt9enable_ifIXsr10test_utilsE35device_test_enabled_for_warp_size_vIXT1_EEEvE4typeEPT_S4_S4_: ; @_Z33warp_inclusive_scan_reduce_kernelIiLj28ELj7EENSt9enable_ifIXsr10test_utilsE35device_test_enabled_for_warp_size_vIXT1_EEEvE4typeEPT_S4_S4_
; %bb.0:
	v_mad_u64_u32 v[1:2], s[0:1], s6, 28, v[0:1]
	s_load_dwordx4 s[0:3], s[4:5], 0x0
	s_load_dwordx2 s[8:9], s[4:5], 0x10
	v_mov_b32_e32 v2, 0
	v_lshlrev_b64 v[2:3], 2, v[1:2]
	v_mul_u32_u24_e32 v6, 0x2493, v0
	s_waitcnt lgkmcnt(0)
	v_mov_b32_e32 v5, s1
	v_add_co_u32_e32 v4, vcc, s0, v2
	v_addc_co_u32_e32 v5, vcc, v5, v3, vcc
	global_load_dword v5, v[4:5], off
	v_mbcnt_lo_u32_b32 v4, -1, 0
	s_mov_b32 s0, 0x24924925
	v_mbcnt_hi_u32_b32 v7, -1, v4
	v_mul_hi_u32 v8, v7, s0
	v_lshrrev_b32_e32 v4, 16, v6
	s_bitcmp1_b32 s6, 0
	s_cselect_b64 s[0:1], -1, 0
	v_mul_u32_u24_e32 v6, 7, v8
	v_sub_u32_e32 v7, v7, v6
	v_lshlrev_b32_e32 v6, 2, v7
	s_and_b64 vcc, exec, s[0:1]
	v_cmp_ne_u32_e64 s[0:1], 0, v7
	v_mad_u32_u24 v6, v4, 28, v6
	s_waitcnt vmcnt(0)
	ds_write_b32 v6, v5
	s_cbranch_vccz .LBB72_14
; %bb.1:
	v_mov_b32_e32 v8, v5
	; wave barrier
	s_and_saveexec_b64 s[4:5], s[0:1]
	s_cbranch_execz .LBB72_3
; %bb.2:
	v_add_u32_e32 v8, -4, v6
	ds_read_b32 v8, v8
	s_waitcnt lgkmcnt(0)
	v_add_u32_e32 v8, v8, v5
.LBB72_3:
	s_or_b64 exec, exec, s[4:5]
	; wave barrier
	s_and_saveexec_b64 s[4:5], s[0:1]
; %bb.4:
	ds_write_b32 v6, v8
; %bb.5:
	s_or_b64 exec, exec, s[4:5]
	v_cmp_lt_u32_e32 vcc, 1, v7
	; wave barrier
	s_and_saveexec_b64 s[4:5], vcc
	s_cbranch_execz .LBB72_7
; %bb.6:
	v_add_u32_e32 v9, -8, v6
	ds_read_b32 v9, v9
	s_waitcnt lgkmcnt(0)
	v_add_u32_e32 v8, v9, v8
.LBB72_7:
	s_or_b64 exec, exec, s[4:5]
	; wave barrier
	s_and_saveexec_b64 s[4:5], vcc
; %bb.8:
	ds_write_b32 v6, v8
; %bb.9:
	s_or_b64 exec, exec, s[4:5]
	v_cmp_lt_u32_e32 vcc, 3, v7
	; wave barrier
	s_and_saveexec_b64 s[4:5], vcc
	s_cbranch_execz .LBB72_11
; %bb.10:
	v_add_u32_e32 v9, -16, v6
	ds_read_b32 v9, v9
	s_waitcnt lgkmcnt(0)
	v_add_u32_e32 v8, v9, v8
.LBB72_11:
	s_or_b64 exec, exec, s[4:5]
	; wave barrier
	s_and_saveexec_b64 s[4:5], vcc
; %bb.12:
	ds_write_b32 v6, v8
; %bb.13:
	s_or_b64 exec, exec, s[4:5]
	; wave barrier
	s_branch .LBB72_28
.LBB72_14:
                                        ; implicit-def: $vgpr8
	s_cbranch_execz .LBB72_28
; %bb.15:
	; wave barrier
	s_and_saveexec_b64 s[4:5], s[0:1]
	s_cbranch_execz .LBB72_17
; %bb.16:
	v_add_u32_e32 v8, -4, v6
	ds_read_b32 v8, v8
	s_waitcnt lgkmcnt(0)
	v_add_u32_e32 v5, v8, v5
.LBB72_17:
	s_or_b64 exec, exec, s[4:5]
	; wave barrier
	s_and_saveexec_b64 s[4:5], s[0:1]
; %bb.18:
	ds_write_b32 v6, v5
; %bb.19:
	s_or_b64 exec, exec, s[4:5]
	v_cmp_lt_u32_e32 vcc, 1, v7
	; wave barrier
	s_and_saveexec_b64 s[0:1], vcc
	s_cbranch_execz .LBB72_21
; %bb.20:
	v_add_u32_e32 v8, -8, v6
	ds_read_b32 v8, v8
	s_waitcnt lgkmcnt(0)
	v_add_u32_e32 v5, v8, v5
.LBB72_21:
	s_or_b64 exec, exec, s[0:1]
	; wave barrier
	s_and_saveexec_b64 s[0:1], vcc
; %bb.22:
	ds_write_b32 v6, v5
; %bb.23:
	s_or_b64 exec, exec, s[0:1]
	v_cmp_lt_u32_e32 vcc, 3, v7
	; wave barrier
	s_and_saveexec_b64 s[0:1], vcc
	s_cbranch_execz .LBB72_25
; %bb.24:
	v_add_u32_e32 v7, -16, v6
	ds_read_b32 v7, v7
	s_waitcnt lgkmcnt(0)
	v_add_u32_e32 v5, v7, v5
.LBB72_25:
	s_or_b64 exec, exec, s[0:1]
	; wave barrier
	s_and_saveexec_b64 s[0:1], vcc
; %bb.26:
	ds_write_b32 v6, v5
; %bb.27:
	s_or_b64 exec, exec, s[0:1]
	v_mov_b32_e32 v8, v5
	; wave barrier
.LBB72_28:
	v_mov_b32_e32 v6, s3
	v_add_co_u32_e32 v2, vcc, s2, v2
	v_addc_co_u32_e32 v3, vcc, v6, v3, vcc
	global_store_dword v[2:3], v8, off
	v_mul_lo_u16_e32 v2, 7, v4
	v_sub_u16_e32 v0, v0, v2
	v_mul_u32_u24_e32 v5, 28, v4
	v_cmp_eq_u16_e32 vcc, 0, v0
	s_and_saveexec_b64 s[0:1], vcc
	s_cbranch_execz .LBB72_30
; %bb.29:
	s_mov_b32 s0, 0x24924925
	v_mul_hi_u32 v0, v1, s0
	ds_read_b32 v2, v5 offset:24
	v_sub_u32_e32 v1, v1, v0
	v_lshrrev_b32_e32 v1, 1, v1
	v_add_u32_e32 v0, v1, v0
	v_and_b32_e32 v0, -4, v0
	s_waitcnt lgkmcnt(0)
	global_store_dword v0, v2, s[8:9]
.LBB72_30:
	s_endpgm
	.section	.rodata,"a",@progbits
	.p2align	6, 0x0
	.amdhsa_kernel _Z33warp_inclusive_scan_reduce_kernelIiLj28ELj7EENSt9enable_ifIXsr10test_utilsE35device_test_enabled_for_warp_size_vIXT1_EEEvE4typeEPT_S4_S4_
		.amdhsa_group_segment_fixed_size 112
		.amdhsa_private_segment_fixed_size 0
		.amdhsa_kernarg_size 24
		.amdhsa_user_sgpr_count 6
		.amdhsa_user_sgpr_private_segment_buffer 1
		.amdhsa_user_sgpr_dispatch_ptr 0
		.amdhsa_user_sgpr_queue_ptr 0
		.amdhsa_user_sgpr_kernarg_segment_ptr 1
		.amdhsa_user_sgpr_dispatch_id 0
		.amdhsa_user_sgpr_flat_scratch_init 0
		.amdhsa_user_sgpr_private_segment_size 0
		.amdhsa_uses_dynamic_stack 0
		.amdhsa_system_sgpr_private_segment_wavefront_offset 0
		.amdhsa_system_sgpr_workgroup_id_x 1
		.amdhsa_system_sgpr_workgroup_id_y 0
		.amdhsa_system_sgpr_workgroup_id_z 0
		.amdhsa_system_sgpr_workgroup_info 0
		.amdhsa_system_vgpr_workitem_id 0
		.amdhsa_next_free_vgpr 10
		.amdhsa_next_free_sgpr 10
		.amdhsa_reserve_vcc 1
		.amdhsa_reserve_flat_scratch 0
		.amdhsa_float_round_mode_32 0
		.amdhsa_float_round_mode_16_64 0
		.amdhsa_float_denorm_mode_32 3
		.amdhsa_float_denorm_mode_16_64 3
		.amdhsa_dx10_clamp 1
		.amdhsa_ieee_mode 1
		.amdhsa_fp16_overflow 0
		.amdhsa_exception_fp_ieee_invalid_op 0
		.amdhsa_exception_fp_denorm_src 0
		.amdhsa_exception_fp_ieee_div_zero 0
		.amdhsa_exception_fp_ieee_overflow 0
		.amdhsa_exception_fp_ieee_underflow 0
		.amdhsa_exception_fp_ieee_inexact 0
		.amdhsa_exception_int_div_zero 0
	.end_amdhsa_kernel
	.section	.text._Z33warp_inclusive_scan_reduce_kernelIiLj28ELj7EENSt9enable_ifIXsr10test_utilsE35device_test_enabled_for_warp_size_vIXT1_EEEvE4typeEPT_S4_S4_,"axG",@progbits,_Z33warp_inclusive_scan_reduce_kernelIiLj28ELj7EENSt9enable_ifIXsr10test_utilsE35device_test_enabled_for_warp_size_vIXT1_EEEvE4typeEPT_S4_S4_,comdat
.Lfunc_end72:
	.size	_Z33warp_inclusive_scan_reduce_kernelIiLj28ELj7EENSt9enable_ifIXsr10test_utilsE35device_test_enabled_for_warp_size_vIXT1_EEEvE4typeEPT_S4_S4_, .Lfunc_end72-_Z33warp_inclusive_scan_reduce_kernelIiLj28ELj7EENSt9enable_ifIXsr10test_utilsE35device_test_enabled_for_warp_size_vIXT1_EEEvE4typeEPT_S4_S4_
                                        ; -- End function
	.set _Z33warp_inclusive_scan_reduce_kernelIiLj28ELj7EENSt9enable_ifIXsr10test_utilsE35device_test_enabled_for_warp_size_vIXT1_EEEvE4typeEPT_S4_S4_.num_vgpr, 10
	.set _Z33warp_inclusive_scan_reduce_kernelIiLj28ELj7EENSt9enable_ifIXsr10test_utilsE35device_test_enabled_for_warp_size_vIXT1_EEEvE4typeEPT_S4_S4_.num_agpr, 0
	.set _Z33warp_inclusive_scan_reduce_kernelIiLj28ELj7EENSt9enable_ifIXsr10test_utilsE35device_test_enabled_for_warp_size_vIXT1_EEEvE4typeEPT_S4_S4_.numbered_sgpr, 10
	.set _Z33warp_inclusive_scan_reduce_kernelIiLj28ELj7EENSt9enable_ifIXsr10test_utilsE35device_test_enabled_for_warp_size_vIXT1_EEEvE4typeEPT_S4_S4_.num_named_barrier, 0
	.set _Z33warp_inclusive_scan_reduce_kernelIiLj28ELj7EENSt9enable_ifIXsr10test_utilsE35device_test_enabled_for_warp_size_vIXT1_EEEvE4typeEPT_S4_S4_.private_seg_size, 0
	.set _Z33warp_inclusive_scan_reduce_kernelIiLj28ELj7EENSt9enable_ifIXsr10test_utilsE35device_test_enabled_for_warp_size_vIXT1_EEEvE4typeEPT_S4_S4_.uses_vcc, 1
	.set _Z33warp_inclusive_scan_reduce_kernelIiLj28ELj7EENSt9enable_ifIXsr10test_utilsE35device_test_enabled_for_warp_size_vIXT1_EEEvE4typeEPT_S4_S4_.uses_flat_scratch, 0
	.set _Z33warp_inclusive_scan_reduce_kernelIiLj28ELj7EENSt9enable_ifIXsr10test_utilsE35device_test_enabled_for_warp_size_vIXT1_EEEvE4typeEPT_S4_S4_.has_dyn_sized_stack, 0
	.set _Z33warp_inclusive_scan_reduce_kernelIiLj28ELj7EENSt9enable_ifIXsr10test_utilsE35device_test_enabled_for_warp_size_vIXT1_EEEvE4typeEPT_S4_S4_.has_recursion, 0
	.set _Z33warp_inclusive_scan_reduce_kernelIiLj28ELj7EENSt9enable_ifIXsr10test_utilsE35device_test_enabled_for_warp_size_vIXT1_EEEvE4typeEPT_S4_S4_.has_indirect_call, 0
	.section	.AMDGPU.csdata,"",@progbits
; Kernel info:
; codeLenInByte = 580
; TotalNumSgprs: 14
; NumVgprs: 10
; ScratchSize: 0
; MemoryBound: 0
; FloatMode: 240
; IeeeMode: 1
; LDSByteSize: 112 bytes/workgroup (compile time only)
; SGPRBlocks: 1
; VGPRBlocks: 2
; NumSGPRsForWavesPerEU: 14
; NumVGPRsForWavesPerEU: 10
; Occupancy: 10
; WaveLimiterHint : 0
; COMPUTE_PGM_RSRC2:SCRATCH_EN: 0
; COMPUTE_PGM_RSRC2:USER_SGPR: 6
; COMPUTE_PGM_RSRC2:TRAP_HANDLER: 0
; COMPUTE_PGM_RSRC2:TGID_X_EN: 1
; COMPUTE_PGM_RSRC2:TGID_Y_EN: 0
; COMPUTE_PGM_RSRC2:TGID_Z_EN: 0
; COMPUTE_PGM_RSRC2:TIDIG_COMP_CNT: 0
	.section	.text._Z33warp_inclusive_scan_reduce_kernelIiLj63ELj7EENSt9enable_ifIXsr10test_utilsE35device_test_enabled_for_warp_size_vIXT1_EEEvE4typeEPT_S4_S4_,"axG",@progbits,_Z33warp_inclusive_scan_reduce_kernelIiLj63ELj7EENSt9enable_ifIXsr10test_utilsE35device_test_enabled_for_warp_size_vIXT1_EEEvE4typeEPT_S4_S4_,comdat
	.protected	_Z33warp_inclusive_scan_reduce_kernelIiLj63ELj7EENSt9enable_ifIXsr10test_utilsE35device_test_enabled_for_warp_size_vIXT1_EEEvE4typeEPT_S4_S4_ ; -- Begin function _Z33warp_inclusive_scan_reduce_kernelIiLj63ELj7EENSt9enable_ifIXsr10test_utilsE35device_test_enabled_for_warp_size_vIXT1_EEEvE4typeEPT_S4_S4_
	.globl	_Z33warp_inclusive_scan_reduce_kernelIiLj63ELj7EENSt9enable_ifIXsr10test_utilsE35device_test_enabled_for_warp_size_vIXT1_EEEvE4typeEPT_S4_S4_
	.p2align	8
	.type	_Z33warp_inclusive_scan_reduce_kernelIiLj63ELj7EENSt9enable_ifIXsr10test_utilsE35device_test_enabled_for_warp_size_vIXT1_EEEvE4typeEPT_S4_S4_,@function
_Z33warp_inclusive_scan_reduce_kernelIiLj63ELj7EENSt9enable_ifIXsr10test_utilsE35device_test_enabled_for_warp_size_vIXT1_EEEvE4typeEPT_S4_S4_: ; @_Z33warp_inclusive_scan_reduce_kernelIiLj63ELj7EENSt9enable_ifIXsr10test_utilsE35device_test_enabled_for_warp_size_vIXT1_EEEvE4typeEPT_S4_S4_
; %bb.0:
	v_mad_u64_u32 v[1:2], s[0:1], s6, 63, v[0:1]
	s_load_dwordx4 s[0:3], s[4:5], 0x0
	s_load_dwordx2 s[8:9], s[4:5], 0x10
	v_mov_b32_e32 v2, 0
	v_lshlrev_b64 v[2:3], 2, v[1:2]
	v_mul_u32_u24_e32 v6, 0x2493, v0
	s_waitcnt lgkmcnt(0)
	v_mov_b32_e32 v5, s1
	v_add_co_u32_e32 v4, vcc, s0, v2
	v_addc_co_u32_e32 v5, vcc, v5, v3, vcc
	global_load_dword v5, v[4:5], off
	v_mbcnt_lo_u32_b32 v4, -1, 0
	s_mov_b32 s0, 0x24924925
	v_mbcnt_hi_u32_b32 v7, -1, v4
	v_mul_hi_u32 v8, v7, s0
	v_lshrrev_b32_e32 v4, 16, v6
	s_bitcmp1_b32 s6, 0
	s_cselect_b64 s[0:1], -1, 0
	v_mul_u32_u24_e32 v6, 7, v8
	v_sub_u32_e32 v7, v7, v6
	v_lshlrev_b32_e32 v6, 2, v7
	s_and_b64 vcc, exec, s[0:1]
	v_cmp_ne_u32_e64 s[0:1], 0, v7
	v_mad_u32_u24 v6, v4, 28, v6
	s_waitcnt vmcnt(0)
	ds_write_b32 v6, v5
	s_cbranch_vccz .LBB73_14
; %bb.1:
	v_mov_b32_e32 v8, v5
	; wave barrier
	s_and_saveexec_b64 s[4:5], s[0:1]
	s_cbranch_execz .LBB73_3
; %bb.2:
	v_add_u32_e32 v8, -4, v6
	ds_read_b32 v8, v8
	s_waitcnt lgkmcnt(0)
	v_add_u32_e32 v8, v8, v5
.LBB73_3:
	s_or_b64 exec, exec, s[4:5]
	; wave barrier
	s_and_saveexec_b64 s[4:5], s[0:1]
; %bb.4:
	ds_write_b32 v6, v8
; %bb.5:
	s_or_b64 exec, exec, s[4:5]
	v_cmp_lt_u32_e32 vcc, 1, v7
	; wave barrier
	s_and_saveexec_b64 s[4:5], vcc
	s_cbranch_execz .LBB73_7
; %bb.6:
	v_add_u32_e32 v9, -8, v6
	ds_read_b32 v9, v9
	s_waitcnt lgkmcnt(0)
	v_add_u32_e32 v8, v9, v8
.LBB73_7:
	s_or_b64 exec, exec, s[4:5]
	; wave barrier
	s_and_saveexec_b64 s[4:5], vcc
; %bb.8:
	ds_write_b32 v6, v8
; %bb.9:
	s_or_b64 exec, exec, s[4:5]
	v_cmp_lt_u32_e32 vcc, 3, v7
	; wave barrier
	s_and_saveexec_b64 s[4:5], vcc
	s_cbranch_execz .LBB73_11
; %bb.10:
	v_add_u32_e32 v9, -16, v6
	ds_read_b32 v9, v9
	s_waitcnt lgkmcnt(0)
	v_add_u32_e32 v8, v9, v8
.LBB73_11:
	s_or_b64 exec, exec, s[4:5]
	; wave barrier
	s_and_saveexec_b64 s[4:5], vcc
; %bb.12:
	ds_write_b32 v6, v8
; %bb.13:
	s_or_b64 exec, exec, s[4:5]
	; wave barrier
	s_branch .LBB73_28
.LBB73_14:
                                        ; implicit-def: $vgpr8
	s_cbranch_execz .LBB73_28
; %bb.15:
	; wave barrier
	s_and_saveexec_b64 s[4:5], s[0:1]
	s_cbranch_execz .LBB73_17
; %bb.16:
	v_add_u32_e32 v8, -4, v6
	ds_read_b32 v8, v8
	s_waitcnt lgkmcnt(0)
	v_add_u32_e32 v5, v8, v5
.LBB73_17:
	s_or_b64 exec, exec, s[4:5]
	; wave barrier
	s_and_saveexec_b64 s[4:5], s[0:1]
; %bb.18:
	ds_write_b32 v6, v5
; %bb.19:
	s_or_b64 exec, exec, s[4:5]
	v_cmp_lt_u32_e32 vcc, 1, v7
	; wave barrier
	s_and_saveexec_b64 s[0:1], vcc
	s_cbranch_execz .LBB73_21
; %bb.20:
	v_add_u32_e32 v8, -8, v6
	ds_read_b32 v8, v8
	s_waitcnt lgkmcnt(0)
	v_add_u32_e32 v5, v8, v5
.LBB73_21:
	s_or_b64 exec, exec, s[0:1]
	; wave barrier
	s_and_saveexec_b64 s[0:1], vcc
; %bb.22:
	ds_write_b32 v6, v5
; %bb.23:
	s_or_b64 exec, exec, s[0:1]
	v_cmp_lt_u32_e32 vcc, 3, v7
	; wave barrier
	s_and_saveexec_b64 s[0:1], vcc
	s_cbranch_execz .LBB73_25
; %bb.24:
	v_add_u32_e32 v7, -16, v6
	ds_read_b32 v7, v7
	s_waitcnt lgkmcnt(0)
	v_add_u32_e32 v5, v7, v5
.LBB73_25:
	s_or_b64 exec, exec, s[0:1]
	; wave barrier
	s_and_saveexec_b64 s[0:1], vcc
; %bb.26:
	ds_write_b32 v6, v5
; %bb.27:
	s_or_b64 exec, exec, s[0:1]
	v_mov_b32_e32 v8, v5
	; wave barrier
.LBB73_28:
	v_mov_b32_e32 v6, s3
	v_add_co_u32_e32 v2, vcc, s2, v2
	v_addc_co_u32_e32 v3, vcc, v6, v3, vcc
	global_store_dword v[2:3], v8, off
	v_mul_lo_u16_e32 v2, 7, v4
	v_sub_u16_e32 v0, v0, v2
	v_mul_u32_u24_e32 v5, 28, v4
	v_cmp_eq_u16_e32 vcc, 0, v0
	s_and_saveexec_b64 s[0:1], vcc
	s_cbranch_execz .LBB73_30
; %bb.29:
	s_mov_b32 s0, 0x24924925
	v_mul_hi_u32 v0, v1, s0
	ds_read_b32 v2, v5 offset:24
	v_sub_u32_e32 v1, v1, v0
	v_lshrrev_b32_e32 v1, 1, v1
	v_add_u32_e32 v0, v1, v0
	v_and_b32_e32 v0, -4, v0
	s_waitcnt lgkmcnt(0)
	global_store_dword v0, v2, s[8:9]
.LBB73_30:
	s_endpgm
	.section	.rodata,"a",@progbits
	.p2align	6, 0x0
	.amdhsa_kernel _Z33warp_inclusive_scan_reduce_kernelIiLj63ELj7EENSt9enable_ifIXsr10test_utilsE35device_test_enabled_for_warp_size_vIXT1_EEEvE4typeEPT_S4_S4_
		.amdhsa_group_segment_fixed_size 252
		.amdhsa_private_segment_fixed_size 0
		.amdhsa_kernarg_size 24
		.amdhsa_user_sgpr_count 6
		.amdhsa_user_sgpr_private_segment_buffer 1
		.amdhsa_user_sgpr_dispatch_ptr 0
		.amdhsa_user_sgpr_queue_ptr 0
		.amdhsa_user_sgpr_kernarg_segment_ptr 1
		.amdhsa_user_sgpr_dispatch_id 0
		.amdhsa_user_sgpr_flat_scratch_init 0
		.amdhsa_user_sgpr_private_segment_size 0
		.amdhsa_uses_dynamic_stack 0
		.amdhsa_system_sgpr_private_segment_wavefront_offset 0
		.amdhsa_system_sgpr_workgroup_id_x 1
		.amdhsa_system_sgpr_workgroup_id_y 0
		.amdhsa_system_sgpr_workgroup_id_z 0
		.amdhsa_system_sgpr_workgroup_info 0
		.amdhsa_system_vgpr_workitem_id 0
		.amdhsa_next_free_vgpr 10
		.amdhsa_next_free_sgpr 10
		.amdhsa_reserve_vcc 1
		.amdhsa_reserve_flat_scratch 0
		.amdhsa_float_round_mode_32 0
		.amdhsa_float_round_mode_16_64 0
		.amdhsa_float_denorm_mode_32 3
		.amdhsa_float_denorm_mode_16_64 3
		.amdhsa_dx10_clamp 1
		.amdhsa_ieee_mode 1
		.amdhsa_fp16_overflow 0
		.amdhsa_exception_fp_ieee_invalid_op 0
		.amdhsa_exception_fp_denorm_src 0
		.amdhsa_exception_fp_ieee_div_zero 0
		.amdhsa_exception_fp_ieee_overflow 0
		.amdhsa_exception_fp_ieee_underflow 0
		.amdhsa_exception_fp_ieee_inexact 0
		.amdhsa_exception_int_div_zero 0
	.end_amdhsa_kernel
	.section	.text._Z33warp_inclusive_scan_reduce_kernelIiLj63ELj7EENSt9enable_ifIXsr10test_utilsE35device_test_enabled_for_warp_size_vIXT1_EEEvE4typeEPT_S4_S4_,"axG",@progbits,_Z33warp_inclusive_scan_reduce_kernelIiLj63ELj7EENSt9enable_ifIXsr10test_utilsE35device_test_enabled_for_warp_size_vIXT1_EEEvE4typeEPT_S4_S4_,comdat
.Lfunc_end73:
	.size	_Z33warp_inclusive_scan_reduce_kernelIiLj63ELj7EENSt9enable_ifIXsr10test_utilsE35device_test_enabled_for_warp_size_vIXT1_EEEvE4typeEPT_S4_S4_, .Lfunc_end73-_Z33warp_inclusive_scan_reduce_kernelIiLj63ELj7EENSt9enable_ifIXsr10test_utilsE35device_test_enabled_for_warp_size_vIXT1_EEEvE4typeEPT_S4_S4_
                                        ; -- End function
	.set _Z33warp_inclusive_scan_reduce_kernelIiLj63ELj7EENSt9enable_ifIXsr10test_utilsE35device_test_enabled_for_warp_size_vIXT1_EEEvE4typeEPT_S4_S4_.num_vgpr, 10
	.set _Z33warp_inclusive_scan_reduce_kernelIiLj63ELj7EENSt9enable_ifIXsr10test_utilsE35device_test_enabled_for_warp_size_vIXT1_EEEvE4typeEPT_S4_S4_.num_agpr, 0
	.set _Z33warp_inclusive_scan_reduce_kernelIiLj63ELj7EENSt9enable_ifIXsr10test_utilsE35device_test_enabled_for_warp_size_vIXT1_EEEvE4typeEPT_S4_S4_.numbered_sgpr, 10
	.set _Z33warp_inclusive_scan_reduce_kernelIiLj63ELj7EENSt9enable_ifIXsr10test_utilsE35device_test_enabled_for_warp_size_vIXT1_EEEvE4typeEPT_S4_S4_.num_named_barrier, 0
	.set _Z33warp_inclusive_scan_reduce_kernelIiLj63ELj7EENSt9enable_ifIXsr10test_utilsE35device_test_enabled_for_warp_size_vIXT1_EEEvE4typeEPT_S4_S4_.private_seg_size, 0
	.set _Z33warp_inclusive_scan_reduce_kernelIiLj63ELj7EENSt9enable_ifIXsr10test_utilsE35device_test_enabled_for_warp_size_vIXT1_EEEvE4typeEPT_S4_S4_.uses_vcc, 1
	.set _Z33warp_inclusive_scan_reduce_kernelIiLj63ELj7EENSt9enable_ifIXsr10test_utilsE35device_test_enabled_for_warp_size_vIXT1_EEEvE4typeEPT_S4_S4_.uses_flat_scratch, 0
	.set _Z33warp_inclusive_scan_reduce_kernelIiLj63ELj7EENSt9enable_ifIXsr10test_utilsE35device_test_enabled_for_warp_size_vIXT1_EEEvE4typeEPT_S4_S4_.has_dyn_sized_stack, 0
	.set _Z33warp_inclusive_scan_reduce_kernelIiLj63ELj7EENSt9enable_ifIXsr10test_utilsE35device_test_enabled_for_warp_size_vIXT1_EEEvE4typeEPT_S4_S4_.has_recursion, 0
	.set _Z33warp_inclusive_scan_reduce_kernelIiLj63ELj7EENSt9enable_ifIXsr10test_utilsE35device_test_enabled_for_warp_size_vIXT1_EEEvE4typeEPT_S4_S4_.has_indirect_call, 0
	.section	.AMDGPU.csdata,"",@progbits
; Kernel info:
; codeLenInByte = 580
; TotalNumSgprs: 14
; NumVgprs: 10
; ScratchSize: 0
; MemoryBound: 0
; FloatMode: 240
; IeeeMode: 1
; LDSByteSize: 252 bytes/workgroup (compile time only)
; SGPRBlocks: 1
; VGPRBlocks: 2
; NumSGPRsForWavesPerEU: 14
; NumVGPRsForWavesPerEU: 10
; Occupancy: 10
; WaveLimiterHint : 0
; COMPUTE_PGM_RSRC2:SCRATCH_EN: 0
; COMPUTE_PGM_RSRC2:USER_SGPR: 6
; COMPUTE_PGM_RSRC2:TRAP_HANDLER: 0
; COMPUTE_PGM_RSRC2:TGID_X_EN: 1
; COMPUTE_PGM_RSRC2:TGID_Y_EN: 0
; COMPUTE_PGM_RSRC2:TGID_Z_EN: 0
; COMPUTE_PGM_RSRC2:TIDIG_COMP_CNT: 0
	.section	.text._Z33warp_inclusive_scan_reduce_kernelIiLj30ELj3EENSt9enable_ifIXsr10test_utilsE35device_test_enabled_for_warp_size_vIXT1_EEEvE4typeEPT_S4_S4_,"axG",@progbits,_Z33warp_inclusive_scan_reduce_kernelIiLj30ELj3EENSt9enable_ifIXsr10test_utilsE35device_test_enabled_for_warp_size_vIXT1_EEEvE4typeEPT_S4_S4_,comdat
	.protected	_Z33warp_inclusive_scan_reduce_kernelIiLj30ELj3EENSt9enable_ifIXsr10test_utilsE35device_test_enabled_for_warp_size_vIXT1_EEEvE4typeEPT_S4_S4_ ; -- Begin function _Z33warp_inclusive_scan_reduce_kernelIiLj30ELj3EENSt9enable_ifIXsr10test_utilsE35device_test_enabled_for_warp_size_vIXT1_EEEvE4typeEPT_S4_S4_
	.globl	_Z33warp_inclusive_scan_reduce_kernelIiLj30ELj3EENSt9enable_ifIXsr10test_utilsE35device_test_enabled_for_warp_size_vIXT1_EEEvE4typeEPT_S4_S4_
	.p2align	8
	.type	_Z33warp_inclusive_scan_reduce_kernelIiLj30ELj3EENSt9enable_ifIXsr10test_utilsE35device_test_enabled_for_warp_size_vIXT1_EEEvE4typeEPT_S4_S4_,@function
_Z33warp_inclusive_scan_reduce_kernelIiLj30ELj3EENSt9enable_ifIXsr10test_utilsE35device_test_enabled_for_warp_size_vIXT1_EEEvE4typeEPT_S4_S4_: ; @_Z33warp_inclusive_scan_reduce_kernelIiLj30ELj3EENSt9enable_ifIXsr10test_utilsE35device_test_enabled_for_warp_size_vIXT1_EEEvE4typeEPT_S4_S4_
; %bb.0:
	v_mad_u64_u32 v[1:2], s[0:1], s6, 30, v[0:1]
	s_load_dwordx4 s[0:3], s[4:5], 0x0
	s_load_dwordx2 s[8:9], s[4:5], 0x10
	v_mov_b32_e32 v2, 0
	v_lshlrev_b64 v[2:3], 2, v[1:2]
	s_bitcmp1_b32 s6, 0
	s_waitcnt lgkmcnt(0)
	v_mov_b32_e32 v5, s1
	v_add_co_u32_e32 v4, vcc, s0, v2
	v_addc_co_u32_e32 v5, vcc, v5, v3, vcc
	global_load_dword v6, v[4:5], off
	v_mbcnt_lo_u32_b32 v4, -1, 0
	s_mov_b32 s0, 0x55555556
	v_mbcnt_hi_u32_b32 v7, -1, v4
	v_mul_hi_u32 v8, v7, s0
	v_mul_u32_u24_e32 v5, 0x5556, v0
	v_lshrrev_b32_e32 v5, 16, v5
	s_cselect_b64 s[0:1], -1, 0
	v_mul_u32_u24_e32 v8, 3, v8
	v_sub_u32_e32 v8, v7, v8
	v_lshlrev_b32_e32 v7, 2, v8
	v_mul_u32_u24_e32 v4, 12, v5
	s_and_b64 vcc, exec, s[0:1]
	v_cmp_ne_u32_e64 s[0:1], 0, v8
	v_mad_u32_u24 v7, v5, 12, v7
	s_waitcnt vmcnt(0)
	ds_write_b32 v7, v6
	s_cbranch_vccz .LBB74_8
; %bb.1:
	v_mov_b32_e32 v9, v6
	; wave barrier
	s_and_saveexec_b64 s[4:5], s[0:1]
	s_cbranch_execz .LBB74_3
; %bb.2:
	v_add_u32_e32 v9, -4, v7
	ds_read_b32 v9, v9
	s_waitcnt lgkmcnt(0)
	v_add_u32_e32 v9, v9, v6
.LBB74_3:
	s_or_b64 exec, exec, s[4:5]
	; wave barrier
	s_and_saveexec_b64 s[4:5], s[0:1]
; %bb.4:
	ds_write_b32 v7, v9
; %bb.5:
	s_or_b64 exec, exec, s[4:5]
	; wave barrier
	ds_read_b32 v10, v4
	v_cmp_lt_u32_e32 vcc, 1, v8
	; wave barrier
	s_waitcnt lgkmcnt(0)
	v_cndmask_b32_e32 v10, 0, v10, vcc
	v_add_u32_e32 v9, v10, v9
	s_and_saveexec_b64 s[4:5], vcc
; %bb.6:
	ds_write_b32 v7, v9
; %bb.7:
	s_or_b64 exec, exec, s[4:5]
	; wave barrier
	s_branch .LBB74_16
.LBB74_8:
                                        ; implicit-def: $vgpr9
	s_cbranch_execz .LBB74_16
; %bb.9:
	; wave barrier
	s_and_saveexec_b64 s[4:5], s[0:1]
	s_cbranch_execz .LBB74_11
; %bb.10:
	v_add_u32_e32 v9, -4, v7
	ds_read_b32 v9, v9
	s_waitcnt lgkmcnt(0)
	v_add_u32_e32 v6, v9, v6
.LBB74_11:
	s_or_b64 exec, exec, s[4:5]
	; wave barrier
	s_and_saveexec_b64 s[4:5], s[0:1]
; %bb.12:
	ds_write_b32 v7, v6
; %bb.13:
	s_or_b64 exec, exec, s[4:5]
	; wave barrier
	ds_read_b32 v9, v4
	v_cmp_lt_u32_e32 vcc, 1, v8
	; wave barrier
	s_waitcnt lgkmcnt(0)
	v_cndmask_b32_e32 v8, 0, v9, vcc
	v_add_u32_e32 v9, v8, v6
	s_and_saveexec_b64 s[0:1], vcc
; %bb.14:
	ds_write_b32 v7, v9
; %bb.15:
	s_or_b64 exec, exec, s[0:1]
	; wave barrier
.LBB74_16:
	v_mov_b32_e32 v6, s3
	v_add_co_u32_e32 v2, vcc, s2, v2
	v_addc_co_u32_e32 v3, vcc, v6, v3, vcc
	global_store_dword v[2:3], v9, off
	v_mul_lo_u16_e32 v2, 3, v5
	v_sub_u16_e32 v0, v0, v2
	v_cmp_eq_u16_e32 vcc, 0, v0
	s_and_saveexec_b64 s[0:1], vcc
	s_cbranch_execz .LBB74_18
; %bb.17:
	s_mov_b32 s0, 0xaaaaaaab
	v_mul_hi_u32 v0, v1, s0
	ds_read_b32 v2, v4 offset:8
	v_mov_b32_e32 v1, 0
	v_mov_b32_e32 v3, s9
	v_lshrrev_b32_e32 v0, 1, v0
	v_lshlrev_b64 v[0:1], 2, v[0:1]
	v_add_co_u32_e32 v0, vcc, s8, v0
	v_addc_co_u32_e32 v1, vcc, v3, v1, vcc
	s_waitcnt lgkmcnt(0)
	global_store_dword v[0:1], v2, off
.LBB74_18:
	s_endpgm
	.section	.rodata,"a",@progbits
	.p2align	6, 0x0
	.amdhsa_kernel _Z33warp_inclusive_scan_reduce_kernelIiLj30ELj3EENSt9enable_ifIXsr10test_utilsE35device_test_enabled_for_warp_size_vIXT1_EEEvE4typeEPT_S4_S4_
		.amdhsa_group_segment_fixed_size 120
		.amdhsa_private_segment_fixed_size 0
		.amdhsa_kernarg_size 24
		.amdhsa_user_sgpr_count 6
		.amdhsa_user_sgpr_private_segment_buffer 1
		.amdhsa_user_sgpr_dispatch_ptr 0
		.amdhsa_user_sgpr_queue_ptr 0
		.amdhsa_user_sgpr_kernarg_segment_ptr 1
		.amdhsa_user_sgpr_dispatch_id 0
		.amdhsa_user_sgpr_flat_scratch_init 0
		.amdhsa_user_sgpr_private_segment_size 0
		.amdhsa_uses_dynamic_stack 0
		.amdhsa_system_sgpr_private_segment_wavefront_offset 0
		.amdhsa_system_sgpr_workgroup_id_x 1
		.amdhsa_system_sgpr_workgroup_id_y 0
		.amdhsa_system_sgpr_workgroup_id_z 0
		.amdhsa_system_sgpr_workgroup_info 0
		.amdhsa_system_vgpr_workitem_id 0
		.amdhsa_next_free_vgpr 11
		.amdhsa_next_free_sgpr 10
		.amdhsa_reserve_vcc 1
		.amdhsa_reserve_flat_scratch 0
		.amdhsa_float_round_mode_32 0
		.amdhsa_float_round_mode_16_64 0
		.amdhsa_float_denorm_mode_32 3
		.amdhsa_float_denorm_mode_16_64 3
		.amdhsa_dx10_clamp 1
		.amdhsa_ieee_mode 1
		.amdhsa_fp16_overflow 0
		.amdhsa_exception_fp_ieee_invalid_op 0
		.amdhsa_exception_fp_denorm_src 0
		.amdhsa_exception_fp_ieee_div_zero 0
		.amdhsa_exception_fp_ieee_overflow 0
		.amdhsa_exception_fp_ieee_underflow 0
		.amdhsa_exception_fp_ieee_inexact 0
		.amdhsa_exception_int_div_zero 0
	.end_amdhsa_kernel
	.section	.text._Z33warp_inclusive_scan_reduce_kernelIiLj30ELj3EENSt9enable_ifIXsr10test_utilsE35device_test_enabled_for_warp_size_vIXT1_EEEvE4typeEPT_S4_S4_,"axG",@progbits,_Z33warp_inclusive_scan_reduce_kernelIiLj30ELj3EENSt9enable_ifIXsr10test_utilsE35device_test_enabled_for_warp_size_vIXT1_EEEvE4typeEPT_S4_S4_,comdat
.Lfunc_end74:
	.size	_Z33warp_inclusive_scan_reduce_kernelIiLj30ELj3EENSt9enable_ifIXsr10test_utilsE35device_test_enabled_for_warp_size_vIXT1_EEEvE4typeEPT_S4_S4_, .Lfunc_end74-_Z33warp_inclusive_scan_reduce_kernelIiLj30ELj3EENSt9enable_ifIXsr10test_utilsE35device_test_enabled_for_warp_size_vIXT1_EEEvE4typeEPT_S4_S4_
                                        ; -- End function
	.set _Z33warp_inclusive_scan_reduce_kernelIiLj30ELj3EENSt9enable_ifIXsr10test_utilsE35device_test_enabled_for_warp_size_vIXT1_EEEvE4typeEPT_S4_S4_.num_vgpr, 11
	.set _Z33warp_inclusive_scan_reduce_kernelIiLj30ELj3EENSt9enable_ifIXsr10test_utilsE35device_test_enabled_for_warp_size_vIXT1_EEEvE4typeEPT_S4_S4_.num_agpr, 0
	.set _Z33warp_inclusive_scan_reduce_kernelIiLj30ELj3EENSt9enable_ifIXsr10test_utilsE35device_test_enabled_for_warp_size_vIXT1_EEEvE4typeEPT_S4_S4_.numbered_sgpr, 10
	.set _Z33warp_inclusive_scan_reduce_kernelIiLj30ELj3EENSt9enable_ifIXsr10test_utilsE35device_test_enabled_for_warp_size_vIXT1_EEEvE4typeEPT_S4_S4_.num_named_barrier, 0
	.set _Z33warp_inclusive_scan_reduce_kernelIiLj30ELj3EENSt9enable_ifIXsr10test_utilsE35device_test_enabled_for_warp_size_vIXT1_EEEvE4typeEPT_S4_S4_.private_seg_size, 0
	.set _Z33warp_inclusive_scan_reduce_kernelIiLj30ELj3EENSt9enable_ifIXsr10test_utilsE35device_test_enabled_for_warp_size_vIXT1_EEEvE4typeEPT_S4_S4_.uses_vcc, 1
	.set _Z33warp_inclusive_scan_reduce_kernelIiLj30ELj3EENSt9enable_ifIXsr10test_utilsE35device_test_enabled_for_warp_size_vIXT1_EEEvE4typeEPT_S4_S4_.uses_flat_scratch, 0
	.set _Z33warp_inclusive_scan_reduce_kernelIiLj30ELj3EENSt9enable_ifIXsr10test_utilsE35device_test_enabled_for_warp_size_vIXT1_EEEvE4typeEPT_S4_S4_.has_dyn_sized_stack, 0
	.set _Z33warp_inclusive_scan_reduce_kernelIiLj30ELj3EENSt9enable_ifIXsr10test_utilsE35device_test_enabled_for_warp_size_vIXT1_EEEvE4typeEPT_S4_S4_.has_recursion, 0
	.set _Z33warp_inclusive_scan_reduce_kernelIiLj30ELj3EENSt9enable_ifIXsr10test_utilsE35device_test_enabled_for_warp_size_vIXT1_EEEvE4typeEPT_S4_S4_.has_indirect_call, 0
	.section	.AMDGPU.csdata,"",@progbits
; Kernel info:
; codeLenInByte = 460
; TotalNumSgprs: 14
; NumVgprs: 11
; ScratchSize: 0
; MemoryBound: 0
; FloatMode: 240
; IeeeMode: 1
; LDSByteSize: 120 bytes/workgroup (compile time only)
; SGPRBlocks: 1
; VGPRBlocks: 2
; NumSGPRsForWavesPerEU: 14
; NumVGPRsForWavesPerEU: 11
; Occupancy: 10
; WaveLimiterHint : 0
; COMPUTE_PGM_RSRC2:SCRATCH_EN: 0
; COMPUTE_PGM_RSRC2:USER_SGPR: 6
; COMPUTE_PGM_RSRC2:TRAP_HANDLER: 0
; COMPUTE_PGM_RSRC2:TGID_X_EN: 1
; COMPUTE_PGM_RSRC2:TGID_Y_EN: 0
; COMPUTE_PGM_RSRC2:TGID_Z_EN: 0
; COMPUTE_PGM_RSRC2:TIDIG_COMP_CNT: 0
	.section	.text._Z33warp_inclusive_scan_reduce_kernelIiLj63ELj3EENSt9enable_ifIXsr10test_utilsE35device_test_enabled_for_warp_size_vIXT1_EEEvE4typeEPT_S4_S4_,"axG",@progbits,_Z33warp_inclusive_scan_reduce_kernelIiLj63ELj3EENSt9enable_ifIXsr10test_utilsE35device_test_enabled_for_warp_size_vIXT1_EEEvE4typeEPT_S4_S4_,comdat
	.protected	_Z33warp_inclusive_scan_reduce_kernelIiLj63ELj3EENSt9enable_ifIXsr10test_utilsE35device_test_enabled_for_warp_size_vIXT1_EEEvE4typeEPT_S4_S4_ ; -- Begin function _Z33warp_inclusive_scan_reduce_kernelIiLj63ELj3EENSt9enable_ifIXsr10test_utilsE35device_test_enabled_for_warp_size_vIXT1_EEEvE4typeEPT_S4_S4_
	.globl	_Z33warp_inclusive_scan_reduce_kernelIiLj63ELj3EENSt9enable_ifIXsr10test_utilsE35device_test_enabled_for_warp_size_vIXT1_EEEvE4typeEPT_S4_S4_
	.p2align	8
	.type	_Z33warp_inclusive_scan_reduce_kernelIiLj63ELj3EENSt9enable_ifIXsr10test_utilsE35device_test_enabled_for_warp_size_vIXT1_EEEvE4typeEPT_S4_S4_,@function
_Z33warp_inclusive_scan_reduce_kernelIiLj63ELj3EENSt9enable_ifIXsr10test_utilsE35device_test_enabled_for_warp_size_vIXT1_EEEvE4typeEPT_S4_S4_: ; @_Z33warp_inclusive_scan_reduce_kernelIiLj63ELj3EENSt9enable_ifIXsr10test_utilsE35device_test_enabled_for_warp_size_vIXT1_EEEvE4typeEPT_S4_S4_
; %bb.0:
	v_mad_u64_u32 v[1:2], s[0:1], s6, 63, v[0:1]
	s_load_dwordx4 s[0:3], s[4:5], 0x0
	s_load_dwordx2 s[8:9], s[4:5], 0x10
	v_mov_b32_e32 v2, 0
	v_lshlrev_b64 v[2:3], 2, v[1:2]
	s_bitcmp1_b32 s6, 0
	s_waitcnt lgkmcnt(0)
	v_mov_b32_e32 v5, s1
	v_add_co_u32_e32 v4, vcc, s0, v2
	v_addc_co_u32_e32 v5, vcc, v5, v3, vcc
	global_load_dword v6, v[4:5], off
	v_mbcnt_lo_u32_b32 v4, -1, 0
	s_mov_b32 s0, 0x55555556
	v_mbcnt_hi_u32_b32 v7, -1, v4
	v_mul_hi_u32 v8, v7, s0
	v_mul_u32_u24_e32 v5, 0x5556, v0
	v_lshrrev_b32_e32 v5, 16, v5
	s_cselect_b64 s[0:1], -1, 0
	v_mul_u32_u24_e32 v8, 3, v8
	v_sub_u32_e32 v8, v7, v8
	v_lshlrev_b32_e32 v7, 2, v8
	v_mul_u32_u24_e32 v4, 12, v5
	s_and_b64 vcc, exec, s[0:1]
	v_cmp_ne_u32_e64 s[0:1], 0, v8
	v_mad_u32_u24 v7, v5, 12, v7
	s_waitcnt vmcnt(0)
	ds_write_b32 v7, v6
	s_cbranch_vccz .LBB75_8
; %bb.1:
	v_mov_b32_e32 v9, v6
	; wave barrier
	s_and_saveexec_b64 s[4:5], s[0:1]
	s_cbranch_execz .LBB75_3
; %bb.2:
	v_add_u32_e32 v9, -4, v7
	ds_read_b32 v9, v9
	s_waitcnt lgkmcnt(0)
	v_add_u32_e32 v9, v9, v6
.LBB75_3:
	s_or_b64 exec, exec, s[4:5]
	; wave barrier
	s_and_saveexec_b64 s[4:5], s[0:1]
; %bb.4:
	ds_write_b32 v7, v9
; %bb.5:
	s_or_b64 exec, exec, s[4:5]
	; wave barrier
	ds_read_b32 v10, v4
	v_cmp_lt_u32_e32 vcc, 1, v8
	; wave barrier
	s_waitcnt lgkmcnt(0)
	v_cndmask_b32_e32 v10, 0, v10, vcc
	v_add_u32_e32 v9, v10, v9
	s_and_saveexec_b64 s[4:5], vcc
; %bb.6:
	ds_write_b32 v7, v9
; %bb.7:
	s_or_b64 exec, exec, s[4:5]
	; wave barrier
	s_branch .LBB75_16
.LBB75_8:
                                        ; implicit-def: $vgpr9
	s_cbranch_execz .LBB75_16
; %bb.9:
	; wave barrier
	s_and_saveexec_b64 s[4:5], s[0:1]
	s_cbranch_execz .LBB75_11
; %bb.10:
	v_add_u32_e32 v9, -4, v7
	ds_read_b32 v9, v9
	s_waitcnt lgkmcnt(0)
	v_add_u32_e32 v6, v9, v6
.LBB75_11:
	s_or_b64 exec, exec, s[4:5]
	; wave barrier
	s_and_saveexec_b64 s[4:5], s[0:1]
; %bb.12:
	ds_write_b32 v7, v6
; %bb.13:
	s_or_b64 exec, exec, s[4:5]
	; wave barrier
	ds_read_b32 v9, v4
	v_cmp_lt_u32_e32 vcc, 1, v8
	; wave barrier
	s_waitcnt lgkmcnt(0)
	v_cndmask_b32_e32 v8, 0, v9, vcc
	v_add_u32_e32 v9, v8, v6
	s_and_saveexec_b64 s[0:1], vcc
; %bb.14:
	ds_write_b32 v7, v9
; %bb.15:
	s_or_b64 exec, exec, s[0:1]
	; wave barrier
.LBB75_16:
	v_mov_b32_e32 v6, s3
	v_add_co_u32_e32 v2, vcc, s2, v2
	v_addc_co_u32_e32 v3, vcc, v6, v3, vcc
	global_store_dword v[2:3], v9, off
	v_mul_lo_u16_e32 v2, 3, v5
	v_sub_u16_e32 v0, v0, v2
	v_cmp_eq_u16_e32 vcc, 0, v0
	s_and_saveexec_b64 s[0:1], vcc
	s_cbranch_execz .LBB75_18
; %bb.17:
	s_mov_b32 s0, 0xaaaaaaab
	v_mul_hi_u32 v0, v1, s0
	ds_read_b32 v2, v4 offset:8
	v_mov_b32_e32 v1, 0
	v_mov_b32_e32 v3, s9
	v_lshrrev_b32_e32 v0, 1, v0
	v_lshlrev_b64 v[0:1], 2, v[0:1]
	v_add_co_u32_e32 v0, vcc, s8, v0
	v_addc_co_u32_e32 v1, vcc, v3, v1, vcc
	s_waitcnt lgkmcnt(0)
	global_store_dword v[0:1], v2, off
.LBB75_18:
	s_endpgm
	.section	.rodata,"a",@progbits
	.p2align	6, 0x0
	.amdhsa_kernel _Z33warp_inclusive_scan_reduce_kernelIiLj63ELj3EENSt9enable_ifIXsr10test_utilsE35device_test_enabled_for_warp_size_vIXT1_EEEvE4typeEPT_S4_S4_
		.amdhsa_group_segment_fixed_size 252
		.amdhsa_private_segment_fixed_size 0
		.amdhsa_kernarg_size 24
		.amdhsa_user_sgpr_count 6
		.amdhsa_user_sgpr_private_segment_buffer 1
		.amdhsa_user_sgpr_dispatch_ptr 0
		.amdhsa_user_sgpr_queue_ptr 0
		.amdhsa_user_sgpr_kernarg_segment_ptr 1
		.amdhsa_user_sgpr_dispatch_id 0
		.amdhsa_user_sgpr_flat_scratch_init 0
		.amdhsa_user_sgpr_private_segment_size 0
		.amdhsa_uses_dynamic_stack 0
		.amdhsa_system_sgpr_private_segment_wavefront_offset 0
		.amdhsa_system_sgpr_workgroup_id_x 1
		.amdhsa_system_sgpr_workgroup_id_y 0
		.amdhsa_system_sgpr_workgroup_id_z 0
		.amdhsa_system_sgpr_workgroup_info 0
		.amdhsa_system_vgpr_workitem_id 0
		.amdhsa_next_free_vgpr 11
		.amdhsa_next_free_sgpr 10
		.amdhsa_reserve_vcc 1
		.amdhsa_reserve_flat_scratch 0
		.amdhsa_float_round_mode_32 0
		.amdhsa_float_round_mode_16_64 0
		.amdhsa_float_denorm_mode_32 3
		.amdhsa_float_denorm_mode_16_64 3
		.amdhsa_dx10_clamp 1
		.amdhsa_ieee_mode 1
		.amdhsa_fp16_overflow 0
		.amdhsa_exception_fp_ieee_invalid_op 0
		.amdhsa_exception_fp_denorm_src 0
		.amdhsa_exception_fp_ieee_div_zero 0
		.amdhsa_exception_fp_ieee_overflow 0
		.amdhsa_exception_fp_ieee_underflow 0
		.amdhsa_exception_fp_ieee_inexact 0
		.amdhsa_exception_int_div_zero 0
	.end_amdhsa_kernel
	.section	.text._Z33warp_inclusive_scan_reduce_kernelIiLj63ELj3EENSt9enable_ifIXsr10test_utilsE35device_test_enabled_for_warp_size_vIXT1_EEEvE4typeEPT_S4_S4_,"axG",@progbits,_Z33warp_inclusive_scan_reduce_kernelIiLj63ELj3EENSt9enable_ifIXsr10test_utilsE35device_test_enabled_for_warp_size_vIXT1_EEEvE4typeEPT_S4_S4_,comdat
.Lfunc_end75:
	.size	_Z33warp_inclusive_scan_reduce_kernelIiLj63ELj3EENSt9enable_ifIXsr10test_utilsE35device_test_enabled_for_warp_size_vIXT1_EEEvE4typeEPT_S4_S4_, .Lfunc_end75-_Z33warp_inclusive_scan_reduce_kernelIiLj63ELj3EENSt9enable_ifIXsr10test_utilsE35device_test_enabled_for_warp_size_vIXT1_EEEvE4typeEPT_S4_S4_
                                        ; -- End function
	.set _Z33warp_inclusive_scan_reduce_kernelIiLj63ELj3EENSt9enable_ifIXsr10test_utilsE35device_test_enabled_for_warp_size_vIXT1_EEEvE4typeEPT_S4_S4_.num_vgpr, 11
	.set _Z33warp_inclusive_scan_reduce_kernelIiLj63ELj3EENSt9enable_ifIXsr10test_utilsE35device_test_enabled_for_warp_size_vIXT1_EEEvE4typeEPT_S4_S4_.num_agpr, 0
	.set _Z33warp_inclusive_scan_reduce_kernelIiLj63ELj3EENSt9enable_ifIXsr10test_utilsE35device_test_enabled_for_warp_size_vIXT1_EEEvE4typeEPT_S4_S4_.numbered_sgpr, 10
	.set _Z33warp_inclusive_scan_reduce_kernelIiLj63ELj3EENSt9enable_ifIXsr10test_utilsE35device_test_enabled_for_warp_size_vIXT1_EEEvE4typeEPT_S4_S4_.num_named_barrier, 0
	.set _Z33warp_inclusive_scan_reduce_kernelIiLj63ELj3EENSt9enable_ifIXsr10test_utilsE35device_test_enabled_for_warp_size_vIXT1_EEEvE4typeEPT_S4_S4_.private_seg_size, 0
	.set _Z33warp_inclusive_scan_reduce_kernelIiLj63ELj3EENSt9enable_ifIXsr10test_utilsE35device_test_enabled_for_warp_size_vIXT1_EEEvE4typeEPT_S4_S4_.uses_vcc, 1
	.set _Z33warp_inclusive_scan_reduce_kernelIiLj63ELj3EENSt9enable_ifIXsr10test_utilsE35device_test_enabled_for_warp_size_vIXT1_EEEvE4typeEPT_S4_S4_.uses_flat_scratch, 0
	.set _Z33warp_inclusive_scan_reduce_kernelIiLj63ELj3EENSt9enable_ifIXsr10test_utilsE35device_test_enabled_for_warp_size_vIXT1_EEEvE4typeEPT_S4_S4_.has_dyn_sized_stack, 0
	.set _Z33warp_inclusive_scan_reduce_kernelIiLj63ELj3EENSt9enable_ifIXsr10test_utilsE35device_test_enabled_for_warp_size_vIXT1_EEEvE4typeEPT_S4_S4_.has_recursion, 0
	.set _Z33warp_inclusive_scan_reduce_kernelIiLj63ELj3EENSt9enable_ifIXsr10test_utilsE35device_test_enabled_for_warp_size_vIXT1_EEEvE4typeEPT_S4_S4_.has_indirect_call, 0
	.section	.AMDGPU.csdata,"",@progbits
; Kernel info:
; codeLenInByte = 460
; TotalNumSgprs: 14
; NumVgprs: 11
; ScratchSize: 0
; MemoryBound: 0
; FloatMode: 240
; IeeeMode: 1
; LDSByteSize: 252 bytes/workgroup (compile time only)
; SGPRBlocks: 1
; VGPRBlocks: 2
; NumSGPRsForWavesPerEU: 14
; NumVGPRsForWavesPerEU: 11
; Occupancy: 10
; WaveLimiterHint : 0
; COMPUTE_PGM_RSRC2:SCRATCH_EN: 0
; COMPUTE_PGM_RSRC2:USER_SGPR: 6
; COMPUTE_PGM_RSRC2:TRAP_HANDLER: 0
; COMPUTE_PGM_RSRC2:TGID_X_EN: 1
; COMPUTE_PGM_RSRC2:TGID_Y_EN: 0
; COMPUTE_PGM_RSRC2:TGID_Z_EN: 0
; COMPUTE_PGM_RSRC2:TIDIG_COMP_CNT: 0
	.section	.text._Z33warp_inclusive_scan_reduce_kernelI12hip_bfloat16Lj256ELj64EENSt9enable_ifIXsr10test_utilsE35device_test_enabled_for_warp_size_vIXT1_EEEvE4typeEPT_S5_S5_,"axG",@progbits,_Z33warp_inclusive_scan_reduce_kernelI12hip_bfloat16Lj256ELj64EENSt9enable_ifIXsr10test_utilsE35device_test_enabled_for_warp_size_vIXT1_EEEvE4typeEPT_S5_S5_,comdat
	.protected	_Z33warp_inclusive_scan_reduce_kernelI12hip_bfloat16Lj256ELj64EENSt9enable_ifIXsr10test_utilsE35device_test_enabled_for_warp_size_vIXT1_EEEvE4typeEPT_S5_S5_ ; -- Begin function _Z33warp_inclusive_scan_reduce_kernelI12hip_bfloat16Lj256ELj64EENSt9enable_ifIXsr10test_utilsE35device_test_enabled_for_warp_size_vIXT1_EEEvE4typeEPT_S5_S5_
	.globl	_Z33warp_inclusive_scan_reduce_kernelI12hip_bfloat16Lj256ELj64EENSt9enable_ifIXsr10test_utilsE35device_test_enabled_for_warp_size_vIXT1_EEEvE4typeEPT_S5_S5_
	.p2align	8
	.type	_Z33warp_inclusive_scan_reduce_kernelI12hip_bfloat16Lj256ELj64EENSt9enable_ifIXsr10test_utilsE35device_test_enabled_for_warp_size_vIXT1_EEEvE4typeEPT_S5_S5_,@function
_Z33warp_inclusive_scan_reduce_kernelI12hip_bfloat16Lj256ELj64EENSt9enable_ifIXsr10test_utilsE35device_test_enabled_for_warp_size_vIXT1_EEEvE4typeEPT_S5_S5_: ; @_Z33warp_inclusive_scan_reduce_kernelI12hip_bfloat16Lj256ELj64EENSt9enable_ifIXsr10test_utilsE35device_test_enabled_for_warp_size_vIXT1_EEEvE4typeEPT_S5_S5_
; %bb.0:
	s_load_dwordx4 s[0:3], s[4:5], 0x0
	s_load_dwordx2 s[8:9], s[4:5], 0x10
	v_lshl_or_b32 v1, s6, 8, v0
	v_mov_b32_e32 v2, 0
	v_lshlrev_b64 v[2:3], 1, v[1:2]
	s_waitcnt lgkmcnt(0)
	v_mov_b32_e32 v5, s1
	v_add_co_u32_e32 v4, vcc, s0, v2
	v_addc_co_u32_e32 v5, vcc, v5, v3, vcc
	global_load_ushort v6, v[4:5], off
	v_mbcnt_lo_u32_b32 v4, -1, 0
	s_bitcmp1_b32 s6, 0
	v_mbcnt_hi_u32_b32 v4, -1, v4
	s_cselect_b64 s[0:1], -1, 0
	v_and_b32_e32 v5, 15, v4
	s_and_b64 vcc, exec, s[0:1]
	s_waitcnt vmcnt(0)
	v_lshlrev_b32_e32 v7, 16, v6
	s_cbranch_vccz .LBB76_26
; %bb.1:
	v_mov_b32_dpp v8, v6 row_shr:1 row_mask:0xf bank_mask:0xf
	v_lshlrev_b32_e32 v8, 16, v8
	v_add_f32_e32 v8, v7, v8
	s_mov_b32 s0, 0x7f800000
	v_and_b32_e32 v9, 0x7f800000, v8
	v_cmp_ne_u32_e32 vcc, s0, v9
                                        ; implicit-def: $vgpr9
	s_and_saveexec_b64 s[0:1], vcc
	s_xor_b64 s[0:1], exec, s[0:1]
; %bb.2:
	v_bfe_u32 v9, v8, 16, 1
	s_movk_i32 s4, 0x7fff
	v_add3_u32 v9, v8, v9, s4
                                        ; implicit-def: $vgpr8
; %bb.3:
	s_andn2_saveexec_b64 s[0:1], s[0:1]
; %bb.4:
	v_mov_b32_e32 v9, 0
	v_or_b32_e32 v10, 0x10000, v8
	v_cmp_eq_u32_sdwa vcc, v8, v9 src0_sel:WORD_0 src1_sel:DWORD
	v_cndmask_b32_e32 v9, v10, v8, vcc
; %bb.5:
	s_or_b64 exec, exec, s[0:1]
	v_and_b32_e32 v8, 0xffff0000, v9
	v_lshrrev_b32_e32 v9, 16, v9
	v_cmp_eq_u32_e32 vcc, 0, v5
	v_cndmask_b32_e32 v9, v9, v6, vcc
	v_cndmask_b32_e32 v8, v8, v7, vcc
	s_mov_b32 s0, 0x7f800000
	v_mov_b32_dpp v10, v9 row_shr:2 row_mask:0xf bank_mask:0xf
	v_lshlrev_b32_e32 v10, 16, v10
	v_add_f32_e32 v10, v8, v10
	v_and_b32_e32 v11, 0x7f800000, v10
	v_cmp_ne_u32_e32 vcc, s0, v11
                                        ; implicit-def: $vgpr11
	s_and_saveexec_b64 s[0:1], vcc
	s_xor_b64 s[0:1], exec, s[0:1]
; %bb.6:
	v_bfe_u32 v11, v10, 16, 1
	s_movk_i32 s4, 0x7fff
	v_add3_u32 v11, v10, v11, s4
                                        ; implicit-def: $vgpr10
; %bb.7:
	s_andn2_saveexec_b64 s[0:1], s[0:1]
; %bb.8:
	v_mov_b32_e32 v11, 0
	v_or_b32_e32 v12, 0x10000, v10
	v_cmp_eq_u32_sdwa vcc, v10, v11 src0_sel:WORD_0 src1_sel:DWORD
	v_cndmask_b32_e32 v11, v12, v10, vcc
; %bb.9:
	s_or_b64 exec, exec, s[0:1]
	v_and_b32_e32 v10, 0xffff0000, v11
	v_lshrrev_b32_e32 v11, 16, v11
	v_cmp_lt_u32_e32 vcc, 1, v5
	v_cndmask_b32_e32 v9, v9, v11, vcc
	v_cndmask_b32_e32 v8, v8, v10, vcc
	s_mov_b32 s0, 0x7f800000
	v_mov_b32_dpp v10, v9 row_shr:4 row_mask:0xf bank_mask:0xf
	v_lshlrev_b32_e32 v10, 16, v10
	v_add_f32_e32 v10, v8, v10
	v_and_b32_e32 v11, 0x7f800000, v10
	v_cmp_ne_u32_e32 vcc, s0, v11
                                        ; implicit-def: $vgpr11
	s_and_saveexec_b64 s[0:1], vcc
	s_xor_b64 s[0:1], exec, s[0:1]
; %bb.10:
	v_bfe_u32 v11, v10, 16, 1
	s_movk_i32 s4, 0x7fff
	v_add3_u32 v11, v10, v11, s4
                                        ; implicit-def: $vgpr10
; %bb.11:
	s_andn2_saveexec_b64 s[0:1], s[0:1]
; %bb.12:
	v_mov_b32_e32 v11, 0
	v_or_b32_e32 v12, 0x10000, v10
	v_cmp_eq_u32_sdwa vcc, v10, v11 src0_sel:WORD_0 src1_sel:DWORD
	v_cndmask_b32_e32 v11, v12, v10, vcc
; %bb.13:
	s_or_b64 exec, exec, s[0:1]
	v_and_b32_e32 v10, 0xffff0000, v11
	v_lshrrev_b32_e32 v11, 16, v11
	v_cmp_lt_u32_e32 vcc, 3, v5
	;; [unrolled: 28-line block ×3, first 2 shown]
	v_cndmask_b32_e32 v9, v9, v11, vcc
	v_cndmask_b32_e32 v8, v8, v10, vcc
	s_mov_b32 s0, 0x7f800000
	v_mov_b32_dpp v10, v9 row_bcast:15 row_mask:0xf bank_mask:0xf
	v_lshlrev_b32_e32 v10, 16, v10
	v_add_f32_e32 v10, v8, v10
	v_and_b32_e32 v11, 0x7f800000, v10
	v_cmp_ne_u32_e32 vcc, s0, v11
                                        ; implicit-def: $vgpr11
	s_and_saveexec_b64 s[0:1], vcc
	s_xor_b64 s[0:1], exec, s[0:1]
; %bb.18:
	v_bfe_u32 v11, v10, 16, 1
	s_movk_i32 s4, 0x7fff
	v_add3_u32 v11, v10, v11, s4
                                        ; implicit-def: $vgpr10
; %bb.19:
	s_andn2_saveexec_b64 s[0:1], s[0:1]
; %bb.20:
	v_mov_b32_e32 v11, 0
	v_or_b32_e32 v12, 0x10000, v10
	v_cmp_eq_u32_sdwa vcc, v10, v11 src0_sel:WORD_0 src1_sel:DWORD
	v_cndmask_b32_e32 v11, v12, v10, vcc
; %bb.21:
	s_or_b64 exec, exec, s[0:1]
	v_and_b32_e32 v10, 16, v4
	v_and_b32_e32 v12, 0xffff0000, v11
	v_lshrrev_b32_e32 v11, 16, v11
	v_cmp_eq_u32_e32 vcc, 0, v10
	v_cndmask_b32_e32 v10, v12, v8, vcc
	v_cndmask_b32_e32 v8, v11, v9, vcc
	s_mov_b32 s0, 0x7f800000
	s_nop 0
	v_mov_b32_dpp v9, v8 row_bcast:31 row_mask:0xf bank_mask:0xf
	v_lshlrev_b32_e32 v9, 16, v9
	v_add_f32_e32 v9, v10, v9
	v_and_b32_e32 v10, 0x7f800000, v9
	v_cmp_ne_u32_e32 vcc, s0, v10
                                        ; implicit-def: $vgpr10
	s_and_saveexec_b64 s[0:1], vcc
	s_xor_b64 s[0:1], exec, s[0:1]
; %bb.22:
	v_bfe_u32 v10, v9, 16, 1
	s_movk_i32 s4, 0x7fff
	v_add3_u32 v10, v9, v10, s4
                                        ; implicit-def: $vgpr9
; %bb.23:
	s_andn2_saveexec_b64 s[0:1], s[0:1]
; %bb.24:
	v_mov_b32_e32 v10, 0
	v_or_b32_e32 v11, 0x10000, v9
	v_cmp_eq_u32_sdwa vcc, v9, v10 src0_sel:WORD_0 src1_sel:DWORD
	v_cndmask_b32_e32 v10, v11, v9, vcc
; %bb.25:
	s_or_b64 exec, exec, s[0:1]
	v_cmp_lt_u32_e32 vcc, 31, v4
	v_cndmask_b32_sdwa v9, v8, v10, vcc dst_sel:DWORD dst_unused:UNUSED_PAD src0_sel:DWORD src1_sel:WORD_1
	v_bfrev_b32_e32 v8, 0.5
	v_lshl_or_b32 v8, v4, 2, v8
	v_and_b32_e32 v10, 0xffff, v9
	ds_bpermute_b32 v8, v8, v10
	s_branch .LBB76_52
.LBB76_26:
                                        ; implicit-def: $vgpr9
                                        ; implicit-def: $vgpr8
	s_cbranch_execz .LBB76_52
; %bb.27:
	s_waitcnt lgkmcnt(0)
	v_mov_b32_dpp v8, v6 row_shr:1 row_mask:0xf bank_mask:0xf
	v_lshlrev_b32_e32 v8, 16, v8
	v_add_f32_e32 v8, v7, v8
	s_mov_b32 s0, 0x7f800000
	v_and_b32_e32 v9, 0x7f800000, v8
	v_cmp_ne_u32_e32 vcc, s0, v9
                                        ; implicit-def: $vgpr9
	s_and_saveexec_b64 s[0:1], vcc
	s_xor_b64 s[0:1], exec, s[0:1]
; %bb.28:
	v_bfe_u32 v9, v8, 16, 1
	s_movk_i32 s4, 0x7fff
	v_add3_u32 v9, v8, v9, s4
                                        ; implicit-def: $vgpr8
; %bb.29:
	s_andn2_saveexec_b64 s[0:1], s[0:1]
; %bb.30:
	v_mov_b32_e32 v9, 0
	v_or_b32_e32 v10, 0x10000, v8
	v_cmp_eq_u32_sdwa vcc, v8, v9 src0_sel:WORD_0 src1_sel:DWORD
	v_cndmask_b32_e32 v9, v10, v8, vcc
; %bb.31:
	s_or_b64 exec, exec, s[0:1]
	v_and_b32_e32 v8, 0xffff0000, v9
	v_lshrrev_b32_e32 v9, 16, v9
	v_cmp_eq_u32_e32 vcc, 0, v5
	v_cndmask_b32_e32 v6, v9, v6, vcc
	v_cndmask_b32_e32 v7, v8, v7, vcc
	s_mov_b32 s0, 0x7f800000
	v_mov_b32_dpp v8, v6 row_shr:2 row_mask:0xf bank_mask:0xf
	v_lshlrev_b32_e32 v8, 16, v8
	v_add_f32_e32 v8, v7, v8
	v_and_b32_e32 v9, 0x7f800000, v8
	v_cmp_ne_u32_e32 vcc, s0, v9
                                        ; implicit-def: $vgpr9
	s_and_saveexec_b64 s[0:1], vcc
	s_xor_b64 s[0:1], exec, s[0:1]
; %bb.32:
	v_bfe_u32 v9, v8, 16, 1
	s_movk_i32 s4, 0x7fff
	v_add3_u32 v9, v8, v9, s4
                                        ; implicit-def: $vgpr8
; %bb.33:
	s_andn2_saveexec_b64 s[0:1], s[0:1]
; %bb.34:
	v_mov_b32_e32 v9, 0
	v_or_b32_e32 v10, 0x10000, v8
	v_cmp_eq_u32_sdwa vcc, v8, v9 src0_sel:WORD_0 src1_sel:DWORD
	v_cndmask_b32_e32 v9, v10, v8, vcc
; %bb.35:
	s_or_b64 exec, exec, s[0:1]
	v_and_b32_e32 v8, 0xffff0000, v9
	v_lshrrev_b32_e32 v9, 16, v9
	v_cmp_lt_u32_e32 vcc, 1, v5
	v_cndmask_b32_e32 v6, v6, v9, vcc
	v_cndmask_b32_e32 v7, v7, v8, vcc
	s_mov_b32 s0, 0x7f800000
	v_mov_b32_dpp v8, v6 row_shr:4 row_mask:0xf bank_mask:0xf
	v_lshlrev_b32_e32 v8, 16, v8
	v_add_f32_e32 v8, v7, v8
	v_and_b32_e32 v9, 0x7f800000, v8
	v_cmp_ne_u32_e32 vcc, s0, v9
                                        ; implicit-def: $vgpr9
	s_and_saveexec_b64 s[0:1], vcc
	s_xor_b64 s[0:1], exec, s[0:1]
; %bb.36:
	v_bfe_u32 v9, v8, 16, 1
	s_movk_i32 s4, 0x7fff
	v_add3_u32 v9, v8, v9, s4
                                        ; implicit-def: $vgpr8
; %bb.37:
	s_andn2_saveexec_b64 s[0:1], s[0:1]
; %bb.38:
	v_mov_b32_e32 v9, 0
	v_or_b32_e32 v10, 0x10000, v8
	v_cmp_eq_u32_sdwa vcc, v8, v9 src0_sel:WORD_0 src1_sel:DWORD
	v_cndmask_b32_e32 v9, v10, v8, vcc
; %bb.39:
	s_or_b64 exec, exec, s[0:1]
	v_and_b32_e32 v8, 0xffff0000, v9
	v_lshrrev_b32_e32 v9, 16, v9
	v_cmp_lt_u32_e32 vcc, 3, v5
	v_cndmask_b32_e32 v6, v6, v9, vcc
	v_cndmask_b32_e32 v7, v7, v8, vcc
	s_mov_b32 s0, 0x7f800000
	v_mov_b32_dpp v8, v6 row_shr:8 row_mask:0xf bank_mask:0xf
	v_lshlrev_b32_e32 v8, 16, v8
	v_add_f32_e32 v8, v7, v8
	v_and_b32_e32 v9, 0x7f800000, v8
	v_cmp_ne_u32_e32 vcc, s0, v9
                                        ; implicit-def: $vgpr9
	s_and_saveexec_b64 s[0:1], vcc
	s_xor_b64 s[0:1], exec, s[0:1]
; %bb.40:
	v_bfe_u32 v9, v8, 16, 1
	s_movk_i32 s4, 0x7fff
	v_add3_u32 v9, v8, v9, s4
                                        ; implicit-def: $vgpr8
; %bb.41:
	s_andn2_saveexec_b64 s[0:1], s[0:1]
; %bb.42:
	v_mov_b32_e32 v9, 0
	v_or_b32_e32 v10, 0x10000, v8
	v_cmp_eq_u32_sdwa vcc, v8, v9 src0_sel:WORD_0 src1_sel:DWORD
	v_cndmask_b32_e32 v9, v10, v8, vcc
; %bb.43:
	s_or_b64 exec, exec, s[0:1]
	v_and_b32_e32 v8, 0xffff0000, v9
	v_lshrrev_b32_e32 v9, 16, v9
	v_cmp_lt_u32_e32 vcc, 7, v5
	v_cndmask_b32_e32 v6, v6, v9, vcc
	v_cndmask_b32_e32 v5, v7, v8, vcc
	s_mov_b32 s0, 0x7f800000
	v_mov_b32_dpp v7, v6 row_bcast:15 row_mask:0xf bank_mask:0xf
	v_lshlrev_b32_e32 v7, 16, v7
	v_add_f32_e32 v7, v5, v7
	v_and_b32_e32 v8, 0x7f800000, v7
	v_cmp_ne_u32_e32 vcc, s0, v8
                                        ; implicit-def: $vgpr8
	s_and_saveexec_b64 s[0:1], vcc
	s_xor_b64 s[0:1], exec, s[0:1]
; %bb.44:
	v_bfe_u32 v8, v7, 16, 1
	s_movk_i32 s4, 0x7fff
	v_add3_u32 v8, v7, v8, s4
                                        ; implicit-def: $vgpr7
; %bb.45:
	s_andn2_saveexec_b64 s[0:1], s[0:1]
; %bb.46:
	v_mov_b32_e32 v8, 0
	v_or_b32_e32 v9, 0x10000, v7
	v_cmp_eq_u32_sdwa vcc, v7, v8 src0_sel:WORD_0 src1_sel:DWORD
	v_cndmask_b32_e32 v8, v9, v7, vcc
; %bb.47:
	s_or_b64 exec, exec, s[0:1]
	v_and_b32_e32 v7, 16, v4
	v_and_b32_e32 v9, 0xffff0000, v8
	v_lshrrev_b32_e32 v8, 16, v8
	v_cmp_eq_u32_e32 vcc, 0, v7
	v_cndmask_b32_e32 v7, v9, v5, vcc
	v_cndmask_b32_e32 v5, v8, v6, vcc
	s_mov_b32 s0, 0x7f800000
	s_nop 0
	v_mov_b32_dpp v6, v5 row_bcast:31 row_mask:0xf bank_mask:0xf
	v_lshlrev_b32_e32 v6, 16, v6
	v_add_f32_e32 v6, v7, v6
	v_and_b32_e32 v7, 0x7f800000, v6
	v_cmp_ne_u32_e32 vcc, s0, v7
                                        ; implicit-def: $vgpr7
	s_and_saveexec_b64 s[0:1], vcc
	s_xor_b64 s[0:1], exec, s[0:1]
; %bb.48:
	v_bfe_u32 v7, v6, 16, 1
	s_movk_i32 s4, 0x7fff
	v_add3_u32 v7, v6, v7, s4
                                        ; implicit-def: $vgpr6
; %bb.49:
	s_andn2_saveexec_b64 s[0:1], s[0:1]
; %bb.50:
	v_mov_b32_e32 v7, 0
	v_or_b32_e32 v8, 0x10000, v6
	v_cmp_eq_u32_sdwa vcc, v6, v7 src0_sel:WORD_0 src1_sel:DWORD
	v_cndmask_b32_e32 v7, v8, v6, vcc
; %bb.51:
	s_or_b64 exec, exec, s[0:1]
	v_cmp_lt_u32_e32 vcc, 31, v4
	v_cndmask_b32_sdwa v9, v5, v7, vcc dst_sel:DWORD dst_unused:UNUSED_PAD src0_sel:DWORD src1_sel:WORD_1
	v_bfrev_b32_e32 v5, 0.5
	v_lshl_or_b32 v4, v4, 2, v5
	v_and_b32_e32 v5, 0xffff, v9
	ds_bpermute_b32 v8, v4, v5
.LBB76_52:
	v_mov_b32_e32 v4, s3
	v_add_co_u32_e32 v2, vcc, s2, v2
	v_addc_co_u32_e32 v3, vcc, v4, v3, vcc
	v_and_b32_e32 v0, 63, v0
	v_cmp_eq_u32_e32 vcc, 0, v0
	global_store_short v[2:3], v9, off
	s_and_saveexec_b64 s[0:1], vcc
	s_cbranch_execz .LBB76_54
; %bb.53:
	v_lshrrev_b32_e32 v0, 5, v1
	s_waitcnt lgkmcnt(0)
	global_store_short v0, v8, s[8:9]
.LBB76_54:
	s_endpgm
	.section	.rodata,"a",@progbits
	.p2align	6, 0x0
	.amdhsa_kernel _Z33warp_inclusive_scan_reduce_kernelI12hip_bfloat16Lj256ELj64EENSt9enable_ifIXsr10test_utilsE35device_test_enabled_for_warp_size_vIXT1_EEEvE4typeEPT_S5_S5_
		.amdhsa_group_segment_fixed_size 0
		.amdhsa_private_segment_fixed_size 0
		.amdhsa_kernarg_size 24
		.amdhsa_user_sgpr_count 6
		.amdhsa_user_sgpr_private_segment_buffer 1
		.amdhsa_user_sgpr_dispatch_ptr 0
		.amdhsa_user_sgpr_queue_ptr 0
		.amdhsa_user_sgpr_kernarg_segment_ptr 1
		.amdhsa_user_sgpr_dispatch_id 0
		.amdhsa_user_sgpr_flat_scratch_init 0
		.amdhsa_user_sgpr_private_segment_size 0
		.amdhsa_uses_dynamic_stack 0
		.amdhsa_system_sgpr_private_segment_wavefront_offset 0
		.amdhsa_system_sgpr_workgroup_id_x 1
		.amdhsa_system_sgpr_workgroup_id_y 0
		.amdhsa_system_sgpr_workgroup_id_z 0
		.amdhsa_system_sgpr_workgroup_info 0
		.amdhsa_system_vgpr_workitem_id 0
		.amdhsa_next_free_vgpr 13
		.amdhsa_next_free_sgpr 10
		.amdhsa_reserve_vcc 1
		.amdhsa_reserve_flat_scratch 0
		.amdhsa_float_round_mode_32 0
		.amdhsa_float_round_mode_16_64 0
		.amdhsa_float_denorm_mode_32 3
		.amdhsa_float_denorm_mode_16_64 3
		.amdhsa_dx10_clamp 1
		.amdhsa_ieee_mode 1
		.amdhsa_fp16_overflow 0
		.amdhsa_exception_fp_ieee_invalid_op 0
		.amdhsa_exception_fp_denorm_src 0
		.amdhsa_exception_fp_ieee_div_zero 0
		.amdhsa_exception_fp_ieee_overflow 0
		.amdhsa_exception_fp_ieee_underflow 0
		.amdhsa_exception_fp_ieee_inexact 0
		.amdhsa_exception_int_div_zero 0
	.end_amdhsa_kernel
	.section	.text._Z33warp_inclusive_scan_reduce_kernelI12hip_bfloat16Lj256ELj64EENSt9enable_ifIXsr10test_utilsE35device_test_enabled_for_warp_size_vIXT1_EEEvE4typeEPT_S5_S5_,"axG",@progbits,_Z33warp_inclusive_scan_reduce_kernelI12hip_bfloat16Lj256ELj64EENSt9enable_ifIXsr10test_utilsE35device_test_enabled_for_warp_size_vIXT1_EEEvE4typeEPT_S5_S5_,comdat
.Lfunc_end76:
	.size	_Z33warp_inclusive_scan_reduce_kernelI12hip_bfloat16Lj256ELj64EENSt9enable_ifIXsr10test_utilsE35device_test_enabled_for_warp_size_vIXT1_EEEvE4typeEPT_S5_S5_, .Lfunc_end76-_Z33warp_inclusive_scan_reduce_kernelI12hip_bfloat16Lj256ELj64EENSt9enable_ifIXsr10test_utilsE35device_test_enabled_for_warp_size_vIXT1_EEEvE4typeEPT_S5_S5_
                                        ; -- End function
	.set _Z33warp_inclusive_scan_reduce_kernelI12hip_bfloat16Lj256ELj64EENSt9enable_ifIXsr10test_utilsE35device_test_enabled_for_warp_size_vIXT1_EEEvE4typeEPT_S5_S5_.num_vgpr, 13
	.set _Z33warp_inclusive_scan_reduce_kernelI12hip_bfloat16Lj256ELj64EENSt9enable_ifIXsr10test_utilsE35device_test_enabled_for_warp_size_vIXT1_EEEvE4typeEPT_S5_S5_.num_agpr, 0
	.set _Z33warp_inclusive_scan_reduce_kernelI12hip_bfloat16Lj256ELj64EENSt9enable_ifIXsr10test_utilsE35device_test_enabled_for_warp_size_vIXT1_EEEvE4typeEPT_S5_S5_.numbered_sgpr, 10
	.set _Z33warp_inclusive_scan_reduce_kernelI12hip_bfloat16Lj256ELj64EENSt9enable_ifIXsr10test_utilsE35device_test_enabled_for_warp_size_vIXT1_EEEvE4typeEPT_S5_S5_.num_named_barrier, 0
	.set _Z33warp_inclusive_scan_reduce_kernelI12hip_bfloat16Lj256ELj64EENSt9enable_ifIXsr10test_utilsE35device_test_enabled_for_warp_size_vIXT1_EEEvE4typeEPT_S5_S5_.private_seg_size, 0
	.set _Z33warp_inclusive_scan_reduce_kernelI12hip_bfloat16Lj256ELj64EENSt9enable_ifIXsr10test_utilsE35device_test_enabled_for_warp_size_vIXT1_EEEvE4typeEPT_S5_S5_.uses_vcc, 1
	.set _Z33warp_inclusive_scan_reduce_kernelI12hip_bfloat16Lj256ELj64EENSt9enable_ifIXsr10test_utilsE35device_test_enabled_for_warp_size_vIXT1_EEEvE4typeEPT_S5_S5_.uses_flat_scratch, 0
	.set _Z33warp_inclusive_scan_reduce_kernelI12hip_bfloat16Lj256ELj64EENSt9enable_ifIXsr10test_utilsE35device_test_enabled_for_warp_size_vIXT1_EEEvE4typeEPT_S5_S5_.has_dyn_sized_stack, 0
	.set _Z33warp_inclusive_scan_reduce_kernelI12hip_bfloat16Lj256ELj64EENSt9enable_ifIXsr10test_utilsE35device_test_enabled_for_warp_size_vIXT1_EEEvE4typeEPT_S5_S5_.has_recursion, 0
	.set _Z33warp_inclusive_scan_reduce_kernelI12hip_bfloat16Lj256ELj64EENSt9enable_ifIXsr10test_utilsE35device_test_enabled_for_warp_size_vIXT1_EEEvE4typeEPT_S5_S5_.has_indirect_call, 0
	.section	.AMDGPU.csdata,"",@progbits
; Kernel info:
; codeLenInByte = 1660
; TotalNumSgprs: 14
; NumVgprs: 13
; ScratchSize: 0
; MemoryBound: 0
; FloatMode: 240
; IeeeMode: 1
; LDSByteSize: 0 bytes/workgroup (compile time only)
; SGPRBlocks: 1
; VGPRBlocks: 3
; NumSGPRsForWavesPerEU: 14
; NumVGPRsForWavesPerEU: 13
; Occupancy: 10
; WaveLimiterHint : 0
; COMPUTE_PGM_RSRC2:SCRATCH_EN: 0
; COMPUTE_PGM_RSRC2:USER_SGPR: 6
; COMPUTE_PGM_RSRC2:TRAP_HANDLER: 0
; COMPUTE_PGM_RSRC2:TGID_X_EN: 1
; COMPUTE_PGM_RSRC2:TGID_Y_EN: 0
; COMPUTE_PGM_RSRC2:TGID_Z_EN: 0
; COMPUTE_PGM_RSRC2:TIDIG_COMP_CNT: 0
	.section	.text._Z33warp_inclusive_scan_reduce_kernelI12hip_bfloat16Lj128ELj32EENSt9enable_ifIXsr10test_utilsE35device_test_enabled_for_warp_size_vIXT1_EEEvE4typeEPT_S5_S5_,"axG",@progbits,_Z33warp_inclusive_scan_reduce_kernelI12hip_bfloat16Lj128ELj32EENSt9enable_ifIXsr10test_utilsE35device_test_enabled_for_warp_size_vIXT1_EEEvE4typeEPT_S5_S5_,comdat
	.protected	_Z33warp_inclusive_scan_reduce_kernelI12hip_bfloat16Lj128ELj32EENSt9enable_ifIXsr10test_utilsE35device_test_enabled_for_warp_size_vIXT1_EEEvE4typeEPT_S5_S5_ ; -- Begin function _Z33warp_inclusive_scan_reduce_kernelI12hip_bfloat16Lj128ELj32EENSt9enable_ifIXsr10test_utilsE35device_test_enabled_for_warp_size_vIXT1_EEEvE4typeEPT_S5_S5_
	.globl	_Z33warp_inclusive_scan_reduce_kernelI12hip_bfloat16Lj128ELj32EENSt9enable_ifIXsr10test_utilsE35device_test_enabled_for_warp_size_vIXT1_EEEvE4typeEPT_S5_S5_
	.p2align	8
	.type	_Z33warp_inclusive_scan_reduce_kernelI12hip_bfloat16Lj128ELj32EENSt9enable_ifIXsr10test_utilsE35device_test_enabled_for_warp_size_vIXT1_EEEvE4typeEPT_S5_S5_,@function
_Z33warp_inclusive_scan_reduce_kernelI12hip_bfloat16Lj128ELj32EENSt9enable_ifIXsr10test_utilsE35device_test_enabled_for_warp_size_vIXT1_EEEvE4typeEPT_S5_S5_: ; @_Z33warp_inclusive_scan_reduce_kernelI12hip_bfloat16Lj128ELj32EENSt9enable_ifIXsr10test_utilsE35device_test_enabled_for_warp_size_vIXT1_EEEvE4typeEPT_S5_S5_
; %bb.0:
	s_load_dwordx4 s[0:3], s[4:5], 0x0
	s_load_dwordx2 s[8:9], s[4:5], 0x10
	v_lshl_or_b32 v1, s6, 7, v0
	v_mov_b32_e32 v2, 0
	v_lshlrev_b64 v[2:3], 1, v[1:2]
	s_waitcnt lgkmcnt(0)
	v_mov_b32_e32 v5, s1
	v_add_co_u32_e32 v4, vcc, s0, v2
	v_addc_co_u32_e32 v5, vcc, v5, v3, vcc
	global_load_ushort v6, v[4:5], off
	v_mbcnt_lo_u32_b32 v4, -1, 0
	s_bitcmp1_b32 s6, 0
	v_mbcnt_hi_u32_b32 v4, -1, v4
	s_cselect_b64 s[0:1], -1, 0
	v_and_b32_e32 v5, 15, v4
	s_and_b64 vcc, exec, s[0:1]
	s_waitcnt vmcnt(0)
	v_lshlrev_b32_e32 v7, 16, v6
	s_cbranch_vccz .LBB77_22
; %bb.1:
	v_mov_b32_dpp v8, v6 row_shr:1 row_mask:0xf bank_mask:0xf
	v_lshlrev_b32_e32 v8, 16, v8
	v_add_f32_e32 v8, v7, v8
	s_mov_b32 s0, 0x7f800000
	v_and_b32_e32 v9, 0x7f800000, v8
	v_cmp_ne_u32_e32 vcc, s0, v9
                                        ; implicit-def: $vgpr9
	s_and_saveexec_b64 s[0:1], vcc
	s_xor_b64 s[0:1], exec, s[0:1]
; %bb.2:
	v_bfe_u32 v9, v8, 16, 1
	s_movk_i32 s4, 0x7fff
	v_add3_u32 v9, v8, v9, s4
                                        ; implicit-def: $vgpr8
; %bb.3:
	s_andn2_saveexec_b64 s[0:1], s[0:1]
; %bb.4:
	v_mov_b32_e32 v9, 0
	v_or_b32_e32 v10, 0x10000, v8
	v_cmp_eq_u32_sdwa vcc, v8, v9 src0_sel:WORD_0 src1_sel:DWORD
	v_cndmask_b32_e32 v9, v10, v8, vcc
; %bb.5:
	s_or_b64 exec, exec, s[0:1]
	v_and_b32_e32 v8, 0xffff0000, v9
	v_lshrrev_b32_e32 v9, 16, v9
	v_cmp_eq_u32_e32 vcc, 0, v5
	v_cndmask_b32_e32 v9, v9, v6, vcc
	v_cndmask_b32_e32 v8, v8, v7, vcc
	s_mov_b32 s0, 0x7f800000
	v_mov_b32_dpp v10, v9 row_shr:2 row_mask:0xf bank_mask:0xf
	v_lshlrev_b32_e32 v10, 16, v10
	v_add_f32_e32 v10, v8, v10
	v_and_b32_e32 v11, 0x7f800000, v10
	v_cmp_ne_u32_e32 vcc, s0, v11
                                        ; implicit-def: $vgpr11
	s_and_saveexec_b64 s[0:1], vcc
	s_xor_b64 s[0:1], exec, s[0:1]
; %bb.6:
	v_bfe_u32 v11, v10, 16, 1
	s_movk_i32 s4, 0x7fff
	v_add3_u32 v11, v10, v11, s4
                                        ; implicit-def: $vgpr10
; %bb.7:
	s_andn2_saveexec_b64 s[0:1], s[0:1]
; %bb.8:
	v_mov_b32_e32 v11, 0
	v_or_b32_e32 v12, 0x10000, v10
	v_cmp_eq_u32_sdwa vcc, v10, v11 src0_sel:WORD_0 src1_sel:DWORD
	v_cndmask_b32_e32 v11, v12, v10, vcc
; %bb.9:
	s_or_b64 exec, exec, s[0:1]
	v_and_b32_e32 v10, 0xffff0000, v11
	v_lshrrev_b32_e32 v11, 16, v11
	v_cmp_lt_u32_e32 vcc, 1, v5
	v_cndmask_b32_e32 v9, v9, v11, vcc
	v_cndmask_b32_e32 v8, v8, v10, vcc
	s_mov_b32 s0, 0x7f800000
	v_mov_b32_dpp v10, v9 row_shr:4 row_mask:0xf bank_mask:0xf
	v_lshlrev_b32_e32 v10, 16, v10
	v_add_f32_e32 v10, v8, v10
	v_and_b32_e32 v11, 0x7f800000, v10
	v_cmp_ne_u32_e32 vcc, s0, v11
                                        ; implicit-def: $vgpr11
	s_and_saveexec_b64 s[0:1], vcc
	s_xor_b64 s[0:1], exec, s[0:1]
; %bb.10:
	v_bfe_u32 v11, v10, 16, 1
	s_movk_i32 s4, 0x7fff
	v_add3_u32 v11, v10, v11, s4
                                        ; implicit-def: $vgpr10
; %bb.11:
	s_andn2_saveexec_b64 s[0:1], s[0:1]
; %bb.12:
	v_mov_b32_e32 v11, 0
	v_or_b32_e32 v12, 0x10000, v10
	v_cmp_eq_u32_sdwa vcc, v10, v11 src0_sel:WORD_0 src1_sel:DWORD
	v_cndmask_b32_e32 v11, v12, v10, vcc
; %bb.13:
	s_or_b64 exec, exec, s[0:1]
	v_and_b32_e32 v10, 0xffff0000, v11
	v_lshrrev_b32_e32 v11, 16, v11
	v_cmp_lt_u32_e32 vcc, 3, v5
	;; [unrolled: 28-line block ×3, first 2 shown]
	v_cndmask_b32_e32 v10, v8, v10, vcc
	v_cndmask_b32_e32 v8, v9, v11, vcc
	s_mov_b32 s0, 0x7f800000
	s_nop 0
	v_mov_b32_dpp v9, v8 row_bcast:15 row_mask:0xf bank_mask:0xf
	v_lshlrev_b32_e32 v9, 16, v9
	v_add_f32_e32 v9, v10, v9
	v_and_b32_e32 v10, 0x7f800000, v9
	v_cmp_ne_u32_e32 vcc, s0, v10
                                        ; implicit-def: $vgpr10
	s_and_saveexec_b64 s[0:1], vcc
	s_xor_b64 s[0:1], exec, s[0:1]
; %bb.18:
	v_bfe_u32 v10, v9, 16, 1
	s_movk_i32 s4, 0x7fff
	v_add3_u32 v10, v9, v10, s4
                                        ; implicit-def: $vgpr9
; %bb.19:
	s_andn2_saveexec_b64 s[0:1], s[0:1]
; %bb.20:
	v_mov_b32_e32 v10, 0
	v_or_b32_e32 v11, 0x10000, v9
	v_cmp_eq_u32_sdwa vcc, v9, v10 src0_sel:WORD_0 src1_sel:DWORD
	v_cndmask_b32_e32 v10, v11, v9, vcc
; %bb.21:
	s_or_b64 exec, exec, s[0:1]
	v_and_b32_e32 v9, 16, v4
	v_cmp_eq_u32_e32 vcc, 0, v9
	v_cndmask_b32_sdwa v9, v10, v8, vcc dst_sel:DWORD dst_unused:UNUSED_PAD src0_sel:WORD_1 src1_sel:DWORD
	v_mov_b32_e32 v8, 0x7c
	v_lshl_or_b32 v8, v4, 2, v8
	v_and_b32_e32 v10, 0xffff, v9
	ds_bpermute_b32 v8, v8, v10
	s_branch .LBB77_44
.LBB77_22:
                                        ; implicit-def: $vgpr9
                                        ; implicit-def: $vgpr8
	s_cbranch_execz .LBB77_44
; %bb.23:
	s_waitcnt lgkmcnt(0)
	v_mov_b32_dpp v8, v6 row_shr:1 row_mask:0xf bank_mask:0xf
	v_lshlrev_b32_e32 v8, 16, v8
	v_add_f32_e32 v8, v7, v8
	s_mov_b32 s0, 0x7f800000
	v_and_b32_e32 v9, 0x7f800000, v8
	v_cmp_ne_u32_e32 vcc, s0, v9
                                        ; implicit-def: $vgpr9
	s_and_saveexec_b64 s[0:1], vcc
	s_xor_b64 s[0:1], exec, s[0:1]
; %bb.24:
	v_bfe_u32 v9, v8, 16, 1
	s_movk_i32 s4, 0x7fff
	v_add3_u32 v9, v8, v9, s4
                                        ; implicit-def: $vgpr8
; %bb.25:
	s_andn2_saveexec_b64 s[0:1], s[0:1]
; %bb.26:
	v_mov_b32_e32 v9, 0
	v_or_b32_e32 v10, 0x10000, v8
	v_cmp_eq_u32_sdwa vcc, v8, v9 src0_sel:WORD_0 src1_sel:DWORD
	v_cndmask_b32_e32 v9, v10, v8, vcc
; %bb.27:
	s_or_b64 exec, exec, s[0:1]
	v_and_b32_e32 v8, 0xffff0000, v9
	v_lshrrev_b32_e32 v9, 16, v9
	v_cmp_eq_u32_e32 vcc, 0, v5
	v_cndmask_b32_e32 v6, v9, v6, vcc
	v_cndmask_b32_e32 v7, v8, v7, vcc
	s_mov_b32 s0, 0x7f800000
	v_mov_b32_dpp v8, v6 row_shr:2 row_mask:0xf bank_mask:0xf
	v_lshlrev_b32_e32 v8, 16, v8
	v_add_f32_e32 v8, v7, v8
	v_and_b32_e32 v9, 0x7f800000, v8
	v_cmp_ne_u32_e32 vcc, s0, v9
                                        ; implicit-def: $vgpr9
	s_and_saveexec_b64 s[0:1], vcc
	s_xor_b64 s[0:1], exec, s[0:1]
; %bb.28:
	v_bfe_u32 v9, v8, 16, 1
	s_movk_i32 s4, 0x7fff
	v_add3_u32 v9, v8, v9, s4
                                        ; implicit-def: $vgpr8
; %bb.29:
	s_andn2_saveexec_b64 s[0:1], s[0:1]
; %bb.30:
	v_mov_b32_e32 v9, 0
	v_or_b32_e32 v10, 0x10000, v8
	v_cmp_eq_u32_sdwa vcc, v8, v9 src0_sel:WORD_0 src1_sel:DWORD
	v_cndmask_b32_e32 v9, v10, v8, vcc
; %bb.31:
	s_or_b64 exec, exec, s[0:1]
	v_and_b32_e32 v8, 0xffff0000, v9
	v_lshrrev_b32_e32 v9, 16, v9
	v_cmp_lt_u32_e32 vcc, 1, v5
	v_cndmask_b32_e32 v6, v6, v9, vcc
	v_cndmask_b32_e32 v7, v7, v8, vcc
	s_mov_b32 s0, 0x7f800000
	v_mov_b32_dpp v8, v6 row_shr:4 row_mask:0xf bank_mask:0xf
	v_lshlrev_b32_e32 v8, 16, v8
	v_add_f32_e32 v8, v7, v8
	v_and_b32_e32 v9, 0x7f800000, v8
	v_cmp_ne_u32_e32 vcc, s0, v9
                                        ; implicit-def: $vgpr9
	s_and_saveexec_b64 s[0:1], vcc
	s_xor_b64 s[0:1], exec, s[0:1]
; %bb.32:
	v_bfe_u32 v9, v8, 16, 1
	s_movk_i32 s4, 0x7fff
	v_add3_u32 v9, v8, v9, s4
                                        ; implicit-def: $vgpr8
; %bb.33:
	s_andn2_saveexec_b64 s[0:1], s[0:1]
; %bb.34:
	v_mov_b32_e32 v9, 0
	v_or_b32_e32 v10, 0x10000, v8
	v_cmp_eq_u32_sdwa vcc, v8, v9 src0_sel:WORD_0 src1_sel:DWORD
	v_cndmask_b32_e32 v9, v10, v8, vcc
; %bb.35:
	s_or_b64 exec, exec, s[0:1]
	v_and_b32_e32 v8, 0xffff0000, v9
	v_lshrrev_b32_e32 v9, 16, v9
	v_cmp_lt_u32_e32 vcc, 3, v5
	v_cndmask_b32_e32 v6, v6, v9, vcc
	v_cndmask_b32_e32 v7, v7, v8, vcc
	s_mov_b32 s0, 0x7f800000
	v_mov_b32_dpp v8, v6 row_shr:8 row_mask:0xf bank_mask:0xf
	v_lshlrev_b32_e32 v8, 16, v8
	v_add_f32_e32 v8, v7, v8
	v_and_b32_e32 v9, 0x7f800000, v8
	v_cmp_ne_u32_e32 vcc, s0, v9
                                        ; implicit-def: $vgpr9
	s_and_saveexec_b64 s[0:1], vcc
	s_xor_b64 s[0:1], exec, s[0:1]
; %bb.36:
	v_bfe_u32 v9, v8, 16, 1
	s_movk_i32 s4, 0x7fff
	v_add3_u32 v9, v8, v9, s4
                                        ; implicit-def: $vgpr8
; %bb.37:
	s_andn2_saveexec_b64 s[0:1], s[0:1]
; %bb.38:
	v_mov_b32_e32 v9, 0
	v_or_b32_e32 v10, 0x10000, v8
	v_cmp_eq_u32_sdwa vcc, v8, v9 src0_sel:WORD_0 src1_sel:DWORD
	v_cndmask_b32_e32 v9, v10, v8, vcc
; %bb.39:
	s_or_b64 exec, exec, s[0:1]
	v_and_b32_e32 v8, 0xffff0000, v9
	v_lshrrev_b32_e32 v9, 16, v9
	v_cmp_lt_u32_e32 vcc, 7, v5
	v_cndmask_b32_e32 v5, v6, v9, vcc
	v_cndmask_b32_e32 v7, v7, v8, vcc
	s_mov_b32 s0, 0x7f800000
	v_mov_b32_dpp v6, v5 row_bcast:15 row_mask:0xf bank_mask:0xf
	v_lshlrev_b32_e32 v6, 16, v6
	v_add_f32_e32 v6, v7, v6
	v_and_b32_e32 v7, 0x7f800000, v6
	v_cmp_ne_u32_e32 vcc, s0, v7
                                        ; implicit-def: $vgpr7
	s_and_saveexec_b64 s[0:1], vcc
	s_xor_b64 s[0:1], exec, s[0:1]
; %bb.40:
	v_bfe_u32 v7, v6, 16, 1
	s_movk_i32 s4, 0x7fff
	v_add3_u32 v7, v6, v7, s4
                                        ; implicit-def: $vgpr6
; %bb.41:
	s_andn2_saveexec_b64 s[0:1], s[0:1]
; %bb.42:
	v_mov_b32_e32 v7, 0
	v_or_b32_e32 v8, 0x10000, v6
	v_cmp_eq_u32_sdwa vcc, v6, v7 src0_sel:WORD_0 src1_sel:DWORD
	v_cndmask_b32_e32 v7, v8, v6, vcc
; %bb.43:
	s_or_b64 exec, exec, s[0:1]
	v_and_b32_e32 v6, 16, v4
	v_cmp_eq_u32_e32 vcc, 0, v6
	v_cndmask_b32_sdwa v9, v7, v5, vcc dst_sel:DWORD dst_unused:UNUSED_PAD src0_sel:WORD_1 src1_sel:DWORD
	v_mov_b32_e32 v5, 0x7c
	v_lshl_or_b32 v4, v4, 2, v5
	v_and_b32_e32 v5, 0xffff, v9
	ds_bpermute_b32 v8, v4, v5
.LBB77_44:
	v_mov_b32_e32 v4, s3
	v_add_co_u32_e32 v2, vcc, s2, v2
	v_addc_co_u32_e32 v3, vcc, v4, v3, vcc
	v_and_b32_e32 v0, 31, v0
	v_cmp_eq_u32_e32 vcc, 0, v0
	global_store_short v[2:3], v9, off
	s_and_saveexec_b64 s[0:1], vcc
	s_cbranch_execz .LBB77_46
; %bb.45:
	v_lshrrev_b32_e32 v0, 4, v1
	s_waitcnt lgkmcnt(0)
	global_store_short v0, v8, s[8:9]
.LBB77_46:
	s_endpgm
	.section	.rodata,"a",@progbits
	.p2align	6, 0x0
	.amdhsa_kernel _Z33warp_inclusive_scan_reduce_kernelI12hip_bfloat16Lj128ELj32EENSt9enable_ifIXsr10test_utilsE35device_test_enabled_for_warp_size_vIXT1_EEEvE4typeEPT_S5_S5_
		.amdhsa_group_segment_fixed_size 0
		.amdhsa_private_segment_fixed_size 0
		.amdhsa_kernarg_size 24
		.amdhsa_user_sgpr_count 6
		.amdhsa_user_sgpr_private_segment_buffer 1
		.amdhsa_user_sgpr_dispatch_ptr 0
		.amdhsa_user_sgpr_queue_ptr 0
		.amdhsa_user_sgpr_kernarg_segment_ptr 1
		.amdhsa_user_sgpr_dispatch_id 0
		.amdhsa_user_sgpr_flat_scratch_init 0
		.amdhsa_user_sgpr_private_segment_size 0
		.amdhsa_uses_dynamic_stack 0
		.amdhsa_system_sgpr_private_segment_wavefront_offset 0
		.amdhsa_system_sgpr_workgroup_id_x 1
		.amdhsa_system_sgpr_workgroup_id_y 0
		.amdhsa_system_sgpr_workgroup_id_z 0
		.amdhsa_system_sgpr_workgroup_info 0
		.amdhsa_system_vgpr_workitem_id 0
		.amdhsa_next_free_vgpr 13
		.amdhsa_next_free_sgpr 10
		.amdhsa_reserve_vcc 1
		.amdhsa_reserve_flat_scratch 0
		.amdhsa_float_round_mode_32 0
		.amdhsa_float_round_mode_16_64 0
		.amdhsa_float_denorm_mode_32 3
		.amdhsa_float_denorm_mode_16_64 3
		.amdhsa_dx10_clamp 1
		.amdhsa_ieee_mode 1
		.amdhsa_fp16_overflow 0
		.amdhsa_exception_fp_ieee_invalid_op 0
		.amdhsa_exception_fp_denorm_src 0
		.amdhsa_exception_fp_ieee_div_zero 0
		.amdhsa_exception_fp_ieee_overflow 0
		.amdhsa_exception_fp_ieee_underflow 0
		.amdhsa_exception_fp_ieee_inexact 0
		.amdhsa_exception_int_div_zero 0
	.end_amdhsa_kernel
	.section	.text._Z33warp_inclusive_scan_reduce_kernelI12hip_bfloat16Lj128ELj32EENSt9enable_ifIXsr10test_utilsE35device_test_enabled_for_warp_size_vIXT1_EEEvE4typeEPT_S5_S5_,"axG",@progbits,_Z33warp_inclusive_scan_reduce_kernelI12hip_bfloat16Lj128ELj32EENSt9enable_ifIXsr10test_utilsE35device_test_enabled_for_warp_size_vIXT1_EEEvE4typeEPT_S5_S5_,comdat
.Lfunc_end77:
	.size	_Z33warp_inclusive_scan_reduce_kernelI12hip_bfloat16Lj128ELj32EENSt9enable_ifIXsr10test_utilsE35device_test_enabled_for_warp_size_vIXT1_EEEvE4typeEPT_S5_S5_, .Lfunc_end77-_Z33warp_inclusive_scan_reduce_kernelI12hip_bfloat16Lj128ELj32EENSt9enable_ifIXsr10test_utilsE35device_test_enabled_for_warp_size_vIXT1_EEEvE4typeEPT_S5_S5_
                                        ; -- End function
	.set _Z33warp_inclusive_scan_reduce_kernelI12hip_bfloat16Lj128ELj32EENSt9enable_ifIXsr10test_utilsE35device_test_enabled_for_warp_size_vIXT1_EEEvE4typeEPT_S5_S5_.num_vgpr, 13
	.set _Z33warp_inclusive_scan_reduce_kernelI12hip_bfloat16Lj128ELj32EENSt9enable_ifIXsr10test_utilsE35device_test_enabled_for_warp_size_vIXT1_EEEvE4typeEPT_S5_S5_.num_agpr, 0
	.set _Z33warp_inclusive_scan_reduce_kernelI12hip_bfloat16Lj128ELj32EENSt9enable_ifIXsr10test_utilsE35device_test_enabled_for_warp_size_vIXT1_EEEvE4typeEPT_S5_S5_.numbered_sgpr, 10
	.set _Z33warp_inclusive_scan_reduce_kernelI12hip_bfloat16Lj128ELj32EENSt9enable_ifIXsr10test_utilsE35device_test_enabled_for_warp_size_vIXT1_EEEvE4typeEPT_S5_S5_.num_named_barrier, 0
	.set _Z33warp_inclusive_scan_reduce_kernelI12hip_bfloat16Lj128ELj32EENSt9enable_ifIXsr10test_utilsE35device_test_enabled_for_warp_size_vIXT1_EEEvE4typeEPT_S5_S5_.private_seg_size, 0
	.set _Z33warp_inclusive_scan_reduce_kernelI12hip_bfloat16Lj128ELj32EENSt9enable_ifIXsr10test_utilsE35device_test_enabled_for_warp_size_vIXT1_EEEvE4typeEPT_S5_S5_.uses_vcc, 1
	.set _Z33warp_inclusive_scan_reduce_kernelI12hip_bfloat16Lj128ELj32EENSt9enable_ifIXsr10test_utilsE35device_test_enabled_for_warp_size_vIXT1_EEEvE4typeEPT_S5_S5_.uses_flat_scratch, 0
	.set _Z33warp_inclusive_scan_reduce_kernelI12hip_bfloat16Lj128ELj32EENSt9enable_ifIXsr10test_utilsE35device_test_enabled_for_warp_size_vIXT1_EEEvE4typeEPT_S5_S5_.has_dyn_sized_stack, 0
	.set _Z33warp_inclusive_scan_reduce_kernelI12hip_bfloat16Lj128ELj32EENSt9enable_ifIXsr10test_utilsE35device_test_enabled_for_warp_size_vIXT1_EEEvE4typeEPT_S5_S5_.has_recursion, 0
	.set _Z33warp_inclusive_scan_reduce_kernelI12hip_bfloat16Lj128ELj32EENSt9enable_ifIXsr10test_utilsE35device_test_enabled_for_warp_size_vIXT1_EEEvE4typeEPT_S5_S5_.has_indirect_call, 0
	.section	.AMDGPU.csdata,"",@progbits
; Kernel info:
; codeLenInByte = 1424
; TotalNumSgprs: 14
; NumVgprs: 13
; ScratchSize: 0
; MemoryBound: 0
; FloatMode: 240
; IeeeMode: 1
; LDSByteSize: 0 bytes/workgroup (compile time only)
; SGPRBlocks: 1
; VGPRBlocks: 3
; NumSGPRsForWavesPerEU: 14
; NumVGPRsForWavesPerEU: 13
; Occupancy: 10
; WaveLimiterHint : 0
; COMPUTE_PGM_RSRC2:SCRATCH_EN: 0
; COMPUTE_PGM_RSRC2:USER_SGPR: 6
; COMPUTE_PGM_RSRC2:TRAP_HANDLER: 0
; COMPUTE_PGM_RSRC2:TGID_X_EN: 1
; COMPUTE_PGM_RSRC2:TGID_Y_EN: 0
; COMPUTE_PGM_RSRC2:TGID_Z_EN: 0
; COMPUTE_PGM_RSRC2:TIDIG_COMP_CNT: 0
	.section	.text._Z33warp_inclusive_scan_reduce_kernelI12hip_bfloat16Lj64ELj16EENSt9enable_ifIXsr10test_utilsE35device_test_enabled_for_warp_size_vIXT1_EEEvE4typeEPT_S5_S5_,"axG",@progbits,_Z33warp_inclusive_scan_reduce_kernelI12hip_bfloat16Lj64ELj16EENSt9enable_ifIXsr10test_utilsE35device_test_enabled_for_warp_size_vIXT1_EEEvE4typeEPT_S5_S5_,comdat
	.protected	_Z33warp_inclusive_scan_reduce_kernelI12hip_bfloat16Lj64ELj16EENSt9enable_ifIXsr10test_utilsE35device_test_enabled_for_warp_size_vIXT1_EEEvE4typeEPT_S5_S5_ ; -- Begin function _Z33warp_inclusive_scan_reduce_kernelI12hip_bfloat16Lj64ELj16EENSt9enable_ifIXsr10test_utilsE35device_test_enabled_for_warp_size_vIXT1_EEEvE4typeEPT_S5_S5_
	.globl	_Z33warp_inclusive_scan_reduce_kernelI12hip_bfloat16Lj64ELj16EENSt9enable_ifIXsr10test_utilsE35device_test_enabled_for_warp_size_vIXT1_EEEvE4typeEPT_S5_S5_
	.p2align	8
	.type	_Z33warp_inclusive_scan_reduce_kernelI12hip_bfloat16Lj64ELj16EENSt9enable_ifIXsr10test_utilsE35device_test_enabled_for_warp_size_vIXT1_EEEvE4typeEPT_S5_S5_,@function
_Z33warp_inclusive_scan_reduce_kernelI12hip_bfloat16Lj64ELj16EENSt9enable_ifIXsr10test_utilsE35device_test_enabled_for_warp_size_vIXT1_EEEvE4typeEPT_S5_S5_: ; @_Z33warp_inclusive_scan_reduce_kernelI12hip_bfloat16Lj64ELj16EENSt9enable_ifIXsr10test_utilsE35device_test_enabled_for_warp_size_vIXT1_EEEvE4typeEPT_S5_S5_
; %bb.0:
	s_load_dwordx4 s[0:3], s[4:5], 0x0
	s_load_dwordx2 s[8:9], s[4:5], 0x10
	v_lshl_or_b32 v1, s6, 6, v0
	v_mov_b32_e32 v2, 0
	v_lshlrev_b64 v[2:3], 1, v[1:2]
	s_waitcnt lgkmcnt(0)
	v_mov_b32_e32 v5, s1
	v_add_co_u32_e32 v4, vcc, s0, v2
	v_addc_co_u32_e32 v5, vcc, v5, v3, vcc
	global_load_ushort v6, v[4:5], off
	v_mbcnt_lo_u32_b32 v4, -1, 0
	s_bitcmp1_b32 s6, 0
	v_mbcnt_hi_u32_b32 v4, -1, v4
	s_cselect_b64 s[0:1], -1, 0
	v_and_b32_e32 v5, 15, v4
	s_and_b64 vcc, exec, s[0:1]
	s_waitcnt vmcnt(0)
	v_lshlrev_b32_e32 v7, 16, v6
	s_cbranch_vccz .LBB78_18
; %bb.1:
	v_mov_b32_dpp v8, v6 row_shr:1 row_mask:0xf bank_mask:0xf
	v_lshlrev_b32_e32 v8, 16, v8
	v_add_f32_e32 v8, v7, v8
	s_mov_b32 s0, 0x7f800000
	v_and_b32_e32 v9, 0x7f800000, v8
	v_cmp_ne_u32_e32 vcc, s0, v9
                                        ; implicit-def: $vgpr9
	s_and_saveexec_b64 s[0:1], vcc
	s_xor_b64 s[0:1], exec, s[0:1]
; %bb.2:
	v_bfe_u32 v9, v8, 16, 1
	s_movk_i32 s4, 0x7fff
	v_add3_u32 v9, v8, v9, s4
                                        ; implicit-def: $vgpr8
; %bb.3:
	s_andn2_saveexec_b64 s[0:1], s[0:1]
; %bb.4:
	v_mov_b32_e32 v9, 0
	v_or_b32_e32 v10, 0x10000, v8
	v_cmp_eq_u32_sdwa vcc, v8, v9 src0_sel:WORD_0 src1_sel:DWORD
	v_cndmask_b32_e32 v9, v10, v8, vcc
; %bb.5:
	s_or_b64 exec, exec, s[0:1]
	v_and_b32_e32 v8, 0xffff0000, v9
	v_lshrrev_b32_e32 v9, 16, v9
	v_cmp_eq_u32_e32 vcc, 0, v5
	v_cndmask_b32_e32 v9, v9, v6, vcc
	v_cndmask_b32_e32 v8, v8, v7, vcc
	s_mov_b32 s0, 0x7f800000
	v_mov_b32_dpp v10, v9 row_shr:2 row_mask:0xf bank_mask:0xf
	v_lshlrev_b32_e32 v10, 16, v10
	v_add_f32_e32 v10, v8, v10
	v_and_b32_e32 v11, 0x7f800000, v10
	v_cmp_ne_u32_e32 vcc, s0, v11
                                        ; implicit-def: $vgpr11
	s_and_saveexec_b64 s[0:1], vcc
	s_xor_b64 s[0:1], exec, s[0:1]
; %bb.6:
	v_bfe_u32 v11, v10, 16, 1
	s_movk_i32 s4, 0x7fff
	v_add3_u32 v11, v10, v11, s4
                                        ; implicit-def: $vgpr10
; %bb.7:
	s_andn2_saveexec_b64 s[0:1], s[0:1]
; %bb.8:
	v_mov_b32_e32 v11, 0
	v_or_b32_e32 v12, 0x10000, v10
	v_cmp_eq_u32_sdwa vcc, v10, v11 src0_sel:WORD_0 src1_sel:DWORD
	v_cndmask_b32_e32 v11, v12, v10, vcc
; %bb.9:
	s_or_b64 exec, exec, s[0:1]
	v_and_b32_e32 v10, 0xffff0000, v11
	v_lshrrev_b32_e32 v11, 16, v11
	v_cmp_lt_u32_e32 vcc, 1, v5
	v_cndmask_b32_e32 v9, v9, v11, vcc
	v_cndmask_b32_e32 v8, v8, v10, vcc
	s_mov_b32 s0, 0x7f800000
	v_mov_b32_dpp v10, v9 row_shr:4 row_mask:0xf bank_mask:0xf
	v_lshlrev_b32_e32 v10, 16, v10
	v_add_f32_e32 v10, v8, v10
	v_and_b32_e32 v11, 0x7f800000, v10
	v_cmp_ne_u32_e32 vcc, s0, v11
                                        ; implicit-def: $vgpr11
	s_and_saveexec_b64 s[0:1], vcc
	s_xor_b64 s[0:1], exec, s[0:1]
; %bb.10:
	v_bfe_u32 v11, v10, 16, 1
	s_movk_i32 s4, 0x7fff
	v_add3_u32 v11, v10, v11, s4
                                        ; implicit-def: $vgpr10
; %bb.11:
	s_andn2_saveexec_b64 s[0:1], s[0:1]
; %bb.12:
	v_mov_b32_e32 v11, 0
	v_or_b32_e32 v12, 0x10000, v10
	v_cmp_eq_u32_sdwa vcc, v10, v11 src0_sel:WORD_0 src1_sel:DWORD
	v_cndmask_b32_e32 v11, v12, v10, vcc
; %bb.13:
	s_or_b64 exec, exec, s[0:1]
	v_and_b32_e32 v10, 0xffff0000, v11
	v_lshrrev_b32_e32 v11, 16, v11
	v_cmp_lt_u32_e32 vcc, 3, v5
	v_cndmask_b32_e32 v10, v8, v10, vcc
	v_cndmask_b32_e32 v8, v9, v11, vcc
	s_mov_b32 s0, 0x7f800000
	s_nop 0
	v_mov_b32_dpp v9, v8 row_shr:8 row_mask:0xf bank_mask:0xf
	v_lshlrev_b32_e32 v9, 16, v9
	v_add_f32_e32 v9, v10, v9
	v_and_b32_e32 v10, 0x7f800000, v9
	v_cmp_ne_u32_e32 vcc, s0, v10
                                        ; implicit-def: $vgpr10
	s_and_saveexec_b64 s[0:1], vcc
	s_xor_b64 s[0:1], exec, s[0:1]
; %bb.14:
	v_bfe_u32 v10, v9, 16, 1
	s_movk_i32 s4, 0x7fff
	v_add3_u32 v10, v9, v10, s4
                                        ; implicit-def: $vgpr9
; %bb.15:
	s_andn2_saveexec_b64 s[0:1], s[0:1]
; %bb.16:
	v_mov_b32_e32 v10, 0
	v_or_b32_e32 v11, 0x10000, v9
	v_cmp_eq_u32_sdwa vcc, v9, v10 src0_sel:WORD_0 src1_sel:DWORD
	v_cndmask_b32_e32 v10, v11, v9, vcc
; %bb.17:
	s_or_b64 exec, exec, s[0:1]
	v_cmp_lt_u32_e32 vcc, 7, v5
	v_cndmask_b32_sdwa v9, v8, v10, vcc dst_sel:DWORD dst_unused:UNUSED_PAD src0_sel:DWORD src1_sel:WORD_1
	v_lshl_or_b32 v8, v4, 2, 60
	v_and_b32_e32 v10, 0xffff, v9
	ds_bpermute_b32 v8, v8, v10
	s_branch .LBB78_36
.LBB78_18:
                                        ; implicit-def: $vgpr9
                                        ; implicit-def: $vgpr8
	s_cbranch_execz .LBB78_36
; %bb.19:
	s_waitcnt lgkmcnt(0)
	v_mov_b32_dpp v8, v6 row_shr:1 row_mask:0xf bank_mask:0xf
	v_lshlrev_b32_e32 v8, 16, v8
	v_add_f32_e32 v8, v7, v8
	s_mov_b32 s0, 0x7f800000
	v_and_b32_e32 v9, 0x7f800000, v8
	v_cmp_ne_u32_e32 vcc, s0, v9
                                        ; implicit-def: $vgpr9
	s_and_saveexec_b64 s[0:1], vcc
	s_xor_b64 s[0:1], exec, s[0:1]
; %bb.20:
	v_bfe_u32 v9, v8, 16, 1
	s_movk_i32 s4, 0x7fff
	v_add3_u32 v9, v8, v9, s4
                                        ; implicit-def: $vgpr8
; %bb.21:
	s_andn2_saveexec_b64 s[0:1], s[0:1]
; %bb.22:
	v_mov_b32_e32 v9, 0
	v_or_b32_e32 v10, 0x10000, v8
	v_cmp_eq_u32_sdwa vcc, v8, v9 src0_sel:WORD_0 src1_sel:DWORD
	v_cndmask_b32_e32 v9, v10, v8, vcc
; %bb.23:
	s_or_b64 exec, exec, s[0:1]
	v_and_b32_e32 v8, 0xffff0000, v9
	v_lshrrev_b32_e32 v9, 16, v9
	v_cmp_eq_u32_e32 vcc, 0, v5
	v_cndmask_b32_e32 v6, v9, v6, vcc
	v_cndmask_b32_e32 v7, v8, v7, vcc
	s_mov_b32 s0, 0x7f800000
	v_mov_b32_dpp v8, v6 row_shr:2 row_mask:0xf bank_mask:0xf
	v_lshlrev_b32_e32 v8, 16, v8
	v_add_f32_e32 v8, v7, v8
	v_and_b32_e32 v9, 0x7f800000, v8
	v_cmp_ne_u32_e32 vcc, s0, v9
                                        ; implicit-def: $vgpr9
	s_and_saveexec_b64 s[0:1], vcc
	s_xor_b64 s[0:1], exec, s[0:1]
; %bb.24:
	v_bfe_u32 v9, v8, 16, 1
	s_movk_i32 s4, 0x7fff
	v_add3_u32 v9, v8, v9, s4
                                        ; implicit-def: $vgpr8
; %bb.25:
	s_andn2_saveexec_b64 s[0:1], s[0:1]
; %bb.26:
	v_mov_b32_e32 v9, 0
	v_or_b32_e32 v10, 0x10000, v8
	v_cmp_eq_u32_sdwa vcc, v8, v9 src0_sel:WORD_0 src1_sel:DWORD
	v_cndmask_b32_e32 v9, v10, v8, vcc
; %bb.27:
	s_or_b64 exec, exec, s[0:1]
	v_and_b32_e32 v8, 0xffff0000, v9
	v_lshrrev_b32_e32 v9, 16, v9
	v_cmp_lt_u32_e32 vcc, 1, v5
	v_cndmask_b32_e32 v6, v6, v9, vcc
	v_cndmask_b32_e32 v7, v7, v8, vcc
	s_mov_b32 s0, 0x7f800000
	v_mov_b32_dpp v8, v6 row_shr:4 row_mask:0xf bank_mask:0xf
	v_lshlrev_b32_e32 v8, 16, v8
	v_add_f32_e32 v8, v7, v8
	v_and_b32_e32 v9, 0x7f800000, v8
	v_cmp_ne_u32_e32 vcc, s0, v9
                                        ; implicit-def: $vgpr9
	s_and_saveexec_b64 s[0:1], vcc
	s_xor_b64 s[0:1], exec, s[0:1]
; %bb.28:
	v_bfe_u32 v9, v8, 16, 1
	s_movk_i32 s4, 0x7fff
	v_add3_u32 v9, v8, v9, s4
                                        ; implicit-def: $vgpr8
; %bb.29:
	s_andn2_saveexec_b64 s[0:1], s[0:1]
; %bb.30:
	v_mov_b32_e32 v9, 0
	v_or_b32_e32 v10, 0x10000, v8
	v_cmp_eq_u32_sdwa vcc, v8, v9 src0_sel:WORD_0 src1_sel:DWORD
	v_cndmask_b32_e32 v9, v10, v8, vcc
; %bb.31:
	s_or_b64 exec, exec, s[0:1]
	v_and_b32_e32 v8, 0xffff0000, v9
	v_lshrrev_b32_e32 v9, 16, v9
	v_cmp_lt_u32_e32 vcc, 3, v5
	v_cndmask_b32_e32 v6, v6, v9, vcc
	v_cndmask_b32_e32 v7, v7, v8, vcc
	s_mov_b32 s0, 0x7f800000
	v_mov_b32_dpp v8, v6 row_shr:8 row_mask:0xf bank_mask:0xf
	v_lshlrev_b32_e32 v8, 16, v8
	v_add_f32_e32 v7, v7, v8
	v_and_b32_e32 v8, 0x7f800000, v7
	v_cmp_ne_u32_e32 vcc, s0, v8
                                        ; implicit-def: $vgpr8
	s_and_saveexec_b64 s[0:1], vcc
	s_xor_b64 s[0:1], exec, s[0:1]
; %bb.32:
	v_bfe_u32 v8, v7, 16, 1
	s_movk_i32 s4, 0x7fff
	v_add3_u32 v8, v7, v8, s4
                                        ; implicit-def: $vgpr7
; %bb.33:
	s_andn2_saveexec_b64 s[0:1], s[0:1]
; %bb.34:
	v_mov_b32_e32 v8, 0
	v_or_b32_e32 v9, 0x10000, v7
	v_cmp_eq_u32_sdwa vcc, v7, v8 src0_sel:WORD_0 src1_sel:DWORD
	v_cndmask_b32_e32 v8, v9, v7, vcc
; %bb.35:
	s_or_b64 exec, exec, s[0:1]
	v_cmp_lt_u32_e32 vcc, 7, v5
	v_cndmask_b32_sdwa v9, v6, v8, vcc dst_sel:DWORD dst_unused:UNUSED_PAD src0_sel:DWORD src1_sel:WORD_1
	v_lshl_or_b32 v4, v4, 2, 60
	v_and_b32_e32 v5, 0xffff, v9
	ds_bpermute_b32 v8, v4, v5
.LBB78_36:
	v_mov_b32_e32 v4, s3
	v_add_co_u32_e32 v2, vcc, s2, v2
	v_addc_co_u32_e32 v3, vcc, v4, v3, vcc
	v_and_b32_e32 v0, 15, v0
	v_cmp_eq_u32_e32 vcc, 0, v0
	global_store_short v[2:3], v9, off
	s_and_saveexec_b64 s[0:1], vcc
	s_cbranch_execz .LBB78_38
; %bb.37:
	v_lshrrev_b32_e32 v0, 3, v1
	s_waitcnt lgkmcnt(0)
	global_store_short v0, v8, s[8:9]
.LBB78_38:
	s_endpgm
	.section	.rodata,"a",@progbits
	.p2align	6, 0x0
	.amdhsa_kernel _Z33warp_inclusive_scan_reduce_kernelI12hip_bfloat16Lj64ELj16EENSt9enable_ifIXsr10test_utilsE35device_test_enabled_for_warp_size_vIXT1_EEEvE4typeEPT_S5_S5_
		.amdhsa_group_segment_fixed_size 0
		.amdhsa_private_segment_fixed_size 0
		.amdhsa_kernarg_size 24
		.amdhsa_user_sgpr_count 6
		.amdhsa_user_sgpr_private_segment_buffer 1
		.amdhsa_user_sgpr_dispatch_ptr 0
		.amdhsa_user_sgpr_queue_ptr 0
		.amdhsa_user_sgpr_kernarg_segment_ptr 1
		.amdhsa_user_sgpr_dispatch_id 0
		.amdhsa_user_sgpr_flat_scratch_init 0
		.amdhsa_user_sgpr_private_segment_size 0
		.amdhsa_uses_dynamic_stack 0
		.amdhsa_system_sgpr_private_segment_wavefront_offset 0
		.amdhsa_system_sgpr_workgroup_id_x 1
		.amdhsa_system_sgpr_workgroup_id_y 0
		.amdhsa_system_sgpr_workgroup_id_z 0
		.amdhsa_system_sgpr_workgroup_info 0
		.amdhsa_system_vgpr_workitem_id 0
		.amdhsa_next_free_vgpr 13
		.amdhsa_next_free_sgpr 10
		.amdhsa_reserve_vcc 1
		.amdhsa_reserve_flat_scratch 0
		.amdhsa_float_round_mode_32 0
		.amdhsa_float_round_mode_16_64 0
		.amdhsa_float_denorm_mode_32 3
		.amdhsa_float_denorm_mode_16_64 3
		.amdhsa_dx10_clamp 1
		.amdhsa_ieee_mode 1
		.amdhsa_fp16_overflow 0
		.amdhsa_exception_fp_ieee_invalid_op 0
		.amdhsa_exception_fp_denorm_src 0
		.amdhsa_exception_fp_ieee_div_zero 0
		.amdhsa_exception_fp_ieee_overflow 0
		.amdhsa_exception_fp_ieee_underflow 0
		.amdhsa_exception_fp_ieee_inexact 0
		.amdhsa_exception_int_div_zero 0
	.end_amdhsa_kernel
	.section	.text._Z33warp_inclusive_scan_reduce_kernelI12hip_bfloat16Lj64ELj16EENSt9enable_ifIXsr10test_utilsE35device_test_enabled_for_warp_size_vIXT1_EEEvE4typeEPT_S5_S5_,"axG",@progbits,_Z33warp_inclusive_scan_reduce_kernelI12hip_bfloat16Lj64ELj16EENSt9enable_ifIXsr10test_utilsE35device_test_enabled_for_warp_size_vIXT1_EEEvE4typeEPT_S5_S5_,comdat
.Lfunc_end78:
	.size	_Z33warp_inclusive_scan_reduce_kernelI12hip_bfloat16Lj64ELj16EENSt9enable_ifIXsr10test_utilsE35device_test_enabled_for_warp_size_vIXT1_EEEvE4typeEPT_S5_S5_, .Lfunc_end78-_Z33warp_inclusive_scan_reduce_kernelI12hip_bfloat16Lj64ELj16EENSt9enable_ifIXsr10test_utilsE35device_test_enabled_for_warp_size_vIXT1_EEEvE4typeEPT_S5_S5_
                                        ; -- End function
	.set _Z33warp_inclusive_scan_reduce_kernelI12hip_bfloat16Lj64ELj16EENSt9enable_ifIXsr10test_utilsE35device_test_enabled_for_warp_size_vIXT1_EEEvE4typeEPT_S5_S5_.num_vgpr, 13
	.set _Z33warp_inclusive_scan_reduce_kernelI12hip_bfloat16Lj64ELj16EENSt9enable_ifIXsr10test_utilsE35device_test_enabled_for_warp_size_vIXT1_EEEvE4typeEPT_S5_S5_.num_agpr, 0
	.set _Z33warp_inclusive_scan_reduce_kernelI12hip_bfloat16Lj64ELj16EENSt9enable_ifIXsr10test_utilsE35device_test_enabled_for_warp_size_vIXT1_EEEvE4typeEPT_S5_S5_.numbered_sgpr, 10
	.set _Z33warp_inclusive_scan_reduce_kernelI12hip_bfloat16Lj64ELj16EENSt9enable_ifIXsr10test_utilsE35device_test_enabled_for_warp_size_vIXT1_EEEvE4typeEPT_S5_S5_.num_named_barrier, 0
	.set _Z33warp_inclusive_scan_reduce_kernelI12hip_bfloat16Lj64ELj16EENSt9enable_ifIXsr10test_utilsE35device_test_enabled_for_warp_size_vIXT1_EEEvE4typeEPT_S5_S5_.private_seg_size, 0
	.set _Z33warp_inclusive_scan_reduce_kernelI12hip_bfloat16Lj64ELj16EENSt9enable_ifIXsr10test_utilsE35device_test_enabled_for_warp_size_vIXT1_EEEvE4typeEPT_S5_S5_.uses_vcc, 1
	.set _Z33warp_inclusive_scan_reduce_kernelI12hip_bfloat16Lj64ELj16EENSt9enable_ifIXsr10test_utilsE35device_test_enabled_for_warp_size_vIXT1_EEEvE4typeEPT_S5_S5_.uses_flat_scratch, 0
	.set _Z33warp_inclusive_scan_reduce_kernelI12hip_bfloat16Lj64ELj16EENSt9enable_ifIXsr10test_utilsE35device_test_enabled_for_warp_size_vIXT1_EEEvE4typeEPT_S5_S5_.has_dyn_sized_stack, 0
	.set _Z33warp_inclusive_scan_reduce_kernelI12hip_bfloat16Lj64ELj16EENSt9enable_ifIXsr10test_utilsE35device_test_enabled_for_warp_size_vIXT1_EEEvE4typeEPT_S5_S5_.has_recursion, 0
	.set _Z33warp_inclusive_scan_reduce_kernelI12hip_bfloat16Lj64ELj16EENSt9enable_ifIXsr10test_utilsE35device_test_enabled_for_warp_size_vIXT1_EEEvE4typeEPT_S5_S5_.has_indirect_call, 0
	.section	.AMDGPU.csdata,"",@progbits
; Kernel info:
; codeLenInByte = 1160
; TotalNumSgprs: 14
; NumVgprs: 13
; ScratchSize: 0
; MemoryBound: 0
; FloatMode: 240
; IeeeMode: 1
; LDSByteSize: 0 bytes/workgroup (compile time only)
; SGPRBlocks: 1
; VGPRBlocks: 3
; NumSGPRsForWavesPerEU: 14
; NumVGPRsForWavesPerEU: 13
; Occupancy: 10
; WaveLimiterHint : 0
; COMPUTE_PGM_RSRC2:SCRATCH_EN: 0
; COMPUTE_PGM_RSRC2:USER_SGPR: 6
; COMPUTE_PGM_RSRC2:TRAP_HANDLER: 0
; COMPUTE_PGM_RSRC2:TGID_X_EN: 1
; COMPUTE_PGM_RSRC2:TGID_Y_EN: 0
; COMPUTE_PGM_RSRC2:TGID_Z_EN: 0
; COMPUTE_PGM_RSRC2:TIDIG_COMP_CNT: 0
	.section	.text._Z33warp_inclusive_scan_reduce_kernelI12hip_bfloat16Lj32ELj8EENSt9enable_ifIXsr10test_utilsE35device_test_enabled_for_warp_size_vIXT1_EEEvE4typeEPT_S5_S5_,"axG",@progbits,_Z33warp_inclusive_scan_reduce_kernelI12hip_bfloat16Lj32ELj8EENSt9enable_ifIXsr10test_utilsE35device_test_enabled_for_warp_size_vIXT1_EEEvE4typeEPT_S5_S5_,comdat
	.protected	_Z33warp_inclusive_scan_reduce_kernelI12hip_bfloat16Lj32ELj8EENSt9enable_ifIXsr10test_utilsE35device_test_enabled_for_warp_size_vIXT1_EEEvE4typeEPT_S5_S5_ ; -- Begin function _Z33warp_inclusive_scan_reduce_kernelI12hip_bfloat16Lj32ELj8EENSt9enable_ifIXsr10test_utilsE35device_test_enabled_for_warp_size_vIXT1_EEEvE4typeEPT_S5_S5_
	.globl	_Z33warp_inclusive_scan_reduce_kernelI12hip_bfloat16Lj32ELj8EENSt9enable_ifIXsr10test_utilsE35device_test_enabled_for_warp_size_vIXT1_EEEvE4typeEPT_S5_S5_
	.p2align	8
	.type	_Z33warp_inclusive_scan_reduce_kernelI12hip_bfloat16Lj32ELj8EENSt9enable_ifIXsr10test_utilsE35device_test_enabled_for_warp_size_vIXT1_EEEvE4typeEPT_S5_S5_,@function
_Z33warp_inclusive_scan_reduce_kernelI12hip_bfloat16Lj32ELj8EENSt9enable_ifIXsr10test_utilsE35device_test_enabled_for_warp_size_vIXT1_EEEvE4typeEPT_S5_S5_: ; @_Z33warp_inclusive_scan_reduce_kernelI12hip_bfloat16Lj32ELj8EENSt9enable_ifIXsr10test_utilsE35device_test_enabled_for_warp_size_vIXT1_EEEvE4typeEPT_S5_S5_
; %bb.0:
	s_load_dwordx4 s[0:3], s[4:5], 0x0
	s_load_dwordx2 s[8:9], s[4:5], 0x10
	v_lshl_or_b32 v1, s6, 5, v0
	v_mov_b32_e32 v2, 0
	v_lshlrev_b64 v[2:3], 1, v[1:2]
	s_waitcnt lgkmcnt(0)
	v_mov_b32_e32 v5, s1
	v_add_co_u32_e32 v4, vcc, s0, v2
	v_addc_co_u32_e32 v5, vcc, v5, v3, vcc
	global_load_ushort v6, v[4:5], off
	v_mbcnt_lo_u32_b32 v4, -1, 0
	s_bitcmp1_b32 s6, 0
	v_mbcnt_hi_u32_b32 v4, -1, v4
	s_cselect_b64 s[0:1], -1, 0
	v_and_b32_e32 v5, 7, v4
	s_and_b64 vcc, exec, s[0:1]
	s_waitcnt vmcnt(0)
	v_lshlrev_b32_e32 v7, 16, v6
	s_cbranch_vccz .LBB79_14
; %bb.1:
	v_mov_b32_dpp v8, v6 row_shr:1 row_mask:0xf bank_mask:0xf
	v_lshlrev_b32_e32 v8, 16, v8
	v_add_f32_e32 v8, v7, v8
	s_mov_b32 s0, 0x7f800000
	v_and_b32_e32 v9, 0x7f800000, v8
	v_cmp_ne_u32_e32 vcc, s0, v9
                                        ; implicit-def: $vgpr9
	s_and_saveexec_b64 s[0:1], vcc
	s_xor_b64 s[0:1], exec, s[0:1]
; %bb.2:
	v_bfe_u32 v9, v8, 16, 1
	s_movk_i32 s4, 0x7fff
	v_add3_u32 v9, v8, v9, s4
                                        ; implicit-def: $vgpr8
; %bb.3:
	s_andn2_saveexec_b64 s[0:1], s[0:1]
; %bb.4:
	v_mov_b32_e32 v9, 0
	v_or_b32_e32 v10, 0x10000, v8
	v_cmp_eq_u32_sdwa vcc, v8, v9 src0_sel:WORD_0 src1_sel:DWORD
	v_cndmask_b32_e32 v9, v10, v8, vcc
; %bb.5:
	s_or_b64 exec, exec, s[0:1]
	v_and_b32_e32 v8, 0xffff0000, v9
	v_lshrrev_b32_e32 v9, 16, v9
	v_cmp_eq_u32_e32 vcc, 0, v5
	v_cndmask_b32_e32 v9, v9, v6, vcc
	v_cndmask_b32_e32 v8, v8, v7, vcc
	s_mov_b32 s0, 0x7f800000
	v_mov_b32_dpp v10, v9 row_shr:2 row_mask:0xf bank_mask:0xf
	v_lshlrev_b32_e32 v10, 16, v10
	v_add_f32_e32 v10, v8, v10
	v_and_b32_e32 v11, 0x7f800000, v10
	v_cmp_ne_u32_e32 vcc, s0, v11
                                        ; implicit-def: $vgpr11
	s_and_saveexec_b64 s[0:1], vcc
	s_xor_b64 s[0:1], exec, s[0:1]
; %bb.6:
	v_bfe_u32 v11, v10, 16, 1
	s_movk_i32 s4, 0x7fff
	v_add3_u32 v11, v10, v11, s4
                                        ; implicit-def: $vgpr10
; %bb.7:
	s_andn2_saveexec_b64 s[0:1], s[0:1]
; %bb.8:
	v_mov_b32_e32 v11, 0
	v_or_b32_e32 v12, 0x10000, v10
	v_cmp_eq_u32_sdwa vcc, v10, v11 src0_sel:WORD_0 src1_sel:DWORD
	v_cndmask_b32_e32 v11, v12, v10, vcc
; %bb.9:
	s_or_b64 exec, exec, s[0:1]
	v_and_b32_e32 v10, 0xffff0000, v11
	v_lshrrev_b32_e32 v11, 16, v11
	v_cmp_lt_u32_e32 vcc, 1, v5
	v_cndmask_b32_e32 v10, v8, v10, vcc
	v_cndmask_b32_e32 v8, v9, v11, vcc
	s_mov_b32 s0, 0x7f800000
	s_nop 0
	v_mov_b32_dpp v9, v8 row_shr:4 row_mask:0xf bank_mask:0xf
	v_lshlrev_b32_e32 v9, 16, v9
	v_add_f32_e32 v9, v10, v9
	v_and_b32_e32 v10, 0x7f800000, v9
	v_cmp_ne_u32_e32 vcc, s0, v10
                                        ; implicit-def: $vgpr10
	s_and_saveexec_b64 s[0:1], vcc
	s_xor_b64 s[0:1], exec, s[0:1]
; %bb.10:
	v_bfe_u32 v10, v9, 16, 1
	s_movk_i32 s4, 0x7fff
	v_add3_u32 v10, v9, v10, s4
                                        ; implicit-def: $vgpr9
; %bb.11:
	s_andn2_saveexec_b64 s[0:1], s[0:1]
; %bb.12:
	v_mov_b32_e32 v10, 0
	v_or_b32_e32 v11, 0x10000, v9
	v_cmp_eq_u32_sdwa vcc, v9, v10 src0_sel:WORD_0 src1_sel:DWORD
	v_cndmask_b32_e32 v10, v11, v9, vcc
; %bb.13:
	s_or_b64 exec, exec, s[0:1]
	v_cmp_lt_u32_e32 vcc, 3, v5
	v_cndmask_b32_sdwa v9, v8, v10, vcc dst_sel:DWORD dst_unused:UNUSED_PAD src0_sel:DWORD src1_sel:WORD_1
	v_lshl_or_b32 v8, v4, 2, 28
	v_and_b32_e32 v10, 0xffff, v9
	ds_bpermute_b32 v8, v8, v10
	s_branch .LBB79_28
.LBB79_14:
                                        ; implicit-def: $vgpr9
                                        ; implicit-def: $vgpr8
	s_cbranch_execz .LBB79_28
; %bb.15:
	s_waitcnt lgkmcnt(0)
	v_mov_b32_dpp v8, v6 row_shr:1 row_mask:0xf bank_mask:0xf
	v_lshlrev_b32_e32 v8, 16, v8
	v_add_f32_e32 v8, v7, v8
	s_mov_b32 s0, 0x7f800000
	v_and_b32_e32 v9, 0x7f800000, v8
	v_cmp_ne_u32_e32 vcc, s0, v9
                                        ; implicit-def: $vgpr9
	s_and_saveexec_b64 s[0:1], vcc
	s_xor_b64 s[0:1], exec, s[0:1]
; %bb.16:
	v_bfe_u32 v9, v8, 16, 1
	s_movk_i32 s4, 0x7fff
	v_add3_u32 v9, v8, v9, s4
                                        ; implicit-def: $vgpr8
; %bb.17:
	s_andn2_saveexec_b64 s[0:1], s[0:1]
; %bb.18:
	v_mov_b32_e32 v9, 0
	v_or_b32_e32 v10, 0x10000, v8
	v_cmp_eq_u32_sdwa vcc, v8, v9 src0_sel:WORD_0 src1_sel:DWORD
	v_cndmask_b32_e32 v9, v10, v8, vcc
; %bb.19:
	s_or_b64 exec, exec, s[0:1]
	v_and_b32_e32 v8, 0xffff0000, v9
	v_lshrrev_b32_e32 v9, 16, v9
	v_cmp_eq_u32_e32 vcc, 0, v5
	v_cndmask_b32_e32 v6, v9, v6, vcc
	v_cndmask_b32_e32 v7, v8, v7, vcc
	s_mov_b32 s0, 0x7f800000
	v_mov_b32_dpp v8, v6 row_shr:2 row_mask:0xf bank_mask:0xf
	v_lshlrev_b32_e32 v8, 16, v8
	v_add_f32_e32 v8, v7, v8
	v_and_b32_e32 v9, 0x7f800000, v8
	v_cmp_ne_u32_e32 vcc, s0, v9
                                        ; implicit-def: $vgpr9
	s_and_saveexec_b64 s[0:1], vcc
	s_xor_b64 s[0:1], exec, s[0:1]
; %bb.20:
	v_bfe_u32 v9, v8, 16, 1
	s_movk_i32 s4, 0x7fff
	v_add3_u32 v9, v8, v9, s4
                                        ; implicit-def: $vgpr8
; %bb.21:
	s_andn2_saveexec_b64 s[0:1], s[0:1]
; %bb.22:
	v_mov_b32_e32 v9, 0
	v_or_b32_e32 v10, 0x10000, v8
	v_cmp_eq_u32_sdwa vcc, v8, v9 src0_sel:WORD_0 src1_sel:DWORD
	v_cndmask_b32_e32 v9, v10, v8, vcc
; %bb.23:
	s_or_b64 exec, exec, s[0:1]
	v_and_b32_e32 v8, 0xffff0000, v9
	v_lshrrev_b32_e32 v9, 16, v9
	v_cmp_lt_u32_e32 vcc, 1, v5
	v_cndmask_b32_e32 v6, v6, v9, vcc
	v_cndmask_b32_e32 v7, v7, v8, vcc
	s_mov_b32 s0, 0x7f800000
	v_mov_b32_dpp v8, v6 row_shr:4 row_mask:0xf bank_mask:0xf
	v_lshlrev_b32_e32 v8, 16, v8
	v_add_f32_e32 v7, v7, v8
	v_and_b32_e32 v8, 0x7f800000, v7
	v_cmp_ne_u32_e32 vcc, s0, v8
                                        ; implicit-def: $vgpr8
	s_and_saveexec_b64 s[0:1], vcc
	s_xor_b64 s[0:1], exec, s[0:1]
; %bb.24:
	v_bfe_u32 v8, v7, 16, 1
	s_movk_i32 s4, 0x7fff
	v_add3_u32 v8, v7, v8, s4
                                        ; implicit-def: $vgpr7
; %bb.25:
	s_andn2_saveexec_b64 s[0:1], s[0:1]
; %bb.26:
	v_mov_b32_e32 v8, 0
	v_or_b32_e32 v9, 0x10000, v7
	v_cmp_eq_u32_sdwa vcc, v7, v8 src0_sel:WORD_0 src1_sel:DWORD
	v_cndmask_b32_e32 v8, v9, v7, vcc
; %bb.27:
	s_or_b64 exec, exec, s[0:1]
	v_cmp_lt_u32_e32 vcc, 3, v5
	v_cndmask_b32_sdwa v9, v6, v8, vcc dst_sel:DWORD dst_unused:UNUSED_PAD src0_sel:DWORD src1_sel:WORD_1
	v_lshl_or_b32 v4, v4, 2, 28
	v_and_b32_e32 v5, 0xffff, v9
	ds_bpermute_b32 v8, v4, v5
.LBB79_28:
	v_mov_b32_e32 v4, s3
	v_add_co_u32_e32 v2, vcc, s2, v2
	v_addc_co_u32_e32 v3, vcc, v4, v3, vcc
	v_and_b32_e32 v0, 7, v0
	v_cmp_eq_u32_e32 vcc, 0, v0
	global_store_short v[2:3], v9, off
	s_and_saveexec_b64 s[0:1], vcc
	s_cbranch_execz .LBB79_30
; %bb.29:
	v_lshrrev_b32_e32 v0, 2, v1
	s_waitcnt lgkmcnt(0)
	global_store_short v0, v8, s[8:9]
.LBB79_30:
	s_endpgm
	.section	.rodata,"a",@progbits
	.p2align	6, 0x0
	.amdhsa_kernel _Z33warp_inclusive_scan_reduce_kernelI12hip_bfloat16Lj32ELj8EENSt9enable_ifIXsr10test_utilsE35device_test_enabled_for_warp_size_vIXT1_EEEvE4typeEPT_S5_S5_
		.amdhsa_group_segment_fixed_size 0
		.amdhsa_private_segment_fixed_size 0
		.amdhsa_kernarg_size 24
		.amdhsa_user_sgpr_count 6
		.amdhsa_user_sgpr_private_segment_buffer 1
		.amdhsa_user_sgpr_dispatch_ptr 0
		.amdhsa_user_sgpr_queue_ptr 0
		.amdhsa_user_sgpr_kernarg_segment_ptr 1
		.amdhsa_user_sgpr_dispatch_id 0
		.amdhsa_user_sgpr_flat_scratch_init 0
		.amdhsa_user_sgpr_private_segment_size 0
		.amdhsa_uses_dynamic_stack 0
		.amdhsa_system_sgpr_private_segment_wavefront_offset 0
		.amdhsa_system_sgpr_workgroup_id_x 1
		.amdhsa_system_sgpr_workgroup_id_y 0
		.amdhsa_system_sgpr_workgroup_id_z 0
		.amdhsa_system_sgpr_workgroup_info 0
		.amdhsa_system_vgpr_workitem_id 0
		.amdhsa_next_free_vgpr 13
		.amdhsa_next_free_sgpr 10
		.amdhsa_reserve_vcc 1
		.amdhsa_reserve_flat_scratch 0
		.amdhsa_float_round_mode_32 0
		.amdhsa_float_round_mode_16_64 0
		.amdhsa_float_denorm_mode_32 3
		.amdhsa_float_denorm_mode_16_64 3
		.amdhsa_dx10_clamp 1
		.amdhsa_ieee_mode 1
		.amdhsa_fp16_overflow 0
		.amdhsa_exception_fp_ieee_invalid_op 0
		.amdhsa_exception_fp_denorm_src 0
		.amdhsa_exception_fp_ieee_div_zero 0
		.amdhsa_exception_fp_ieee_overflow 0
		.amdhsa_exception_fp_ieee_underflow 0
		.amdhsa_exception_fp_ieee_inexact 0
		.amdhsa_exception_int_div_zero 0
	.end_amdhsa_kernel
	.section	.text._Z33warp_inclusive_scan_reduce_kernelI12hip_bfloat16Lj32ELj8EENSt9enable_ifIXsr10test_utilsE35device_test_enabled_for_warp_size_vIXT1_EEEvE4typeEPT_S5_S5_,"axG",@progbits,_Z33warp_inclusive_scan_reduce_kernelI12hip_bfloat16Lj32ELj8EENSt9enable_ifIXsr10test_utilsE35device_test_enabled_for_warp_size_vIXT1_EEEvE4typeEPT_S5_S5_,comdat
.Lfunc_end79:
	.size	_Z33warp_inclusive_scan_reduce_kernelI12hip_bfloat16Lj32ELj8EENSt9enable_ifIXsr10test_utilsE35device_test_enabled_for_warp_size_vIXT1_EEEvE4typeEPT_S5_S5_, .Lfunc_end79-_Z33warp_inclusive_scan_reduce_kernelI12hip_bfloat16Lj32ELj8EENSt9enable_ifIXsr10test_utilsE35device_test_enabled_for_warp_size_vIXT1_EEEvE4typeEPT_S5_S5_
                                        ; -- End function
	.set _Z33warp_inclusive_scan_reduce_kernelI12hip_bfloat16Lj32ELj8EENSt9enable_ifIXsr10test_utilsE35device_test_enabled_for_warp_size_vIXT1_EEEvE4typeEPT_S5_S5_.num_vgpr, 13
	.set _Z33warp_inclusive_scan_reduce_kernelI12hip_bfloat16Lj32ELj8EENSt9enable_ifIXsr10test_utilsE35device_test_enabled_for_warp_size_vIXT1_EEEvE4typeEPT_S5_S5_.num_agpr, 0
	.set _Z33warp_inclusive_scan_reduce_kernelI12hip_bfloat16Lj32ELj8EENSt9enable_ifIXsr10test_utilsE35device_test_enabled_for_warp_size_vIXT1_EEEvE4typeEPT_S5_S5_.numbered_sgpr, 10
	.set _Z33warp_inclusive_scan_reduce_kernelI12hip_bfloat16Lj32ELj8EENSt9enable_ifIXsr10test_utilsE35device_test_enabled_for_warp_size_vIXT1_EEEvE4typeEPT_S5_S5_.num_named_barrier, 0
	.set _Z33warp_inclusive_scan_reduce_kernelI12hip_bfloat16Lj32ELj8EENSt9enable_ifIXsr10test_utilsE35device_test_enabled_for_warp_size_vIXT1_EEEvE4typeEPT_S5_S5_.private_seg_size, 0
	.set _Z33warp_inclusive_scan_reduce_kernelI12hip_bfloat16Lj32ELj8EENSt9enable_ifIXsr10test_utilsE35device_test_enabled_for_warp_size_vIXT1_EEEvE4typeEPT_S5_S5_.uses_vcc, 1
	.set _Z33warp_inclusive_scan_reduce_kernelI12hip_bfloat16Lj32ELj8EENSt9enable_ifIXsr10test_utilsE35device_test_enabled_for_warp_size_vIXT1_EEEvE4typeEPT_S5_S5_.uses_flat_scratch, 0
	.set _Z33warp_inclusive_scan_reduce_kernelI12hip_bfloat16Lj32ELj8EENSt9enable_ifIXsr10test_utilsE35device_test_enabled_for_warp_size_vIXT1_EEEvE4typeEPT_S5_S5_.has_dyn_sized_stack, 0
	.set _Z33warp_inclusive_scan_reduce_kernelI12hip_bfloat16Lj32ELj8EENSt9enable_ifIXsr10test_utilsE35device_test_enabled_for_warp_size_vIXT1_EEEvE4typeEPT_S5_S5_.has_recursion, 0
	.set _Z33warp_inclusive_scan_reduce_kernelI12hip_bfloat16Lj32ELj8EENSt9enable_ifIXsr10test_utilsE35device_test_enabled_for_warp_size_vIXT1_EEEvE4typeEPT_S5_S5_.has_indirect_call, 0
	.section	.AMDGPU.csdata,"",@progbits
; Kernel info:
; codeLenInByte = 920
; TotalNumSgprs: 14
; NumVgprs: 13
; ScratchSize: 0
; MemoryBound: 0
; FloatMode: 240
; IeeeMode: 1
; LDSByteSize: 0 bytes/workgroup (compile time only)
; SGPRBlocks: 1
; VGPRBlocks: 3
; NumSGPRsForWavesPerEU: 14
; NumVGPRsForWavesPerEU: 13
; Occupancy: 10
; WaveLimiterHint : 0
; COMPUTE_PGM_RSRC2:SCRATCH_EN: 0
; COMPUTE_PGM_RSRC2:USER_SGPR: 6
; COMPUTE_PGM_RSRC2:TRAP_HANDLER: 0
; COMPUTE_PGM_RSRC2:TGID_X_EN: 1
; COMPUTE_PGM_RSRC2:TGID_Y_EN: 0
; COMPUTE_PGM_RSRC2:TGID_Z_EN: 0
; COMPUTE_PGM_RSRC2:TIDIG_COMP_CNT: 0
	.section	.text._Z33warp_inclusive_scan_reduce_kernelI12hip_bfloat16Lj64ELj8EENSt9enable_ifIXsr10test_utilsE35device_test_enabled_for_warp_size_vIXT1_EEEvE4typeEPT_S5_S5_,"axG",@progbits,_Z33warp_inclusive_scan_reduce_kernelI12hip_bfloat16Lj64ELj8EENSt9enable_ifIXsr10test_utilsE35device_test_enabled_for_warp_size_vIXT1_EEEvE4typeEPT_S5_S5_,comdat
	.protected	_Z33warp_inclusive_scan_reduce_kernelI12hip_bfloat16Lj64ELj8EENSt9enable_ifIXsr10test_utilsE35device_test_enabled_for_warp_size_vIXT1_EEEvE4typeEPT_S5_S5_ ; -- Begin function _Z33warp_inclusive_scan_reduce_kernelI12hip_bfloat16Lj64ELj8EENSt9enable_ifIXsr10test_utilsE35device_test_enabled_for_warp_size_vIXT1_EEEvE4typeEPT_S5_S5_
	.globl	_Z33warp_inclusive_scan_reduce_kernelI12hip_bfloat16Lj64ELj8EENSt9enable_ifIXsr10test_utilsE35device_test_enabled_for_warp_size_vIXT1_EEEvE4typeEPT_S5_S5_
	.p2align	8
	.type	_Z33warp_inclusive_scan_reduce_kernelI12hip_bfloat16Lj64ELj8EENSt9enable_ifIXsr10test_utilsE35device_test_enabled_for_warp_size_vIXT1_EEEvE4typeEPT_S5_S5_,@function
_Z33warp_inclusive_scan_reduce_kernelI12hip_bfloat16Lj64ELj8EENSt9enable_ifIXsr10test_utilsE35device_test_enabled_for_warp_size_vIXT1_EEEvE4typeEPT_S5_S5_: ; @_Z33warp_inclusive_scan_reduce_kernelI12hip_bfloat16Lj64ELj8EENSt9enable_ifIXsr10test_utilsE35device_test_enabled_for_warp_size_vIXT1_EEEvE4typeEPT_S5_S5_
; %bb.0:
	s_load_dwordx4 s[0:3], s[4:5], 0x0
	s_load_dwordx2 s[8:9], s[4:5], 0x10
	v_lshl_or_b32 v1, s6, 6, v0
	v_mov_b32_e32 v2, 0
	v_lshlrev_b64 v[2:3], 1, v[1:2]
	s_waitcnt lgkmcnt(0)
	v_mov_b32_e32 v5, s1
	v_add_co_u32_e32 v4, vcc, s0, v2
	v_addc_co_u32_e32 v5, vcc, v5, v3, vcc
	global_load_ushort v6, v[4:5], off
	v_mbcnt_lo_u32_b32 v4, -1, 0
	s_bitcmp1_b32 s6, 0
	v_mbcnt_hi_u32_b32 v4, -1, v4
	s_cselect_b64 s[0:1], -1, 0
	v_and_b32_e32 v5, 7, v4
	s_and_b64 vcc, exec, s[0:1]
	s_waitcnt vmcnt(0)
	v_lshlrev_b32_e32 v7, 16, v6
	s_cbranch_vccz .LBB80_14
; %bb.1:
	v_mov_b32_dpp v8, v6 row_shr:1 row_mask:0xf bank_mask:0xf
	v_lshlrev_b32_e32 v8, 16, v8
	v_add_f32_e32 v8, v7, v8
	s_mov_b32 s0, 0x7f800000
	v_and_b32_e32 v9, 0x7f800000, v8
	v_cmp_ne_u32_e32 vcc, s0, v9
                                        ; implicit-def: $vgpr9
	s_and_saveexec_b64 s[0:1], vcc
	s_xor_b64 s[0:1], exec, s[0:1]
; %bb.2:
	v_bfe_u32 v9, v8, 16, 1
	s_movk_i32 s4, 0x7fff
	v_add3_u32 v9, v8, v9, s4
                                        ; implicit-def: $vgpr8
; %bb.3:
	s_andn2_saveexec_b64 s[0:1], s[0:1]
; %bb.4:
	v_mov_b32_e32 v9, 0
	v_or_b32_e32 v10, 0x10000, v8
	v_cmp_eq_u32_sdwa vcc, v8, v9 src0_sel:WORD_0 src1_sel:DWORD
	v_cndmask_b32_e32 v9, v10, v8, vcc
; %bb.5:
	s_or_b64 exec, exec, s[0:1]
	v_and_b32_e32 v8, 0xffff0000, v9
	v_lshrrev_b32_e32 v9, 16, v9
	v_cmp_eq_u32_e32 vcc, 0, v5
	v_cndmask_b32_e32 v9, v9, v6, vcc
	v_cndmask_b32_e32 v8, v8, v7, vcc
	s_mov_b32 s0, 0x7f800000
	v_mov_b32_dpp v10, v9 row_shr:2 row_mask:0xf bank_mask:0xf
	v_lshlrev_b32_e32 v10, 16, v10
	v_add_f32_e32 v10, v8, v10
	v_and_b32_e32 v11, 0x7f800000, v10
	v_cmp_ne_u32_e32 vcc, s0, v11
                                        ; implicit-def: $vgpr11
	s_and_saveexec_b64 s[0:1], vcc
	s_xor_b64 s[0:1], exec, s[0:1]
; %bb.6:
	v_bfe_u32 v11, v10, 16, 1
	s_movk_i32 s4, 0x7fff
	v_add3_u32 v11, v10, v11, s4
                                        ; implicit-def: $vgpr10
; %bb.7:
	s_andn2_saveexec_b64 s[0:1], s[0:1]
; %bb.8:
	v_mov_b32_e32 v11, 0
	v_or_b32_e32 v12, 0x10000, v10
	v_cmp_eq_u32_sdwa vcc, v10, v11 src0_sel:WORD_0 src1_sel:DWORD
	v_cndmask_b32_e32 v11, v12, v10, vcc
; %bb.9:
	s_or_b64 exec, exec, s[0:1]
	v_and_b32_e32 v10, 0xffff0000, v11
	v_lshrrev_b32_e32 v11, 16, v11
	v_cmp_lt_u32_e32 vcc, 1, v5
	v_cndmask_b32_e32 v10, v8, v10, vcc
	v_cndmask_b32_e32 v8, v9, v11, vcc
	s_mov_b32 s0, 0x7f800000
	s_nop 0
	v_mov_b32_dpp v9, v8 row_shr:4 row_mask:0xf bank_mask:0xf
	v_lshlrev_b32_e32 v9, 16, v9
	v_add_f32_e32 v9, v10, v9
	v_and_b32_e32 v10, 0x7f800000, v9
	v_cmp_ne_u32_e32 vcc, s0, v10
                                        ; implicit-def: $vgpr10
	s_and_saveexec_b64 s[0:1], vcc
	s_xor_b64 s[0:1], exec, s[0:1]
; %bb.10:
	v_bfe_u32 v10, v9, 16, 1
	s_movk_i32 s4, 0x7fff
	v_add3_u32 v10, v9, v10, s4
                                        ; implicit-def: $vgpr9
; %bb.11:
	s_andn2_saveexec_b64 s[0:1], s[0:1]
; %bb.12:
	v_mov_b32_e32 v10, 0
	v_or_b32_e32 v11, 0x10000, v9
	v_cmp_eq_u32_sdwa vcc, v9, v10 src0_sel:WORD_0 src1_sel:DWORD
	v_cndmask_b32_e32 v10, v11, v9, vcc
; %bb.13:
	s_or_b64 exec, exec, s[0:1]
	v_cmp_lt_u32_e32 vcc, 3, v5
	v_cndmask_b32_sdwa v9, v8, v10, vcc dst_sel:DWORD dst_unused:UNUSED_PAD src0_sel:DWORD src1_sel:WORD_1
	v_lshl_or_b32 v8, v4, 2, 28
	v_and_b32_e32 v10, 0xffff, v9
	ds_bpermute_b32 v8, v8, v10
	s_branch .LBB80_28
.LBB80_14:
                                        ; implicit-def: $vgpr9
                                        ; implicit-def: $vgpr8
	s_cbranch_execz .LBB80_28
; %bb.15:
	s_waitcnt lgkmcnt(0)
	v_mov_b32_dpp v8, v6 row_shr:1 row_mask:0xf bank_mask:0xf
	v_lshlrev_b32_e32 v8, 16, v8
	v_add_f32_e32 v8, v7, v8
	s_mov_b32 s0, 0x7f800000
	v_and_b32_e32 v9, 0x7f800000, v8
	v_cmp_ne_u32_e32 vcc, s0, v9
                                        ; implicit-def: $vgpr9
	s_and_saveexec_b64 s[0:1], vcc
	s_xor_b64 s[0:1], exec, s[0:1]
; %bb.16:
	v_bfe_u32 v9, v8, 16, 1
	s_movk_i32 s4, 0x7fff
	v_add3_u32 v9, v8, v9, s4
                                        ; implicit-def: $vgpr8
; %bb.17:
	s_andn2_saveexec_b64 s[0:1], s[0:1]
; %bb.18:
	v_mov_b32_e32 v9, 0
	v_or_b32_e32 v10, 0x10000, v8
	v_cmp_eq_u32_sdwa vcc, v8, v9 src0_sel:WORD_0 src1_sel:DWORD
	v_cndmask_b32_e32 v9, v10, v8, vcc
; %bb.19:
	s_or_b64 exec, exec, s[0:1]
	v_and_b32_e32 v8, 0xffff0000, v9
	v_lshrrev_b32_e32 v9, 16, v9
	v_cmp_eq_u32_e32 vcc, 0, v5
	v_cndmask_b32_e32 v6, v9, v6, vcc
	v_cndmask_b32_e32 v7, v8, v7, vcc
	s_mov_b32 s0, 0x7f800000
	v_mov_b32_dpp v8, v6 row_shr:2 row_mask:0xf bank_mask:0xf
	v_lshlrev_b32_e32 v8, 16, v8
	v_add_f32_e32 v8, v7, v8
	v_and_b32_e32 v9, 0x7f800000, v8
	v_cmp_ne_u32_e32 vcc, s0, v9
                                        ; implicit-def: $vgpr9
	s_and_saveexec_b64 s[0:1], vcc
	s_xor_b64 s[0:1], exec, s[0:1]
; %bb.20:
	v_bfe_u32 v9, v8, 16, 1
	s_movk_i32 s4, 0x7fff
	v_add3_u32 v9, v8, v9, s4
                                        ; implicit-def: $vgpr8
; %bb.21:
	s_andn2_saveexec_b64 s[0:1], s[0:1]
; %bb.22:
	v_mov_b32_e32 v9, 0
	v_or_b32_e32 v10, 0x10000, v8
	v_cmp_eq_u32_sdwa vcc, v8, v9 src0_sel:WORD_0 src1_sel:DWORD
	v_cndmask_b32_e32 v9, v10, v8, vcc
; %bb.23:
	s_or_b64 exec, exec, s[0:1]
	v_and_b32_e32 v8, 0xffff0000, v9
	v_lshrrev_b32_e32 v9, 16, v9
	v_cmp_lt_u32_e32 vcc, 1, v5
	v_cndmask_b32_e32 v6, v6, v9, vcc
	v_cndmask_b32_e32 v7, v7, v8, vcc
	s_mov_b32 s0, 0x7f800000
	v_mov_b32_dpp v8, v6 row_shr:4 row_mask:0xf bank_mask:0xf
	v_lshlrev_b32_e32 v8, 16, v8
	v_add_f32_e32 v7, v7, v8
	v_and_b32_e32 v8, 0x7f800000, v7
	v_cmp_ne_u32_e32 vcc, s0, v8
                                        ; implicit-def: $vgpr8
	s_and_saveexec_b64 s[0:1], vcc
	s_xor_b64 s[0:1], exec, s[0:1]
; %bb.24:
	v_bfe_u32 v8, v7, 16, 1
	s_movk_i32 s4, 0x7fff
	v_add3_u32 v8, v7, v8, s4
                                        ; implicit-def: $vgpr7
; %bb.25:
	s_andn2_saveexec_b64 s[0:1], s[0:1]
; %bb.26:
	v_mov_b32_e32 v8, 0
	v_or_b32_e32 v9, 0x10000, v7
	v_cmp_eq_u32_sdwa vcc, v7, v8 src0_sel:WORD_0 src1_sel:DWORD
	v_cndmask_b32_e32 v8, v9, v7, vcc
; %bb.27:
	s_or_b64 exec, exec, s[0:1]
	v_cmp_lt_u32_e32 vcc, 3, v5
	v_cndmask_b32_sdwa v9, v6, v8, vcc dst_sel:DWORD dst_unused:UNUSED_PAD src0_sel:DWORD src1_sel:WORD_1
	v_lshl_or_b32 v4, v4, 2, 28
	v_and_b32_e32 v5, 0xffff, v9
	ds_bpermute_b32 v8, v4, v5
.LBB80_28:
	v_mov_b32_e32 v4, s3
	v_add_co_u32_e32 v2, vcc, s2, v2
	v_addc_co_u32_e32 v3, vcc, v4, v3, vcc
	v_and_b32_e32 v0, 7, v0
	v_cmp_eq_u32_e32 vcc, 0, v0
	global_store_short v[2:3], v9, off
	s_and_saveexec_b64 s[0:1], vcc
	s_cbranch_execz .LBB80_30
; %bb.29:
	v_lshrrev_b32_e32 v0, 2, v1
	s_waitcnt lgkmcnt(0)
	global_store_short v0, v8, s[8:9]
.LBB80_30:
	s_endpgm
	.section	.rodata,"a",@progbits
	.p2align	6, 0x0
	.amdhsa_kernel _Z33warp_inclusive_scan_reduce_kernelI12hip_bfloat16Lj64ELj8EENSt9enable_ifIXsr10test_utilsE35device_test_enabled_for_warp_size_vIXT1_EEEvE4typeEPT_S5_S5_
		.amdhsa_group_segment_fixed_size 0
		.amdhsa_private_segment_fixed_size 0
		.amdhsa_kernarg_size 24
		.amdhsa_user_sgpr_count 6
		.amdhsa_user_sgpr_private_segment_buffer 1
		.amdhsa_user_sgpr_dispatch_ptr 0
		.amdhsa_user_sgpr_queue_ptr 0
		.amdhsa_user_sgpr_kernarg_segment_ptr 1
		.amdhsa_user_sgpr_dispatch_id 0
		.amdhsa_user_sgpr_flat_scratch_init 0
		.amdhsa_user_sgpr_private_segment_size 0
		.amdhsa_uses_dynamic_stack 0
		.amdhsa_system_sgpr_private_segment_wavefront_offset 0
		.amdhsa_system_sgpr_workgroup_id_x 1
		.amdhsa_system_sgpr_workgroup_id_y 0
		.amdhsa_system_sgpr_workgroup_id_z 0
		.amdhsa_system_sgpr_workgroup_info 0
		.amdhsa_system_vgpr_workitem_id 0
		.amdhsa_next_free_vgpr 13
		.amdhsa_next_free_sgpr 10
		.amdhsa_reserve_vcc 1
		.amdhsa_reserve_flat_scratch 0
		.amdhsa_float_round_mode_32 0
		.amdhsa_float_round_mode_16_64 0
		.amdhsa_float_denorm_mode_32 3
		.amdhsa_float_denorm_mode_16_64 3
		.amdhsa_dx10_clamp 1
		.amdhsa_ieee_mode 1
		.amdhsa_fp16_overflow 0
		.amdhsa_exception_fp_ieee_invalid_op 0
		.amdhsa_exception_fp_denorm_src 0
		.amdhsa_exception_fp_ieee_div_zero 0
		.amdhsa_exception_fp_ieee_overflow 0
		.amdhsa_exception_fp_ieee_underflow 0
		.amdhsa_exception_fp_ieee_inexact 0
		.amdhsa_exception_int_div_zero 0
	.end_amdhsa_kernel
	.section	.text._Z33warp_inclusive_scan_reduce_kernelI12hip_bfloat16Lj64ELj8EENSt9enable_ifIXsr10test_utilsE35device_test_enabled_for_warp_size_vIXT1_EEEvE4typeEPT_S5_S5_,"axG",@progbits,_Z33warp_inclusive_scan_reduce_kernelI12hip_bfloat16Lj64ELj8EENSt9enable_ifIXsr10test_utilsE35device_test_enabled_for_warp_size_vIXT1_EEEvE4typeEPT_S5_S5_,comdat
.Lfunc_end80:
	.size	_Z33warp_inclusive_scan_reduce_kernelI12hip_bfloat16Lj64ELj8EENSt9enable_ifIXsr10test_utilsE35device_test_enabled_for_warp_size_vIXT1_EEEvE4typeEPT_S5_S5_, .Lfunc_end80-_Z33warp_inclusive_scan_reduce_kernelI12hip_bfloat16Lj64ELj8EENSt9enable_ifIXsr10test_utilsE35device_test_enabled_for_warp_size_vIXT1_EEEvE4typeEPT_S5_S5_
                                        ; -- End function
	.set _Z33warp_inclusive_scan_reduce_kernelI12hip_bfloat16Lj64ELj8EENSt9enable_ifIXsr10test_utilsE35device_test_enabled_for_warp_size_vIXT1_EEEvE4typeEPT_S5_S5_.num_vgpr, 13
	.set _Z33warp_inclusive_scan_reduce_kernelI12hip_bfloat16Lj64ELj8EENSt9enable_ifIXsr10test_utilsE35device_test_enabled_for_warp_size_vIXT1_EEEvE4typeEPT_S5_S5_.num_agpr, 0
	.set _Z33warp_inclusive_scan_reduce_kernelI12hip_bfloat16Lj64ELj8EENSt9enable_ifIXsr10test_utilsE35device_test_enabled_for_warp_size_vIXT1_EEEvE4typeEPT_S5_S5_.numbered_sgpr, 10
	.set _Z33warp_inclusive_scan_reduce_kernelI12hip_bfloat16Lj64ELj8EENSt9enable_ifIXsr10test_utilsE35device_test_enabled_for_warp_size_vIXT1_EEEvE4typeEPT_S5_S5_.num_named_barrier, 0
	.set _Z33warp_inclusive_scan_reduce_kernelI12hip_bfloat16Lj64ELj8EENSt9enable_ifIXsr10test_utilsE35device_test_enabled_for_warp_size_vIXT1_EEEvE4typeEPT_S5_S5_.private_seg_size, 0
	.set _Z33warp_inclusive_scan_reduce_kernelI12hip_bfloat16Lj64ELj8EENSt9enable_ifIXsr10test_utilsE35device_test_enabled_for_warp_size_vIXT1_EEEvE4typeEPT_S5_S5_.uses_vcc, 1
	.set _Z33warp_inclusive_scan_reduce_kernelI12hip_bfloat16Lj64ELj8EENSt9enable_ifIXsr10test_utilsE35device_test_enabled_for_warp_size_vIXT1_EEEvE4typeEPT_S5_S5_.uses_flat_scratch, 0
	.set _Z33warp_inclusive_scan_reduce_kernelI12hip_bfloat16Lj64ELj8EENSt9enable_ifIXsr10test_utilsE35device_test_enabled_for_warp_size_vIXT1_EEEvE4typeEPT_S5_S5_.has_dyn_sized_stack, 0
	.set _Z33warp_inclusive_scan_reduce_kernelI12hip_bfloat16Lj64ELj8EENSt9enable_ifIXsr10test_utilsE35device_test_enabled_for_warp_size_vIXT1_EEEvE4typeEPT_S5_S5_.has_recursion, 0
	.set _Z33warp_inclusive_scan_reduce_kernelI12hip_bfloat16Lj64ELj8EENSt9enable_ifIXsr10test_utilsE35device_test_enabled_for_warp_size_vIXT1_EEEvE4typeEPT_S5_S5_.has_indirect_call, 0
	.section	.AMDGPU.csdata,"",@progbits
; Kernel info:
; codeLenInByte = 920
; TotalNumSgprs: 14
; NumVgprs: 13
; ScratchSize: 0
; MemoryBound: 0
; FloatMode: 240
; IeeeMode: 1
; LDSByteSize: 0 bytes/workgroup (compile time only)
; SGPRBlocks: 1
; VGPRBlocks: 3
; NumSGPRsForWavesPerEU: 14
; NumVGPRsForWavesPerEU: 13
; Occupancy: 10
; WaveLimiterHint : 0
; COMPUTE_PGM_RSRC2:SCRATCH_EN: 0
; COMPUTE_PGM_RSRC2:USER_SGPR: 6
; COMPUTE_PGM_RSRC2:TRAP_HANDLER: 0
; COMPUTE_PGM_RSRC2:TGID_X_EN: 1
; COMPUTE_PGM_RSRC2:TGID_Y_EN: 0
; COMPUTE_PGM_RSRC2:TGID_Z_EN: 0
; COMPUTE_PGM_RSRC2:TIDIG_COMP_CNT: 0
	.section	.text._Z33warp_inclusive_scan_reduce_kernelI12hip_bfloat16Lj32ELj4EENSt9enable_ifIXsr10test_utilsE35device_test_enabled_for_warp_size_vIXT1_EEEvE4typeEPT_S5_S5_,"axG",@progbits,_Z33warp_inclusive_scan_reduce_kernelI12hip_bfloat16Lj32ELj4EENSt9enable_ifIXsr10test_utilsE35device_test_enabled_for_warp_size_vIXT1_EEEvE4typeEPT_S5_S5_,comdat
	.protected	_Z33warp_inclusive_scan_reduce_kernelI12hip_bfloat16Lj32ELj4EENSt9enable_ifIXsr10test_utilsE35device_test_enabled_for_warp_size_vIXT1_EEEvE4typeEPT_S5_S5_ ; -- Begin function _Z33warp_inclusive_scan_reduce_kernelI12hip_bfloat16Lj32ELj4EENSt9enable_ifIXsr10test_utilsE35device_test_enabled_for_warp_size_vIXT1_EEEvE4typeEPT_S5_S5_
	.globl	_Z33warp_inclusive_scan_reduce_kernelI12hip_bfloat16Lj32ELj4EENSt9enable_ifIXsr10test_utilsE35device_test_enabled_for_warp_size_vIXT1_EEEvE4typeEPT_S5_S5_
	.p2align	8
	.type	_Z33warp_inclusive_scan_reduce_kernelI12hip_bfloat16Lj32ELj4EENSt9enable_ifIXsr10test_utilsE35device_test_enabled_for_warp_size_vIXT1_EEEvE4typeEPT_S5_S5_,@function
_Z33warp_inclusive_scan_reduce_kernelI12hip_bfloat16Lj32ELj4EENSt9enable_ifIXsr10test_utilsE35device_test_enabled_for_warp_size_vIXT1_EEEvE4typeEPT_S5_S5_: ; @_Z33warp_inclusive_scan_reduce_kernelI12hip_bfloat16Lj32ELj4EENSt9enable_ifIXsr10test_utilsE35device_test_enabled_for_warp_size_vIXT1_EEEvE4typeEPT_S5_S5_
; %bb.0:
	s_load_dwordx4 s[0:3], s[4:5], 0x0
	s_load_dwordx2 s[8:9], s[4:5], 0x10
	v_lshl_or_b32 v1, s6, 5, v0
	v_mov_b32_e32 v2, 0
	v_lshlrev_b64 v[2:3], 1, v[1:2]
	s_waitcnt lgkmcnt(0)
	v_mov_b32_e32 v5, s1
	v_add_co_u32_e32 v4, vcc, s0, v2
	v_addc_co_u32_e32 v5, vcc, v5, v3, vcc
	global_load_ushort v6, v[4:5], off
	v_mbcnt_lo_u32_b32 v4, -1, 0
	s_bitcmp1_b32 s6, 0
	v_mbcnt_hi_u32_b32 v4, -1, v4
	s_cselect_b64 s[0:1], -1, 0
	v_and_b32_e32 v5, 3, v4
	s_and_b64 vcc, exec, s[0:1]
	s_waitcnt vmcnt(0)
	v_lshlrev_b32_e32 v7, 16, v6
	s_cbranch_vccz .LBB81_10
; %bb.1:
	v_mov_b32_dpp v8, v6 row_shr:1 row_mask:0xf bank_mask:0xf
	v_lshlrev_b32_e32 v8, 16, v8
	v_add_f32_e32 v8, v7, v8
	s_mov_b32 s0, 0x7f800000
	v_and_b32_e32 v9, 0x7f800000, v8
	v_cmp_ne_u32_e32 vcc, s0, v9
                                        ; implicit-def: $vgpr9
	s_and_saveexec_b64 s[0:1], vcc
	s_xor_b64 s[0:1], exec, s[0:1]
; %bb.2:
	v_bfe_u32 v9, v8, 16, 1
	s_movk_i32 s4, 0x7fff
	v_add3_u32 v9, v8, v9, s4
                                        ; implicit-def: $vgpr8
; %bb.3:
	s_andn2_saveexec_b64 s[0:1], s[0:1]
; %bb.4:
	v_mov_b32_e32 v9, 0
	v_or_b32_e32 v10, 0x10000, v8
	v_cmp_eq_u32_sdwa vcc, v8, v9 src0_sel:WORD_0 src1_sel:DWORD
	v_cndmask_b32_e32 v9, v10, v8, vcc
; %bb.5:
	s_or_b64 exec, exec, s[0:1]
	v_and_b32_e32 v8, 0xffff0000, v9
	v_lshrrev_b32_e32 v9, 16, v9
	v_cmp_eq_u32_e32 vcc, 0, v5
	v_cndmask_b32_e32 v10, v8, v7, vcc
	v_cndmask_b32_e32 v8, v9, v6, vcc
	s_mov_b32 s0, 0x7f800000
	s_nop 0
	v_mov_b32_dpp v9, v8 row_shr:2 row_mask:0xf bank_mask:0xf
	v_lshlrev_b32_e32 v9, 16, v9
	v_add_f32_e32 v9, v10, v9
	v_and_b32_e32 v10, 0x7f800000, v9
	v_cmp_ne_u32_e32 vcc, s0, v10
                                        ; implicit-def: $vgpr10
	s_and_saveexec_b64 s[0:1], vcc
	s_xor_b64 s[0:1], exec, s[0:1]
; %bb.6:
	v_bfe_u32 v10, v9, 16, 1
	s_movk_i32 s4, 0x7fff
	v_add3_u32 v10, v9, v10, s4
                                        ; implicit-def: $vgpr9
; %bb.7:
	s_andn2_saveexec_b64 s[0:1], s[0:1]
; %bb.8:
	v_mov_b32_e32 v10, 0
	v_or_b32_e32 v11, 0x10000, v9
	v_cmp_eq_u32_sdwa vcc, v9, v10 src0_sel:WORD_0 src1_sel:DWORD
	v_cndmask_b32_e32 v10, v11, v9, vcc
; %bb.9:
	s_or_b64 exec, exec, s[0:1]
	v_cmp_lt_u32_e32 vcc, 1, v5
	v_cndmask_b32_sdwa v9, v8, v10, vcc dst_sel:DWORD dst_unused:UNUSED_PAD src0_sel:DWORD src1_sel:WORD_1
	v_lshl_or_b32 v8, v4, 2, 12
	v_and_b32_e32 v10, 0xffff, v9
	ds_bpermute_b32 v8, v8, v10
	s_branch .LBB81_20
.LBB81_10:
                                        ; implicit-def: $vgpr9
                                        ; implicit-def: $vgpr8
	s_cbranch_execz .LBB81_20
; %bb.11:
	s_waitcnt lgkmcnt(0)
	v_mov_b32_dpp v8, v6 row_shr:1 row_mask:0xf bank_mask:0xf
	v_lshlrev_b32_e32 v8, 16, v8
	v_add_f32_e32 v8, v7, v8
	s_mov_b32 s0, 0x7f800000
	v_and_b32_e32 v9, 0x7f800000, v8
	v_cmp_ne_u32_e32 vcc, s0, v9
                                        ; implicit-def: $vgpr9
	s_and_saveexec_b64 s[0:1], vcc
	s_xor_b64 s[0:1], exec, s[0:1]
; %bb.12:
	v_bfe_u32 v9, v8, 16, 1
	s_movk_i32 s4, 0x7fff
	v_add3_u32 v9, v8, v9, s4
                                        ; implicit-def: $vgpr8
; %bb.13:
	s_andn2_saveexec_b64 s[0:1], s[0:1]
; %bb.14:
	v_mov_b32_e32 v9, 0
	v_or_b32_e32 v10, 0x10000, v8
	v_cmp_eq_u32_sdwa vcc, v8, v9 src0_sel:WORD_0 src1_sel:DWORD
	v_cndmask_b32_e32 v9, v10, v8, vcc
; %bb.15:
	s_or_b64 exec, exec, s[0:1]
	v_and_b32_e32 v8, 0xffff0000, v9
	v_lshrrev_b32_e32 v9, 16, v9
	v_cmp_eq_u32_e32 vcc, 0, v5
	v_cndmask_b32_e32 v6, v9, v6, vcc
	v_cndmask_b32_e32 v7, v8, v7, vcc
	s_mov_b32 s0, 0x7f800000
	v_mov_b32_dpp v8, v6 row_shr:2 row_mask:0xf bank_mask:0xf
	v_lshlrev_b32_e32 v8, 16, v8
	v_add_f32_e32 v7, v7, v8
	v_and_b32_e32 v8, 0x7f800000, v7
	v_cmp_ne_u32_e32 vcc, s0, v8
                                        ; implicit-def: $vgpr8
	s_and_saveexec_b64 s[0:1], vcc
	s_xor_b64 s[0:1], exec, s[0:1]
; %bb.16:
	v_bfe_u32 v8, v7, 16, 1
	s_movk_i32 s4, 0x7fff
	v_add3_u32 v8, v7, v8, s4
                                        ; implicit-def: $vgpr7
; %bb.17:
	s_andn2_saveexec_b64 s[0:1], s[0:1]
; %bb.18:
	v_mov_b32_e32 v8, 0
	v_or_b32_e32 v9, 0x10000, v7
	v_cmp_eq_u32_sdwa vcc, v7, v8 src0_sel:WORD_0 src1_sel:DWORD
	v_cndmask_b32_e32 v8, v9, v7, vcc
; %bb.19:
	s_or_b64 exec, exec, s[0:1]
	v_cmp_lt_u32_e32 vcc, 1, v5
	v_cndmask_b32_sdwa v9, v6, v8, vcc dst_sel:DWORD dst_unused:UNUSED_PAD src0_sel:DWORD src1_sel:WORD_1
	v_lshl_or_b32 v4, v4, 2, 12
	v_and_b32_e32 v5, 0xffff, v9
	ds_bpermute_b32 v8, v4, v5
.LBB81_20:
	v_mov_b32_e32 v4, s3
	v_add_co_u32_e32 v2, vcc, s2, v2
	v_addc_co_u32_e32 v3, vcc, v4, v3, vcc
	v_and_b32_e32 v0, 3, v0
	v_cmp_eq_u32_e32 vcc, 0, v0
	global_store_short v[2:3], v9, off
	s_and_saveexec_b64 s[0:1], vcc
	s_cbranch_execz .LBB81_22
; %bb.21:
	v_lshrrev_b32_e32 v0, 1, v1
	s_waitcnt lgkmcnt(0)
	global_store_short v0, v8, s[8:9]
.LBB81_22:
	s_endpgm
	.section	.rodata,"a",@progbits
	.p2align	6, 0x0
	.amdhsa_kernel _Z33warp_inclusive_scan_reduce_kernelI12hip_bfloat16Lj32ELj4EENSt9enable_ifIXsr10test_utilsE35device_test_enabled_for_warp_size_vIXT1_EEEvE4typeEPT_S5_S5_
		.amdhsa_group_segment_fixed_size 0
		.amdhsa_private_segment_fixed_size 0
		.amdhsa_kernarg_size 24
		.amdhsa_user_sgpr_count 6
		.amdhsa_user_sgpr_private_segment_buffer 1
		.amdhsa_user_sgpr_dispatch_ptr 0
		.amdhsa_user_sgpr_queue_ptr 0
		.amdhsa_user_sgpr_kernarg_segment_ptr 1
		.amdhsa_user_sgpr_dispatch_id 0
		.amdhsa_user_sgpr_flat_scratch_init 0
		.amdhsa_user_sgpr_private_segment_size 0
		.amdhsa_uses_dynamic_stack 0
		.amdhsa_system_sgpr_private_segment_wavefront_offset 0
		.amdhsa_system_sgpr_workgroup_id_x 1
		.amdhsa_system_sgpr_workgroup_id_y 0
		.amdhsa_system_sgpr_workgroup_id_z 0
		.amdhsa_system_sgpr_workgroup_info 0
		.amdhsa_system_vgpr_workitem_id 0
		.amdhsa_next_free_vgpr 12
		.amdhsa_next_free_sgpr 10
		.amdhsa_reserve_vcc 1
		.amdhsa_reserve_flat_scratch 0
		.amdhsa_float_round_mode_32 0
		.amdhsa_float_round_mode_16_64 0
		.amdhsa_float_denorm_mode_32 3
		.amdhsa_float_denorm_mode_16_64 3
		.amdhsa_dx10_clamp 1
		.amdhsa_ieee_mode 1
		.amdhsa_fp16_overflow 0
		.amdhsa_exception_fp_ieee_invalid_op 0
		.amdhsa_exception_fp_denorm_src 0
		.amdhsa_exception_fp_ieee_div_zero 0
		.amdhsa_exception_fp_ieee_overflow 0
		.amdhsa_exception_fp_ieee_underflow 0
		.amdhsa_exception_fp_ieee_inexact 0
		.amdhsa_exception_int_div_zero 0
	.end_amdhsa_kernel
	.section	.text._Z33warp_inclusive_scan_reduce_kernelI12hip_bfloat16Lj32ELj4EENSt9enable_ifIXsr10test_utilsE35device_test_enabled_for_warp_size_vIXT1_EEEvE4typeEPT_S5_S5_,"axG",@progbits,_Z33warp_inclusive_scan_reduce_kernelI12hip_bfloat16Lj32ELj4EENSt9enable_ifIXsr10test_utilsE35device_test_enabled_for_warp_size_vIXT1_EEEvE4typeEPT_S5_S5_,comdat
.Lfunc_end81:
	.size	_Z33warp_inclusive_scan_reduce_kernelI12hip_bfloat16Lj32ELj4EENSt9enable_ifIXsr10test_utilsE35device_test_enabled_for_warp_size_vIXT1_EEEvE4typeEPT_S5_S5_, .Lfunc_end81-_Z33warp_inclusive_scan_reduce_kernelI12hip_bfloat16Lj32ELj4EENSt9enable_ifIXsr10test_utilsE35device_test_enabled_for_warp_size_vIXT1_EEEvE4typeEPT_S5_S5_
                                        ; -- End function
	.set _Z33warp_inclusive_scan_reduce_kernelI12hip_bfloat16Lj32ELj4EENSt9enable_ifIXsr10test_utilsE35device_test_enabled_for_warp_size_vIXT1_EEEvE4typeEPT_S5_S5_.num_vgpr, 12
	.set _Z33warp_inclusive_scan_reduce_kernelI12hip_bfloat16Lj32ELj4EENSt9enable_ifIXsr10test_utilsE35device_test_enabled_for_warp_size_vIXT1_EEEvE4typeEPT_S5_S5_.num_agpr, 0
	.set _Z33warp_inclusive_scan_reduce_kernelI12hip_bfloat16Lj32ELj4EENSt9enable_ifIXsr10test_utilsE35device_test_enabled_for_warp_size_vIXT1_EEEvE4typeEPT_S5_S5_.numbered_sgpr, 10
	.set _Z33warp_inclusive_scan_reduce_kernelI12hip_bfloat16Lj32ELj4EENSt9enable_ifIXsr10test_utilsE35device_test_enabled_for_warp_size_vIXT1_EEEvE4typeEPT_S5_S5_.num_named_barrier, 0
	.set _Z33warp_inclusive_scan_reduce_kernelI12hip_bfloat16Lj32ELj4EENSt9enable_ifIXsr10test_utilsE35device_test_enabled_for_warp_size_vIXT1_EEEvE4typeEPT_S5_S5_.private_seg_size, 0
	.set _Z33warp_inclusive_scan_reduce_kernelI12hip_bfloat16Lj32ELj4EENSt9enable_ifIXsr10test_utilsE35device_test_enabled_for_warp_size_vIXT1_EEEvE4typeEPT_S5_S5_.uses_vcc, 1
	.set _Z33warp_inclusive_scan_reduce_kernelI12hip_bfloat16Lj32ELj4EENSt9enable_ifIXsr10test_utilsE35device_test_enabled_for_warp_size_vIXT1_EEEvE4typeEPT_S5_S5_.uses_flat_scratch, 0
	.set _Z33warp_inclusive_scan_reduce_kernelI12hip_bfloat16Lj32ELj4EENSt9enable_ifIXsr10test_utilsE35device_test_enabled_for_warp_size_vIXT1_EEEvE4typeEPT_S5_S5_.has_dyn_sized_stack, 0
	.set _Z33warp_inclusive_scan_reduce_kernelI12hip_bfloat16Lj32ELj4EENSt9enable_ifIXsr10test_utilsE35device_test_enabled_for_warp_size_vIXT1_EEEvE4typeEPT_S5_S5_.has_recursion, 0
	.set _Z33warp_inclusive_scan_reduce_kernelI12hip_bfloat16Lj32ELj4EENSt9enable_ifIXsr10test_utilsE35device_test_enabled_for_warp_size_vIXT1_EEEvE4typeEPT_S5_S5_.has_indirect_call, 0
	.section	.AMDGPU.csdata,"",@progbits
; Kernel info:
; codeLenInByte = 680
; TotalNumSgprs: 14
; NumVgprs: 12
; ScratchSize: 0
; MemoryBound: 0
; FloatMode: 240
; IeeeMode: 1
; LDSByteSize: 0 bytes/workgroup (compile time only)
; SGPRBlocks: 1
; VGPRBlocks: 2
; NumSGPRsForWavesPerEU: 14
; NumVGPRsForWavesPerEU: 12
; Occupancy: 10
; WaveLimiterHint : 0
; COMPUTE_PGM_RSRC2:SCRATCH_EN: 0
; COMPUTE_PGM_RSRC2:USER_SGPR: 6
; COMPUTE_PGM_RSRC2:TRAP_HANDLER: 0
; COMPUTE_PGM_RSRC2:TGID_X_EN: 1
; COMPUTE_PGM_RSRC2:TGID_Y_EN: 0
; COMPUTE_PGM_RSRC2:TGID_Z_EN: 0
; COMPUTE_PGM_RSRC2:TIDIG_COMP_CNT: 0
	.section	.text._Z33warp_inclusive_scan_reduce_kernelI12hip_bfloat16Lj64ELj4EENSt9enable_ifIXsr10test_utilsE35device_test_enabled_for_warp_size_vIXT1_EEEvE4typeEPT_S5_S5_,"axG",@progbits,_Z33warp_inclusive_scan_reduce_kernelI12hip_bfloat16Lj64ELj4EENSt9enable_ifIXsr10test_utilsE35device_test_enabled_for_warp_size_vIXT1_EEEvE4typeEPT_S5_S5_,comdat
	.protected	_Z33warp_inclusive_scan_reduce_kernelI12hip_bfloat16Lj64ELj4EENSt9enable_ifIXsr10test_utilsE35device_test_enabled_for_warp_size_vIXT1_EEEvE4typeEPT_S5_S5_ ; -- Begin function _Z33warp_inclusive_scan_reduce_kernelI12hip_bfloat16Lj64ELj4EENSt9enable_ifIXsr10test_utilsE35device_test_enabled_for_warp_size_vIXT1_EEEvE4typeEPT_S5_S5_
	.globl	_Z33warp_inclusive_scan_reduce_kernelI12hip_bfloat16Lj64ELj4EENSt9enable_ifIXsr10test_utilsE35device_test_enabled_for_warp_size_vIXT1_EEEvE4typeEPT_S5_S5_
	.p2align	8
	.type	_Z33warp_inclusive_scan_reduce_kernelI12hip_bfloat16Lj64ELj4EENSt9enable_ifIXsr10test_utilsE35device_test_enabled_for_warp_size_vIXT1_EEEvE4typeEPT_S5_S5_,@function
_Z33warp_inclusive_scan_reduce_kernelI12hip_bfloat16Lj64ELj4EENSt9enable_ifIXsr10test_utilsE35device_test_enabled_for_warp_size_vIXT1_EEEvE4typeEPT_S5_S5_: ; @_Z33warp_inclusive_scan_reduce_kernelI12hip_bfloat16Lj64ELj4EENSt9enable_ifIXsr10test_utilsE35device_test_enabled_for_warp_size_vIXT1_EEEvE4typeEPT_S5_S5_
; %bb.0:
	s_load_dwordx4 s[0:3], s[4:5], 0x0
	s_load_dwordx2 s[8:9], s[4:5], 0x10
	v_lshl_or_b32 v1, s6, 6, v0
	v_mov_b32_e32 v2, 0
	v_lshlrev_b64 v[2:3], 1, v[1:2]
	s_waitcnt lgkmcnt(0)
	v_mov_b32_e32 v5, s1
	v_add_co_u32_e32 v4, vcc, s0, v2
	v_addc_co_u32_e32 v5, vcc, v5, v3, vcc
	global_load_ushort v6, v[4:5], off
	v_mbcnt_lo_u32_b32 v4, -1, 0
	s_bitcmp1_b32 s6, 0
	v_mbcnt_hi_u32_b32 v4, -1, v4
	s_cselect_b64 s[0:1], -1, 0
	v_and_b32_e32 v5, 3, v4
	s_and_b64 vcc, exec, s[0:1]
	s_waitcnt vmcnt(0)
	v_lshlrev_b32_e32 v7, 16, v6
	s_cbranch_vccz .LBB82_10
; %bb.1:
	v_mov_b32_dpp v8, v6 row_shr:1 row_mask:0xf bank_mask:0xf
	v_lshlrev_b32_e32 v8, 16, v8
	v_add_f32_e32 v8, v7, v8
	s_mov_b32 s0, 0x7f800000
	v_and_b32_e32 v9, 0x7f800000, v8
	v_cmp_ne_u32_e32 vcc, s0, v9
                                        ; implicit-def: $vgpr9
	s_and_saveexec_b64 s[0:1], vcc
	s_xor_b64 s[0:1], exec, s[0:1]
; %bb.2:
	v_bfe_u32 v9, v8, 16, 1
	s_movk_i32 s4, 0x7fff
	v_add3_u32 v9, v8, v9, s4
                                        ; implicit-def: $vgpr8
; %bb.3:
	s_andn2_saveexec_b64 s[0:1], s[0:1]
; %bb.4:
	v_mov_b32_e32 v9, 0
	v_or_b32_e32 v10, 0x10000, v8
	v_cmp_eq_u32_sdwa vcc, v8, v9 src0_sel:WORD_0 src1_sel:DWORD
	v_cndmask_b32_e32 v9, v10, v8, vcc
; %bb.5:
	s_or_b64 exec, exec, s[0:1]
	v_and_b32_e32 v8, 0xffff0000, v9
	v_lshrrev_b32_e32 v9, 16, v9
	v_cmp_eq_u32_e32 vcc, 0, v5
	v_cndmask_b32_e32 v10, v8, v7, vcc
	v_cndmask_b32_e32 v8, v9, v6, vcc
	s_mov_b32 s0, 0x7f800000
	s_nop 0
	v_mov_b32_dpp v9, v8 row_shr:2 row_mask:0xf bank_mask:0xf
	v_lshlrev_b32_e32 v9, 16, v9
	v_add_f32_e32 v9, v10, v9
	v_and_b32_e32 v10, 0x7f800000, v9
	v_cmp_ne_u32_e32 vcc, s0, v10
                                        ; implicit-def: $vgpr10
	s_and_saveexec_b64 s[0:1], vcc
	s_xor_b64 s[0:1], exec, s[0:1]
; %bb.6:
	v_bfe_u32 v10, v9, 16, 1
	s_movk_i32 s4, 0x7fff
	v_add3_u32 v10, v9, v10, s4
                                        ; implicit-def: $vgpr9
; %bb.7:
	s_andn2_saveexec_b64 s[0:1], s[0:1]
; %bb.8:
	v_mov_b32_e32 v10, 0
	v_or_b32_e32 v11, 0x10000, v9
	v_cmp_eq_u32_sdwa vcc, v9, v10 src0_sel:WORD_0 src1_sel:DWORD
	v_cndmask_b32_e32 v10, v11, v9, vcc
; %bb.9:
	s_or_b64 exec, exec, s[0:1]
	v_cmp_lt_u32_e32 vcc, 1, v5
	v_cndmask_b32_sdwa v9, v8, v10, vcc dst_sel:DWORD dst_unused:UNUSED_PAD src0_sel:DWORD src1_sel:WORD_1
	v_lshl_or_b32 v8, v4, 2, 12
	v_and_b32_e32 v10, 0xffff, v9
	ds_bpermute_b32 v8, v8, v10
	s_branch .LBB82_20
.LBB82_10:
                                        ; implicit-def: $vgpr9
                                        ; implicit-def: $vgpr8
	s_cbranch_execz .LBB82_20
; %bb.11:
	s_waitcnt lgkmcnt(0)
	v_mov_b32_dpp v8, v6 row_shr:1 row_mask:0xf bank_mask:0xf
	v_lshlrev_b32_e32 v8, 16, v8
	v_add_f32_e32 v8, v7, v8
	s_mov_b32 s0, 0x7f800000
	v_and_b32_e32 v9, 0x7f800000, v8
	v_cmp_ne_u32_e32 vcc, s0, v9
                                        ; implicit-def: $vgpr9
	s_and_saveexec_b64 s[0:1], vcc
	s_xor_b64 s[0:1], exec, s[0:1]
; %bb.12:
	v_bfe_u32 v9, v8, 16, 1
	s_movk_i32 s4, 0x7fff
	v_add3_u32 v9, v8, v9, s4
                                        ; implicit-def: $vgpr8
; %bb.13:
	s_andn2_saveexec_b64 s[0:1], s[0:1]
; %bb.14:
	v_mov_b32_e32 v9, 0
	v_or_b32_e32 v10, 0x10000, v8
	v_cmp_eq_u32_sdwa vcc, v8, v9 src0_sel:WORD_0 src1_sel:DWORD
	v_cndmask_b32_e32 v9, v10, v8, vcc
; %bb.15:
	s_or_b64 exec, exec, s[0:1]
	v_and_b32_e32 v8, 0xffff0000, v9
	v_lshrrev_b32_e32 v9, 16, v9
	v_cmp_eq_u32_e32 vcc, 0, v5
	v_cndmask_b32_e32 v6, v9, v6, vcc
	v_cndmask_b32_e32 v7, v8, v7, vcc
	s_mov_b32 s0, 0x7f800000
	v_mov_b32_dpp v8, v6 row_shr:2 row_mask:0xf bank_mask:0xf
	v_lshlrev_b32_e32 v8, 16, v8
	v_add_f32_e32 v7, v7, v8
	v_and_b32_e32 v8, 0x7f800000, v7
	v_cmp_ne_u32_e32 vcc, s0, v8
                                        ; implicit-def: $vgpr8
	s_and_saveexec_b64 s[0:1], vcc
	s_xor_b64 s[0:1], exec, s[0:1]
; %bb.16:
	v_bfe_u32 v8, v7, 16, 1
	s_movk_i32 s4, 0x7fff
	v_add3_u32 v8, v7, v8, s4
                                        ; implicit-def: $vgpr7
; %bb.17:
	s_andn2_saveexec_b64 s[0:1], s[0:1]
; %bb.18:
	v_mov_b32_e32 v8, 0
	v_or_b32_e32 v9, 0x10000, v7
	v_cmp_eq_u32_sdwa vcc, v7, v8 src0_sel:WORD_0 src1_sel:DWORD
	v_cndmask_b32_e32 v8, v9, v7, vcc
; %bb.19:
	s_or_b64 exec, exec, s[0:1]
	v_cmp_lt_u32_e32 vcc, 1, v5
	v_cndmask_b32_sdwa v9, v6, v8, vcc dst_sel:DWORD dst_unused:UNUSED_PAD src0_sel:DWORD src1_sel:WORD_1
	v_lshl_or_b32 v4, v4, 2, 12
	v_and_b32_e32 v5, 0xffff, v9
	ds_bpermute_b32 v8, v4, v5
.LBB82_20:
	v_mov_b32_e32 v4, s3
	v_add_co_u32_e32 v2, vcc, s2, v2
	v_addc_co_u32_e32 v3, vcc, v4, v3, vcc
	v_and_b32_e32 v0, 3, v0
	v_cmp_eq_u32_e32 vcc, 0, v0
	global_store_short v[2:3], v9, off
	s_and_saveexec_b64 s[0:1], vcc
	s_cbranch_execz .LBB82_22
; %bb.21:
	v_lshrrev_b32_e32 v0, 1, v1
	s_waitcnt lgkmcnt(0)
	global_store_short v0, v8, s[8:9]
.LBB82_22:
	s_endpgm
	.section	.rodata,"a",@progbits
	.p2align	6, 0x0
	.amdhsa_kernel _Z33warp_inclusive_scan_reduce_kernelI12hip_bfloat16Lj64ELj4EENSt9enable_ifIXsr10test_utilsE35device_test_enabled_for_warp_size_vIXT1_EEEvE4typeEPT_S5_S5_
		.amdhsa_group_segment_fixed_size 0
		.amdhsa_private_segment_fixed_size 0
		.amdhsa_kernarg_size 24
		.amdhsa_user_sgpr_count 6
		.amdhsa_user_sgpr_private_segment_buffer 1
		.amdhsa_user_sgpr_dispatch_ptr 0
		.amdhsa_user_sgpr_queue_ptr 0
		.amdhsa_user_sgpr_kernarg_segment_ptr 1
		.amdhsa_user_sgpr_dispatch_id 0
		.amdhsa_user_sgpr_flat_scratch_init 0
		.amdhsa_user_sgpr_private_segment_size 0
		.amdhsa_uses_dynamic_stack 0
		.amdhsa_system_sgpr_private_segment_wavefront_offset 0
		.amdhsa_system_sgpr_workgroup_id_x 1
		.amdhsa_system_sgpr_workgroup_id_y 0
		.amdhsa_system_sgpr_workgroup_id_z 0
		.amdhsa_system_sgpr_workgroup_info 0
		.amdhsa_system_vgpr_workitem_id 0
		.amdhsa_next_free_vgpr 12
		.amdhsa_next_free_sgpr 10
		.amdhsa_reserve_vcc 1
		.amdhsa_reserve_flat_scratch 0
		.amdhsa_float_round_mode_32 0
		.amdhsa_float_round_mode_16_64 0
		.amdhsa_float_denorm_mode_32 3
		.amdhsa_float_denorm_mode_16_64 3
		.amdhsa_dx10_clamp 1
		.amdhsa_ieee_mode 1
		.amdhsa_fp16_overflow 0
		.amdhsa_exception_fp_ieee_invalid_op 0
		.amdhsa_exception_fp_denorm_src 0
		.amdhsa_exception_fp_ieee_div_zero 0
		.amdhsa_exception_fp_ieee_overflow 0
		.amdhsa_exception_fp_ieee_underflow 0
		.amdhsa_exception_fp_ieee_inexact 0
		.amdhsa_exception_int_div_zero 0
	.end_amdhsa_kernel
	.section	.text._Z33warp_inclusive_scan_reduce_kernelI12hip_bfloat16Lj64ELj4EENSt9enable_ifIXsr10test_utilsE35device_test_enabled_for_warp_size_vIXT1_EEEvE4typeEPT_S5_S5_,"axG",@progbits,_Z33warp_inclusive_scan_reduce_kernelI12hip_bfloat16Lj64ELj4EENSt9enable_ifIXsr10test_utilsE35device_test_enabled_for_warp_size_vIXT1_EEEvE4typeEPT_S5_S5_,comdat
.Lfunc_end82:
	.size	_Z33warp_inclusive_scan_reduce_kernelI12hip_bfloat16Lj64ELj4EENSt9enable_ifIXsr10test_utilsE35device_test_enabled_for_warp_size_vIXT1_EEEvE4typeEPT_S5_S5_, .Lfunc_end82-_Z33warp_inclusive_scan_reduce_kernelI12hip_bfloat16Lj64ELj4EENSt9enable_ifIXsr10test_utilsE35device_test_enabled_for_warp_size_vIXT1_EEEvE4typeEPT_S5_S5_
                                        ; -- End function
	.set _Z33warp_inclusive_scan_reduce_kernelI12hip_bfloat16Lj64ELj4EENSt9enable_ifIXsr10test_utilsE35device_test_enabled_for_warp_size_vIXT1_EEEvE4typeEPT_S5_S5_.num_vgpr, 12
	.set _Z33warp_inclusive_scan_reduce_kernelI12hip_bfloat16Lj64ELj4EENSt9enable_ifIXsr10test_utilsE35device_test_enabled_for_warp_size_vIXT1_EEEvE4typeEPT_S5_S5_.num_agpr, 0
	.set _Z33warp_inclusive_scan_reduce_kernelI12hip_bfloat16Lj64ELj4EENSt9enable_ifIXsr10test_utilsE35device_test_enabled_for_warp_size_vIXT1_EEEvE4typeEPT_S5_S5_.numbered_sgpr, 10
	.set _Z33warp_inclusive_scan_reduce_kernelI12hip_bfloat16Lj64ELj4EENSt9enable_ifIXsr10test_utilsE35device_test_enabled_for_warp_size_vIXT1_EEEvE4typeEPT_S5_S5_.num_named_barrier, 0
	.set _Z33warp_inclusive_scan_reduce_kernelI12hip_bfloat16Lj64ELj4EENSt9enable_ifIXsr10test_utilsE35device_test_enabled_for_warp_size_vIXT1_EEEvE4typeEPT_S5_S5_.private_seg_size, 0
	.set _Z33warp_inclusive_scan_reduce_kernelI12hip_bfloat16Lj64ELj4EENSt9enable_ifIXsr10test_utilsE35device_test_enabled_for_warp_size_vIXT1_EEEvE4typeEPT_S5_S5_.uses_vcc, 1
	.set _Z33warp_inclusive_scan_reduce_kernelI12hip_bfloat16Lj64ELj4EENSt9enable_ifIXsr10test_utilsE35device_test_enabled_for_warp_size_vIXT1_EEEvE4typeEPT_S5_S5_.uses_flat_scratch, 0
	.set _Z33warp_inclusive_scan_reduce_kernelI12hip_bfloat16Lj64ELj4EENSt9enable_ifIXsr10test_utilsE35device_test_enabled_for_warp_size_vIXT1_EEEvE4typeEPT_S5_S5_.has_dyn_sized_stack, 0
	.set _Z33warp_inclusive_scan_reduce_kernelI12hip_bfloat16Lj64ELj4EENSt9enable_ifIXsr10test_utilsE35device_test_enabled_for_warp_size_vIXT1_EEEvE4typeEPT_S5_S5_.has_recursion, 0
	.set _Z33warp_inclusive_scan_reduce_kernelI12hip_bfloat16Lj64ELj4EENSt9enable_ifIXsr10test_utilsE35device_test_enabled_for_warp_size_vIXT1_EEEvE4typeEPT_S5_S5_.has_indirect_call, 0
	.section	.AMDGPU.csdata,"",@progbits
; Kernel info:
; codeLenInByte = 680
; TotalNumSgprs: 14
; NumVgprs: 12
; ScratchSize: 0
; MemoryBound: 0
; FloatMode: 240
; IeeeMode: 1
; LDSByteSize: 0 bytes/workgroup (compile time only)
; SGPRBlocks: 1
; VGPRBlocks: 2
; NumSGPRsForWavesPerEU: 14
; NumVGPRsForWavesPerEU: 12
; Occupancy: 10
; WaveLimiterHint : 0
; COMPUTE_PGM_RSRC2:SCRATCH_EN: 0
; COMPUTE_PGM_RSRC2:USER_SGPR: 6
; COMPUTE_PGM_RSRC2:TRAP_HANDLER: 0
; COMPUTE_PGM_RSRC2:TGID_X_EN: 1
; COMPUTE_PGM_RSRC2:TGID_Y_EN: 0
; COMPUTE_PGM_RSRC2:TGID_Z_EN: 0
; COMPUTE_PGM_RSRC2:TIDIG_COMP_CNT: 0
	.section	.text._Z33warp_inclusive_scan_reduce_kernelI12hip_bfloat16Lj32ELj2EENSt9enable_ifIXsr10test_utilsE35device_test_enabled_for_warp_size_vIXT1_EEEvE4typeEPT_S5_S5_,"axG",@progbits,_Z33warp_inclusive_scan_reduce_kernelI12hip_bfloat16Lj32ELj2EENSt9enable_ifIXsr10test_utilsE35device_test_enabled_for_warp_size_vIXT1_EEEvE4typeEPT_S5_S5_,comdat
	.protected	_Z33warp_inclusive_scan_reduce_kernelI12hip_bfloat16Lj32ELj2EENSt9enable_ifIXsr10test_utilsE35device_test_enabled_for_warp_size_vIXT1_EEEvE4typeEPT_S5_S5_ ; -- Begin function _Z33warp_inclusive_scan_reduce_kernelI12hip_bfloat16Lj32ELj2EENSt9enable_ifIXsr10test_utilsE35device_test_enabled_for_warp_size_vIXT1_EEEvE4typeEPT_S5_S5_
	.globl	_Z33warp_inclusive_scan_reduce_kernelI12hip_bfloat16Lj32ELj2EENSt9enable_ifIXsr10test_utilsE35device_test_enabled_for_warp_size_vIXT1_EEEvE4typeEPT_S5_S5_
	.p2align	8
	.type	_Z33warp_inclusive_scan_reduce_kernelI12hip_bfloat16Lj32ELj2EENSt9enable_ifIXsr10test_utilsE35device_test_enabled_for_warp_size_vIXT1_EEEvE4typeEPT_S5_S5_,@function
_Z33warp_inclusive_scan_reduce_kernelI12hip_bfloat16Lj32ELj2EENSt9enable_ifIXsr10test_utilsE35device_test_enabled_for_warp_size_vIXT1_EEEvE4typeEPT_S5_S5_: ; @_Z33warp_inclusive_scan_reduce_kernelI12hip_bfloat16Lj32ELj2EENSt9enable_ifIXsr10test_utilsE35device_test_enabled_for_warp_size_vIXT1_EEEvE4typeEPT_S5_S5_
; %bb.0:
	s_load_dwordx4 s[0:3], s[4:5], 0x0
	s_load_dwordx2 s[8:9], s[4:5], 0x10
	v_lshl_or_b32 v1, s6, 5, v0
	v_mov_b32_e32 v2, 0
	v_lshlrev_b64 v[2:3], 1, v[1:2]
	s_waitcnt lgkmcnt(0)
	v_mov_b32_e32 v5, s1
	v_add_co_u32_e32 v4, vcc, s0, v2
	v_addc_co_u32_e32 v5, vcc, v5, v3, vcc
	global_load_ushort v4, v[4:5], off
	v_mbcnt_lo_u32_b32 v5, -1, 0
	s_bitcmp1_b32 s6, 0
	v_mbcnt_hi_u32_b32 v5, -1, v5
	s_cselect_b64 s[0:1], -1, 0
	v_and_b32_e32 v6, 1, v5
	s_and_b64 vcc, exec, s[0:1]
	s_waitcnt vmcnt(0)
	v_lshlrev_b32_e32 v7, 16, v4
	s_cbranch_vccz .LBB83_6
; %bb.1:
	v_mov_b32_dpp v8, v4 row_shr:1 row_mask:0xf bank_mask:0xf
	v_lshlrev_b32_e32 v8, 16, v8
	v_add_f32_e32 v8, v7, v8
	s_mov_b32 s0, 0x7f800000
	v_and_b32_e32 v9, 0x7f800000, v8
	v_cmp_ne_u32_e32 vcc, s0, v9
                                        ; implicit-def: $vgpr9
	s_and_saveexec_b64 s[0:1], vcc
	s_xor_b64 s[0:1], exec, s[0:1]
; %bb.2:
	v_bfe_u32 v9, v8, 16, 1
	s_movk_i32 s4, 0x7fff
	v_add3_u32 v9, v8, v9, s4
                                        ; implicit-def: $vgpr8
; %bb.3:
	s_andn2_saveexec_b64 s[0:1], s[0:1]
; %bb.4:
	v_mov_b32_e32 v9, 0
	v_or_b32_e32 v10, 0x10000, v8
	v_cmp_eq_u32_sdwa vcc, v8, v9 src0_sel:WORD_0 src1_sel:DWORD
	v_cndmask_b32_e32 v9, v10, v8, vcc
; %bb.5:
	s_or_b64 exec, exec, s[0:1]
	v_lshrrev_b32_e32 v8, 16, v9
	v_cmp_eq_u32_e32 vcc, 0, v6
	v_cndmask_b32_e32 v9, v8, v4, vcc
	v_cndmask_b32_e32 v8, v8, v4, vcc
	v_lshl_or_b32 v10, v5, 2, 4
	ds_bpermute_b32 v8, v10, v8
	s_branch .LBB83_12
.LBB83_6:
                                        ; implicit-def: $vgpr9
                                        ; implicit-def: $vgpr8
	s_cbranch_execz .LBB83_12
; %bb.7:
	s_waitcnt lgkmcnt(0)
	v_mov_b32_dpp v8, v4 row_shr:1 row_mask:0xf bank_mask:0xf
	v_lshlrev_b32_e32 v8, 16, v8
	v_add_f32_e32 v7, v7, v8
	s_mov_b32 s0, 0x7f800000
	v_and_b32_e32 v8, 0x7f800000, v7
	v_cmp_ne_u32_e32 vcc, s0, v8
                                        ; implicit-def: $vgpr8
	s_and_saveexec_b64 s[0:1], vcc
	s_xor_b64 s[0:1], exec, s[0:1]
; %bb.8:
	v_bfe_u32 v8, v7, 16, 1
	s_movk_i32 s4, 0x7fff
	v_add3_u32 v8, v7, v8, s4
                                        ; implicit-def: $vgpr7
; %bb.9:
	s_andn2_saveexec_b64 s[0:1], s[0:1]
; %bb.10:
	v_mov_b32_e32 v8, 0
	v_or_b32_e32 v9, 0x10000, v7
	v_cmp_eq_u32_sdwa vcc, v7, v8 src0_sel:WORD_0 src1_sel:DWORD
	v_cndmask_b32_e32 v8, v9, v7, vcc
; %bb.11:
	s_or_b64 exec, exec, s[0:1]
	v_lshrrev_b32_e32 v7, 16, v8
	v_cmp_eq_u32_e32 vcc, 0, v6
	v_cndmask_b32_e32 v9, v7, v4, vcc
	v_cndmask_b32_e32 v4, v7, v4, vcc
	v_lshl_or_b32 v5, v5, 2, 4
	ds_bpermute_b32 v8, v5, v4
.LBB83_12:
	v_mov_b32_e32 v4, s3
	v_add_co_u32_e32 v2, vcc, s2, v2
	v_addc_co_u32_e32 v3, vcc, v4, v3, vcc
	v_and_b32_e32 v0, 1, v0
	v_cmp_eq_u32_e32 vcc, 0, v0
	global_store_short v[2:3], v9, off
	s_and_saveexec_b64 s[0:1], vcc
	s_cbranch_execz .LBB83_14
; %bb.13:
	v_mov_b32_e32 v2, s9
	v_add_co_u32_e32 v0, vcc, s8, v1
	v_addc_co_u32_e32 v1, vcc, 0, v2, vcc
	s_waitcnt lgkmcnt(0)
	global_store_short v[0:1], v8, off
.LBB83_14:
	s_endpgm
	.section	.rodata,"a",@progbits
	.p2align	6, 0x0
	.amdhsa_kernel _Z33warp_inclusive_scan_reduce_kernelI12hip_bfloat16Lj32ELj2EENSt9enable_ifIXsr10test_utilsE35device_test_enabled_for_warp_size_vIXT1_EEEvE4typeEPT_S5_S5_
		.amdhsa_group_segment_fixed_size 0
		.amdhsa_private_segment_fixed_size 0
		.amdhsa_kernarg_size 24
		.amdhsa_user_sgpr_count 6
		.amdhsa_user_sgpr_private_segment_buffer 1
		.amdhsa_user_sgpr_dispatch_ptr 0
		.amdhsa_user_sgpr_queue_ptr 0
		.amdhsa_user_sgpr_kernarg_segment_ptr 1
		.amdhsa_user_sgpr_dispatch_id 0
		.amdhsa_user_sgpr_flat_scratch_init 0
		.amdhsa_user_sgpr_private_segment_size 0
		.amdhsa_uses_dynamic_stack 0
		.amdhsa_system_sgpr_private_segment_wavefront_offset 0
		.amdhsa_system_sgpr_workgroup_id_x 1
		.amdhsa_system_sgpr_workgroup_id_y 0
		.amdhsa_system_sgpr_workgroup_id_z 0
		.amdhsa_system_sgpr_workgroup_info 0
		.amdhsa_system_vgpr_workitem_id 0
		.amdhsa_next_free_vgpr 11
		.amdhsa_next_free_sgpr 10
		.amdhsa_reserve_vcc 1
		.amdhsa_reserve_flat_scratch 0
		.amdhsa_float_round_mode_32 0
		.amdhsa_float_round_mode_16_64 0
		.amdhsa_float_denorm_mode_32 3
		.amdhsa_float_denorm_mode_16_64 3
		.amdhsa_dx10_clamp 1
		.amdhsa_ieee_mode 1
		.amdhsa_fp16_overflow 0
		.amdhsa_exception_fp_ieee_invalid_op 0
		.amdhsa_exception_fp_denorm_src 0
		.amdhsa_exception_fp_ieee_div_zero 0
		.amdhsa_exception_fp_ieee_overflow 0
		.amdhsa_exception_fp_ieee_underflow 0
		.amdhsa_exception_fp_ieee_inexact 0
		.amdhsa_exception_int_div_zero 0
	.end_amdhsa_kernel
	.section	.text._Z33warp_inclusive_scan_reduce_kernelI12hip_bfloat16Lj32ELj2EENSt9enable_ifIXsr10test_utilsE35device_test_enabled_for_warp_size_vIXT1_EEEvE4typeEPT_S5_S5_,"axG",@progbits,_Z33warp_inclusive_scan_reduce_kernelI12hip_bfloat16Lj32ELj2EENSt9enable_ifIXsr10test_utilsE35device_test_enabled_for_warp_size_vIXT1_EEEvE4typeEPT_S5_S5_,comdat
.Lfunc_end83:
	.size	_Z33warp_inclusive_scan_reduce_kernelI12hip_bfloat16Lj32ELj2EENSt9enable_ifIXsr10test_utilsE35device_test_enabled_for_warp_size_vIXT1_EEEvE4typeEPT_S5_S5_, .Lfunc_end83-_Z33warp_inclusive_scan_reduce_kernelI12hip_bfloat16Lj32ELj2EENSt9enable_ifIXsr10test_utilsE35device_test_enabled_for_warp_size_vIXT1_EEEvE4typeEPT_S5_S5_
                                        ; -- End function
	.set _Z33warp_inclusive_scan_reduce_kernelI12hip_bfloat16Lj32ELj2EENSt9enable_ifIXsr10test_utilsE35device_test_enabled_for_warp_size_vIXT1_EEEvE4typeEPT_S5_S5_.num_vgpr, 11
	.set _Z33warp_inclusive_scan_reduce_kernelI12hip_bfloat16Lj32ELj2EENSt9enable_ifIXsr10test_utilsE35device_test_enabled_for_warp_size_vIXT1_EEEvE4typeEPT_S5_S5_.num_agpr, 0
	.set _Z33warp_inclusive_scan_reduce_kernelI12hip_bfloat16Lj32ELj2EENSt9enable_ifIXsr10test_utilsE35device_test_enabled_for_warp_size_vIXT1_EEEvE4typeEPT_S5_S5_.numbered_sgpr, 10
	.set _Z33warp_inclusive_scan_reduce_kernelI12hip_bfloat16Lj32ELj2EENSt9enable_ifIXsr10test_utilsE35device_test_enabled_for_warp_size_vIXT1_EEEvE4typeEPT_S5_S5_.num_named_barrier, 0
	.set _Z33warp_inclusive_scan_reduce_kernelI12hip_bfloat16Lj32ELj2EENSt9enable_ifIXsr10test_utilsE35device_test_enabled_for_warp_size_vIXT1_EEEvE4typeEPT_S5_S5_.private_seg_size, 0
	.set _Z33warp_inclusive_scan_reduce_kernelI12hip_bfloat16Lj32ELj2EENSt9enable_ifIXsr10test_utilsE35device_test_enabled_for_warp_size_vIXT1_EEEvE4typeEPT_S5_S5_.uses_vcc, 1
	.set _Z33warp_inclusive_scan_reduce_kernelI12hip_bfloat16Lj32ELj2EENSt9enable_ifIXsr10test_utilsE35device_test_enabled_for_warp_size_vIXT1_EEEvE4typeEPT_S5_S5_.uses_flat_scratch, 0
	.set _Z33warp_inclusive_scan_reduce_kernelI12hip_bfloat16Lj32ELj2EENSt9enable_ifIXsr10test_utilsE35device_test_enabled_for_warp_size_vIXT1_EEEvE4typeEPT_S5_S5_.has_dyn_sized_stack, 0
	.set _Z33warp_inclusive_scan_reduce_kernelI12hip_bfloat16Lj32ELj2EENSt9enable_ifIXsr10test_utilsE35device_test_enabled_for_warp_size_vIXT1_EEEvE4typeEPT_S5_S5_.has_recursion, 0
	.set _Z33warp_inclusive_scan_reduce_kernelI12hip_bfloat16Lj32ELj2EENSt9enable_ifIXsr10test_utilsE35device_test_enabled_for_warp_size_vIXT1_EEEvE4typeEPT_S5_S5_.has_indirect_call, 0
	.section	.AMDGPU.csdata,"",@progbits
; Kernel info:
; codeLenInByte = 436
; TotalNumSgprs: 14
; NumVgprs: 11
; ScratchSize: 0
; MemoryBound: 0
; FloatMode: 240
; IeeeMode: 1
; LDSByteSize: 0 bytes/workgroup (compile time only)
; SGPRBlocks: 1
; VGPRBlocks: 2
; NumSGPRsForWavesPerEU: 14
; NumVGPRsForWavesPerEU: 11
; Occupancy: 10
; WaveLimiterHint : 0
; COMPUTE_PGM_RSRC2:SCRATCH_EN: 0
; COMPUTE_PGM_RSRC2:USER_SGPR: 6
; COMPUTE_PGM_RSRC2:TRAP_HANDLER: 0
; COMPUTE_PGM_RSRC2:TGID_X_EN: 1
; COMPUTE_PGM_RSRC2:TGID_Y_EN: 0
; COMPUTE_PGM_RSRC2:TGID_Z_EN: 0
; COMPUTE_PGM_RSRC2:TIDIG_COMP_CNT: 0
	.section	.text._Z33warp_inclusive_scan_reduce_kernelI12hip_bfloat16Lj64ELj2EENSt9enable_ifIXsr10test_utilsE35device_test_enabled_for_warp_size_vIXT1_EEEvE4typeEPT_S5_S5_,"axG",@progbits,_Z33warp_inclusive_scan_reduce_kernelI12hip_bfloat16Lj64ELj2EENSt9enable_ifIXsr10test_utilsE35device_test_enabled_for_warp_size_vIXT1_EEEvE4typeEPT_S5_S5_,comdat
	.protected	_Z33warp_inclusive_scan_reduce_kernelI12hip_bfloat16Lj64ELj2EENSt9enable_ifIXsr10test_utilsE35device_test_enabled_for_warp_size_vIXT1_EEEvE4typeEPT_S5_S5_ ; -- Begin function _Z33warp_inclusive_scan_reduce_kernelI12hip_bfloat16Lj64ELj2EENSt9enable_ifIXsr10test_utilsE35device_test_enabled_for_warp_size_vIXT1_EEEvE4typeEPT_S5_S5_
	.globl	_Z33warp_inclusive_scan_reduce_kernelI12hip_bfloat16Lj64ELj2EENSt9enable_ifIXsr10test_utilsE35device_test_enabled_for_warp_size_vIXT1_EEEvE4typeEPT_S5_S5_
	.p2align	8
	.type	_Z33warp_inclusive_scan_reduce_kernelI12hip_bfloat16Lj64ELj2EENSt9enable_ifIXsr10test_utilsE35device_test_enabled_for_warp_size_vIXT1_EEEvE4typeEPT_S5_S5_,@function
_Z33warp_inclusive_scan_reduce_kernelI12hip_bfloat16Lj64ELj2EENSt9enable_ifIXsr10test_utilsE35device_test_enabled_for_warp_size_vIXT1_EEEvE4typeEPT_S5_S5_: ; @_Z33warp_inclusive_scan_reduce_kernelI12hip_bfloat16Lj64ELj2EENSt9enable_ifIXsr10test_utilsE35device_test_enabled_for_warp_size_vIXT1_EEEvE4typeEPT_S5_S5_
; %bb.0:
	s_load_dwordx4 s[0:3], s[4:5], 0x0
	s_load_dwordx2 s[8:9], s[4:5], 0x10
	v_lshl_or_b32 v1, s6, 6, v0
	v_mov_b32_e32 v2, 0
	v_lshlrev_b64 v[2:3], 1, v[1:2]
	s_waitcnt lgkmcnt(0)
	v_mov_b32_e32 v5, s1
	v_add_co_u32_e32 v4, vcc, s0, v2
	v_addc_co_u32_e32 v5, vcc, v5, v3, vcc
	global_load_ushort v4, v[4:5], off
	v_mbcnt_lo_u32_b32 v5, -1, 0
	s_bitcmp1_b32 s6, 0
	v_mbcnt_hi_u32_b32 v5, -1, v5
	s_cselect_b64 s[0:1], -1, 0
	v_and_b32_e32 v6, 1, v5
	s_and_b64 vcc, exec, s[0:1]
	s_waitcnt vmcnt(0)
	v_lshlrev_b32_e32 v7, 16, v4
	s_cbranch_vccz .LBB84_6
; %bb.1:
	v_mov_b32_dpp v8, v4 row_shr:1 row_mask:0xf bank_mask:0xf
	v_lshlrev_b32_e32 v8, 16, v8
	v_add_f32_e32 v8, v7, v8
	s_mov_b32 s0, 0x7f800000
	v_and_b32_e32 v9, 0x7f800000, v8
	v_cmp_ne_u32_e32 vcc, s0, v9
                                        ; implicit-def: $vgpr9
	s_and_saveexec_b64 s[0:1], vcc
	s_xor_b64 s[0:1], exec, s[0:1]
; %bb.2:
	v_bfe_u32 v9, v8, 16, 1
	s_movk_i32 s4, 0x7fff
	v_add3_u32 v9, v8, v9, s4
                                        ; implicit-def: $vgpr8
; %bb.3:
	s_andn2_saveexec_b64 s[0:1], s[0:1]
; %bb.4:
	v_mov_b32_e32 v9, 0
	v_or_b32_e32 v10, 0x10000, v8
	v_cmp_eq_u32_sdwa vcc, v8, v9 src0_sel:WORD_0 src1_sel:DWORD
	v_cndmask_b32_e32 v9, v10, v8, vcc
; %bb.5:
	s_or_b64 exec, exec, s[0:1]
	v_lshrrev_b32_e32 v8, 16, v9
	v_cmp_eq_u32_e32 vcc, 0, v6
	v_cndmask_b32_e32 v9, v8, v4, vcc
	v_cndmask_b32_e32 v8, v8, v4, vcc
	v_lshl_or_b32 v10, v5, 2, 4
	ds_bpermute_b32 v8, v10, v8
	s_branch .LBB84_12
.LBB84_6:
                                        ; implicit-def: $vgpr9
                                        ; implicit-def: $vgpr8
	s_cbranch_execz .LBB84_12
; %bb.7:
	s_waitcnt lgkmcnt(0)
	v_mov_b32_dpp v8, v4 row_shr:1 row_mask:0xf bank_mask:0xf
	v_lshlrev_b32_e32 v8, 16, v8
	v_add_f32_e32 v7, v7, v8
	s_mov_b32 s0, 0x7f800000
	v_and_b32_e32 v8, 0x7f800000, v7
	v_cmp_ne_u32_e32 vcc, s0, v8
                                        ; implicit-def: $vgpr8
	s_and_saveexec_b64 s[0:1], vcc
	s_xor_b64 s[0:1], exec, s[0:1]
; %bb.8:
	v_bfe_u32 v8, v7, 16, 1
	s_movk_i32 s4, 0x7fff
	v_add3_u32 v8, v7, v8, s4
                                        ; implicit-def: $vgpr7
; %bb.9:
	s_andn2_saveexec_b64 s[0:1], s[0:1]
; %bb.10:
	v_mov_b32_e32 v8, 0
	v_or_b32_e32 v9, 0x10000, v7
	v_cmp_eq_u32_sdwa vcc, v7, v8 src0_sel:WORD_0 src1_sel:DWORD
	v_cndmask_b32_e32 v8, v9, v7, vcc
; %bb.11:
	s_or_b64 exec, exec, s[0:1]
	v_lshrrev_b32_e32 v7, 16, v8
	v_cmp_eq_u32_e32 vcc, 0, v6
	v_cndmask_b32_e32 v9, v7, v4, vcc
	v_cndmask_b32_e32 v4, v7, v4, vcc
	v_lshl_or_b32 v5, v5, 2, 4
	ds_bpermute_b32 v8, v5, v4
.LBB84_12:
	v_mov_b32_e32 v4, s3
	v_add_co_u32_e32 v2, vcc, s2, v2
	v_addc_co_u32_e32 v3, vcc, v4, v3, vcc
	v_and_b32_e32 v0, 1, v0
	v_cmp_eq_u32_e32 vcc, 0, v0
	global_store_short v[2:3], v9, off
	s_and_saveexec_b64 s[0:1], vcc
	s_cbranch_execz .LBB84_14
; %bb.13:
	v_mov_b32_e32 v2, s9
	v_add_co_u32_e32 v0, vcc, s8, v1
	v_addc_co_u32_e32 v1, vcc, 0, v2, vcc
	s_waitcnt lgkmcnt(0)
	global_store_short v[0:1], v8, off
.LBB84_14:
	s_endpgm
	.section	.rodata,"a",@progbits
	.p2align	6, 0x0
	.amdhsa_kernel _Z33warp_inclusive_scan_reduce_kernelI12hip_bfloat16Lj64ELj2EENSt9enable_ifIXsr10test_utilsE35device_test_enabled_for_warp_size_vIXT1_EEEvE4typeEPT_S5_S5_
		.amdhsa_group_segment_fixed_size 0
		.amdhsa_private_segment_fixed_size 0
		.amdhsa_kernarg_size 24
		.amdhsa_user_sgpr_count 6
		.amdhsa_user_sgpr_private_segment_buffer 1
		.amdhsa_user_sgpr_dispatch_ptr 0
		.amdhsa_user_sgpr_queue_ptr 0
		.amdhsa_user_sgpr_kernarg_segment_ptr 1
		.amdhsa_user_sgpr_dispatch_id 0
		.amdhsa_user_sgpr_flat_scratch_init 0
		.amdhsa_user_sgpr_private_segment_size 0
		.amdhsa_uses_dynamic_stack 0
		.amdhsa_system_sgpr_private_segment_wavefront_offset 0
		.amdhsa_system_sgpr_workgroup_id_x 1
		.amdhsa_system_sgpr_workgroup_id_y 0
		.amdhsa_system_sgpr_workgroup_id_z 0
		.amdhsa_system_sgpr_workgroup_info 0
		.amdhsa_system_vgpr_workitem_id 0
		.amdhsa_next_free_vgpr 11
		.amdhsa_next_free_sgpr 10
		.amdhsa_reserve_vcc 1
		.amdhsa_reserve_flat_scratch 0
		.amdhsa_float_round_mode_32 0
		.amdhsa_float_round_mode_16_64 0
		.amdhsa_float_denorm_mode_32 3
		.amdhsa_float_denorm_mode_16_64 3
		.amdhsa_dx10_clamp 1
		.amdhsa_ieee_mode 1
		.amdhsa_fp16_overflow 0
		.amdhsa_exception_fp_ieee_invalid_op 0
		.amdhsa_exception_fp_denorm_src 0
		.amdhsa_exception_fp_ieee_div_zero 0
		.amdhsa_exception_fp_ieee_overflow 0
		.amdhsa_exception_fp_ieee_underflow 0
		.amdhsa_exception_fp_ieee_inexact 0
		.amdhsa_exception_int_div_zero 0
	.end_amdhsa_kernel
	.section	.text._Z33warp_inclusive_scan_reduce_kernelI12hip_bfloat16Lj64ELj2EENSt9enable_ifIXsr10test_utilsE35device_test_enabled_for_warp_size_vIXT1_EEEvE4typeEPT_S5_S5_,"axG",@progbits,_Z33warp_inclusive_scan_reduce_kernelI12hip_bfloat16Lj64ELj2EENSt9enable_ifIXsr10test_utilsE35device_test_enabled_for_warp_size_vIXT1_EEEvE4typeEPT_S5_S5_,comdat
.Lfunc_end84:
	.size	_Z33warp_inclusive_scan_reduce_kernelI12hip_bfloat16Lj64ELj2EENSt9enable_ifIXsr10test_utilsE35device_test_enabled_for_warp_size_vIXT1_EEEvE4typeEPT_S5_S5_, .Lfunc_end84-_Z33warp_inclusive_scan_reduce_kernelI12hip_bfloat16Lj64ELj2EENSt9enable_ifIXsr10test_utilsE35device_test_enabled_for_warp_size_vIXT1_EEEvE4typeEPT_S5_S5_
                                        ; -- End function
	.set _Z33warp_inclusive_scan_reduce_kernelI12hip_bfloat16Lj64ELj2EENSt9enable_ifIXsr10test_utilsE35device_test_enabled_for_warp_size_vIXT1_EEEvE4typeEPT_S5_S5_.num_vgpr, 11
	.set _Z33warp_inclusive_scan_reduce_kernelI12hip_bfloat16Lj64ELj2EENSt9enable_ifIXsr10test_utilsE35device_test_enabled_for_warp_size_vIXT1_EEEvE4typeEPT_S5_S5_.num_agpr, 0
	.set _Z33warp_inclusive_scan_reduce_kernelI12hip_bfloat16Lj64ELj2EENSt9enable_ifIXsr10test_utilsE35device_test_enabled_for_warp_size_vIXT1_EEEvE4typeEPT_S5_S5_.numbered_sgpr, 10
	.set _Z33warp_inclusive_scan_reduce_kernelI12hip_bfloat16Lj64ELj2EENSt9enable_ifIXsr10test_utilsE35device_test_enabled_for_warp_size_vIXT1_EEEvE4typeEPT_S5_S5_.num_named_barrier, 0
	.set _Z33warp_inclusive_scan_reduce_kernelI12hip_bfloat16Lj64ELj2EENSt9enable_ifIXsr10test_utilsE35device_test_enabled_for_warp_size_vIXT1_EEEvE4typeEPT_S5_S5_.private_seg_size, 0
	.set _Z33warp_inclusive_scan_reduce_kernelI12hip_bfloat16Lj64ELj2EENSt9enable_ifIXsr10test_utilsE35device_test_enabled_for_warp_size_vIXT1_EEEvE4typeEPT_S5_S5_.uses_vcc, 1
	.set _Z33warp_inclusive_scan_reduce_kernelI12hip_bfloat16Lj64ELj2EENSt9enable_ifIXsr10test_utilsE35device_test_enabled_for_warp_size_vIXT1_EEEvE4typeEPT_S5_S5_.uses_flat_scratch, 0
	.set _Z33warp_inclusive_scan_reduce_kernelI12hip_bfloat16Lj64ELj2EENSt9enable_ifIXsr10test_utilsE35device_test_enabled_for_warp_size_vIXT1_EEEvE4typeEPT_S5_S5_.has_dyn_sized_stack, 0
	.set _Z33warp_inclusive_scan_reduce_kernelI12hip_bfloat16Lj64ELj2EENSt9enable_ifIXsr10test_utilsE35device_test_enabled_for_warp_size_vIXT1_EEEvE4typeEPT_S5_S5_.has_recursion, 0
	.set _Z33warp_inclusive_scan_reduce_kernelI12hip_bfloat16Lj64ELj2EENSt9enable_ifIXsr10test_utilsE35device_test_enabled_for_warp_size_vIXT1_EEEvE4typeEPT_S5_S5_.has_indirect_call, 0
	.section	.AMDGPU.csdata,"",@progbits
; Kernel info:
; codeLenInByte = 436
; TotalNumSgprs: 14
; NumVgprs: 11
; ScratchSize: 0
; MemoryBound: 0
; FloatMode: 240
; IeeeMode: 1
; LDSByteSize: 0 bytes/workgroup (compile time only)
; SGPRBlocks: 1
; VGPRBlocks: 2
; NumSGPRsForWavesPerEU: 14
; NumVGPRsForWavesPerEU: 11
; Occupancy: 10
; WaveLimiterHint : 0
; COMPUTE_PGM_RSRC2:SCRATCH_EN: 0
; COMPUTE_PGM_RSRC2:USER_SGPR: 6
; COMPUTE_PGM_RSRC2:TRAP_HANDLER: 0
; COMPUTE_PGM_RSRC2:TGID_X_EN: 1
; COMPUTE_PGM_RSRC2:TGID_Y_EN: 0
; COMPUTE_PGM_RSRC2:TGID_Z_EN: 0
; COMPUTE_PGM_RSRC2:TIDIG_COMP_CNT: 0
	.section	.text._Z33warp_inclusive_scan_reduce_kernelI6__halfLj256ELj64EENSt9enable_ifIXsr10test_utilsE35device_test_enabled_for_warp_size_vIXT1_EEEvE4typeEPT_S5_S5_,"axG",@progbits,_Z33warp_inclusive_scan_reduce_kernelI6__halfLj256ELj64EENSt9enable_ifIXsr10test_utilsE35device_test_enabled_for_warp_size_vIXT1_EEEvE4typeEPT_S5_S5_,comdat
	.protected	_Z33warp_inclusive_scan_reduce_kernelI6__halfLj256ELj64EENSt9enable_ifIXsr10test_utilsE35device_test_enabled_for_warp_size_vIXT1_EEEvE4typeEPT_S5_S5_ ; -- Begin function _Z33warp_inclusive_scan_reduce_kernelI6__halfLj256ELj64EENSt9enable_ifIXsr10test_utilsE35device_test_enabled_for_warp_size_vIXT1_EEEvE4typeEPT_S5_S5_
	.globl	_Z33warp_inclusive_scan_reduce_kernelI6__halfLj256ELj64EENSt9enable_ifIXsr10test_utilsE35device_test_enabled_for_warp_size_vIXT1_EEEvE4typeEPT_S5_S5_
	.p2align	8
	.type	_Z33warp_inclusive_scan_reduce_kernelI6__halfLj256ELj64EENSt9enable_ifIXsr10test_utilsE35device_test_enabled_for_warp_size_vIXT1_EEEvE4typeEPT_S5_S5_,@function
_Z33warp_inclusive_scan_reduce_kernelI6__halfLj256ELj64EENSt9enable_ifIXsr10test_utilsE35device_test_enabled_for_warp_size_vIXT1_EEEvE4typeEPT_S5_S5_: ; @_Z33warp_inclusive_scan_reduce_kernelI6__halfLj256ELj64EENSt9enable_ifIXsr10test_utilsE35device_test_enabled_for_warp_size_vIXT1_EEEvE4typeEPT_S5_S5_
; %bb.0:
	s_load_dwordx4 s[8:11], s[4:5], 0x0
	s_load_dwordx2 s[12:13], s[4:5], 0x10
	v_lshl_or_b32 v1, s6, 8, v0
	v_mov_b32_e32 v2, 0
	v_lshlrev_b64 v[2:3], 1, v[1:2]
	s_waitcnt lgkmcnt(0)
	v_mov_b32_e32 v5, s9
	v_add_co_u32_e32 v4, vcc, s8, v2
	v_addc_co_u32_e32 v5, vcc, v5, v3, vcc
	global_load_ushort v7, v[4:5], off
	v_mbcnt_lo_u32_b32 v4, -1, 0
	s_bitcmp1_b32 s6, 0
	v_mbcnt_hi_u32_b32 v4, -1, v4
	s_cselect_b64 s[8:9], -1, 0
	v_and_b32_e32 v5, 15, v4
	v_and_b32_e32 v6, 16, v4
	v_cmp_lt_u32_e64 s[6:7], 31, v4
	v_cmp_eq_u32_e64 s[4:5], 0, v5
	v_cmp_lt_u32_e64 s[2:3], 1, v5
	v_cmp_lt_u32_e64 s[0:1], 3, v5
	s_and_b64 vcc, exec, s[8:9]
	v_cmp_lt_u32_e64 s[8:9], 7, v5
	s_waitcnt vmcnt(0)
	v_and_b32_e32 v8, 0xffff, v7
	s_cbranch_vccz .LBB85_2
; %bb.1:
	s_nop 0
	v_mov_b32_dpp v9, v8 row_shr:1 row_mask:0xf bank_mask:0xf
	v_add_f16_e32 v9, v7, v9
	v_cndmask_b32_e64 v9, v9, v7, s[4:5]
	v_and_b32_e32 v10, 0xffff, v9
	v_cmp_eq_u32_e32 vcc, 0, v6
	s_nop 0
	v_mov_b32_dpp v10, v10 row_shr:2 row_mask:0xf bank_mask:0xf
	v_add_f16_e32 v10, v9, v10
	v_cndmask_b32_e64 v9, v9, v10, s[2:3]
	v_and_b32_e32 v10, 0xffff, v9
	s_nop 1
	v_mov_b32_dpp v10, v10 row_shr:4 row_mask:0xf bank_mask:0xf
	v_add_f16_e32 v10, v9, v10
	v_cndmask_b32_e64 v9, v9, v10, s[0:1]
	v_and_b32_e32 v10, 0xffff, v9
	;; [unrolled: 5-line block ×3, first 2 shown]
	s_nop 1
	v_mov_b32_dpp v10, v10 row_bcast:15 row_mask:0xf bank_mask:0xf
	v_add_f16_e32 v10, v9, v10
	v_cndmask_b32_e32 v9, v10, v9, vcc
	v_and_b32_e32 v10, 0xffff, v9
	s_nop 1
	v_mov_b32_dpp v10, v10 row_bcast:31 row_mask:0xf bank_mask:0xf
	v_add_f16_e32 v10, v9, v10
	v_cndmask_b32_e64 v10, v9, v10, s[6:7]
	v_bfrev_b32_e32 v9, 0.5
	v_lshl_or_b32 v9, v4, 2, v9
	v_and_b32_e32 v11, 0xffff, v10
	ds_bpermute_b32 v9, v9, v11
	s_cbranch_execz .LBB85_3
	s_branch .LBB85_4
.LBB85_2:
                                        ; implicit-def: $vgpr10
                                        ; implicit-def: $vgpr9
.LBB85_3:
	s_nop 0
	v_mov_b32_dpp v8, v8 row_shr:1 row_mask:0xf bank_mask:0xf
	v_add_f16_e32 v8, v7, v8
	v_cndmask_b32_e64 v7, v8, v7, s[4:5]
	v_and_b32_e32 v8, 0xffff, v7
	v_cmp_lt_u32_e32 vcc, 7, v5
	s_nop 0
	v_mov_b32_dpp v8, v8 row_shr:2 row_mask:0xf bank_mask:0xf
	v_add_f16_e32 v8, v7, v8
	v_cndmask_b32_e64 v7, v7, v8, s[2:3]
	v_and_b32_e32 v8, 0xffff, v7
	s_nop 1
	v_mov_b32_dpp v8, v8 row_shr:4 row_mask:0xf bank_mask:0xf
	v_add_f16_e32 v8, v7, v8
	v_cndmask_b32_e64 v7, v7, v8, s[0:1]
	v_and_b32_e32 v8, 0xffff, v7
	s_nop 1
	v_mov_b32_dpp v8, v8 row_shr:8 row_mask:0xf bank_mask:0xf
	v_add_f16_e32 v8, v7, v8
	v_cndmask_b32_e32 v5, v7, v8, vcc
	v_and_b32_e32 v7, 0xffff, v5
	v_cmp_eq_u32_e32 vcc, 0, v6
	s_nop 0
	v_mov_b32_dpp v7, v7 row_bcast:15 row_mask:0xf bank_mask:0xf
	v_add_f16_e32 v7, v5, v7
	v_cndmask_b32_e32 v5, v7, v5, vcc
	v_and_b32_e32 v6, 0xffff, v5
	v_cmp_lt_u32_e32 vcc, 31, v4
	s_nop 0
	v_mov_b32_dpp v6, v6 row_bcast:31 row_mask:0xf bank_mask:0xf
	v_add_f16_e32 v6, v5, v6
	v_cndmask_b32_e32 v10, v5, v6, vcc
	v_bfrev_b32_e32 v5, 0.5
	v_lshl_or_b32 v4, v4, 2, v5
	v_and_b32_e32 v5, 0xffff, v10
	s_waitcnt lgkmcnt(0)
	ds_bpermute_b32 v9, v4, v5
.LBB85_4:
	v_mov_b32_e32 v4, s11
	v_add_co_u32_e32 v2, vcc, s10, v2
	v_addc_co_u32_e32 v3, vcc, v4, v3, vcc
	v_and_b32_e32 v0, 63, v0
	v_cmp_eq_u32_e32 vcc, 0, v0
	global_store_short v[2:3], v10, off
	s_and_saveexec_b64 s[0:1], vcc
	s_cbranch_execz .LBB85_6
; %bb.5:
	v_lshrrev_b32_e32 v0, 5, v1
	s_waitcnt lgkmcnt(0)
	global_store_short v0, v9, s[12:13]
.LBB85_6:
	s_endpgm
	.section	.rodata,"a",@progbits
	.p2align	6, 0x0
	.amdhsa_kernel _Z33warp_inclusive_scan_reduce_kernelI6__halfLj256ELj64EENSt9enable_ifIXsr10test_utilsE35device_test_enabled_for_warp_size_vIXT1_EEEvE4typeEPT_S5_S5_
		.amdhsa_group_segment_fixed_size 0
		.amdhsa_private_segment_fixed_size 0
		.amdhsa_kernarg_size 24
		.amdhsa_user_sgpr_count 6
		.amdhsa_user_sgpr_private_segment_buffer 1
		.amdhsa_user_sgpr_dispatch_ptr 0
		.amdhsa_user_sgpr_queue_ptr 0
		.amdhsa_user_sgpr_kernarg_segment_ptr 1
		.amdhsa_user_sgpr_dispatch_id 0
		.amdhsa_user_sgpr_flat_scratch_init 0
		.amdhsa_user_sgpr_private_segment_size 0
		.amdhsa_uses_dynamic_stack 0
		.amdhsa_system_sgpr_private_segment_wavefront_offset 0
		.amdhsa_system_sgpr_workgroup_id_x 1
		.amdhsa_system_sgpr_workgroup_id_y 0
		.amdhsa_system_sgpr_workgroup_id_z 0
		.amdhsa_system_sgpr_workgroup_info 0
		.amdhsa_system_vgpr_workitem_id 0
		.amdhsa_next_free_vgpr 12
		.amdhsa_next_free_sgpr 14
		.amdhsa_reserve_vcc 1
		.amdhsa_reserve_flat_scratch 0
		.amdhsa_float_round_mode_32 0
		.amdhsa_float_round_mode_16_64 0
		.amdhsa_float_denorm_mode_32 3
		.amdhsa_float_denorm_mode_16_64 3
		.amdhsa_dx10_clamp 1
		.amdhsa_ieee_mode 1
		.amdhsa_fp16_overflow 0
		.amdhsa_exception_fp_ieee_invalid_op 0
		.amdhsa_exception_fp_denorm_src 0
		.amdhsa_exception_fp_ieee_div_zero 0
		.amdhsa_exception_fp_ieee_overflow 0
		.amdhsa_exception_fp_ieee_underflow 0
		.amdhsa_exception_fp_ieee_inexact 0
		.amdhsa_exception_int_div_zero 0
	.end_amdhsa_kernel
	.section	.text._Z33warp_inclusive_scan_reduce_kernelI6__halfLj256ELj64EENSt9enable_ifIXsr10test_utilsE35device_test_enabled_for_warp_size_vIXT1_EEEvE4typeEPT_S5_S5_,"axG",@progbits,_Z33warp_inclusive_scan_reduce_kernelI6__halfLj256ELj64EENSt9enable_ifIXsr10test_utilsE35device_test_enabled_for_warp_size_vIXT1_EEEvE4typeEPT_S5_S5_,comdat
.Lfunc_end85:
	.size	_Z33warp_inclusive_scan_reduce_kernelI6__halfLj256ELj64EENSt9enable_ifIXsr10test_utilsE35device_test_enabled_for_warp_size_vIXT1_EEEvE4typeEPT_S5_S5_, .Lfunc_end85-_Z33warp_inclusive_scan_reduce_kernelI6__halfLj256ELj64EENSt9enable_ifIXsr10test_utilsE35device_test_enabled_for_warp_size_vIXT1_EEEvE4typeEPT_S5_S5_
                                        ; -- End function
	.set _Z33warp_inclusive_scan_reduce_kernelI6__halfLj256ELj64EENSt9enable_ifIXsr10test_utilsE35device_test_enabled_for_warp_size_vIXT1_EEEvE4typeEPT_S5_S5_.num_vgpr, 12
	.set _Z33warp_inclusive_scan_reduce_kernelI6__halfLj256ELj64EENSt9enable_ifIXsr10test_utilsE35device_test_enabled_for_warp_size_vIXT1_EEEvE4typeEPT_S5_S5_.num_agpr, 0
	.set _Z33warp_inclusive_scan_reduce_kernelI6__halfLj256ELj64EENSt9enable_ifIXsr10test_utilsE35device_test_enabled_for_warp_size_vIXT1_EEEvE4typeEPT_S5_S5_.numbered_sgpr, 14
	.set _Z33warp_inclusive_scan_reduce_kernelI6__halfLj256ELj64EENSt9enable_ifIXsr10test_utilsE35device_test_enabled_for_warp_size_vIXT1_EEEvE4typeEPT_S5_S5_.num_named_barrier, 0
	.set _Z33warp_inclusive_scan_reduce_kernelI6__halfLj256ELj64EENSt9enable_ifIXsr10test_utilsE35device_test_enabled_for_warp_size_vIXT1_EEEvE4typeEPT_S5_S5_.private_seg_size, 0
	.set _Z33warp_inclusive_scan_reduce_kernelI6__halfLj256ELj64EENSt9enable_ifIXsr10test_utilsE35device_test_enabled_for_warp_size_vIXT1_EEEvE4typeEPT_S5_S5_.uses_vcc, 1
	.set _Z33warp_inclusive_scan_reduce_kernelI6__halfLj256ELj64EENSt9enable_ifIXsr10test_utilsE35device_test_enabled_for_warp_size_vIXT1_EEEvE4typeEPT_S5_S5_.uses_flat_scratch, 0
	.set _Z33warp_inclusive_scan_reduce_kernelI6__halfLj256ELj64EENSt9enable_ifIXsr10test_utilsE35device_test_enabled_for_warp_size_vIXT1_EEEvE4typeEPT_S5_S5_.has_dyn_sized_stack, 0
	.set _Z33warp_inclusive_scan_reduce_kernelI6__halfLj256ELj64EENSt9enable_ifIXsr10test_utilsE35device_test_enabled_for_warp_size_vIXT1_EEEvE4typeEPT_S5_S5_.has_recursion, 0
	.set _Z33warp_inclusive_scan_reduce_kernelI6__halfLj256ELj64EENSt9enable_ifIXsr10test_utilsE35device_test_enabled_for_warp_size_vIXT1_EEEvE4typeEPT_S5_S5_.has_indirect_call, 0
	.section	.AMDGPU.csdata,"",@progbits
; Kernel info:
; codeLenInByte = 644
; TotalNumSgprs: 18
; NumVgprs: 12
; ScratchSize: 0
; MemoryBound: 0
; FloatMode: 240
; IeeeMode: 1
; LDSByteSize: 0 bytes/workgroup (compile time only)
; SGPRBlocks: 2
; VGPRBlocks: 2
; NumSGPRsForWavesPerEU: 18
; NumVGPRsForWavesPerEU: 12
; Occupancy: 10
; WaveLimiterHint : 0
; COMPUTE_PGM_RSRC2:SCRATCH_EN: 0
; COMPUTE_PGM_RSRC2:USER_SGPR: 6
; COMPUTE_PGM_RSRC2:TRAP_HANDLER: 0
; COMPUTE_PGM_RSRC2:TGID_X_EN: 1
; COMPUTE_PGM_RSRC2:TGID_Y_EN: 0
; COMPUTE_PGM_RSRC2:TGID_Z_EN: 0
; COMPUTE_PGM_RSRC2:TIDIG_COMP_CNT: 0
	.section	.text._Z33warp_inclusive_scan_reduce_kernelI6__halfLj128ELj32EENSt9enable_ifIXsr10test_utilsE35device_test_enabled_for_warp_size_vIXT1_EEEvE4typeEPT_S5_S5_,"axG",@progbits,_Z33warp_inclusive_scan_reduce_kernelI6__halfLj128ELj32EENSt9enable_ifIXsr10test_utilsE35device_test_enabled_for_warp_size_vIXT1_EEEvE4typeEPT_S5_S5_,comdat
	.protected	_Z33warp_inclusive_scan_reduce_kernelI6__halfLj128ELj32EENSt9enable_ifIXsr10test_utilsE35device_test_enabled_for_warp_size_vIXT1_EEEvE4typeEPT_S5_S5_ ; -- Begin function _Z33warp_inclusive_scan_reduce_kernelI6__halfLj128ELj32EENSt9enable_ifIXsr10test_utilsE35device_test_enabled_for_warp_size_vIXT1_EEEvE4typeEPT_S5_S5_
	.globl	_Z33warp_inclusive_scan_reduce_kernelI6__halfLj128ELj32EENSt9enable_ifIXsr10test_utilsE35device_test_enabled_for_warp_size_vIXT1_EEEvE4typeEPT_S5_S5_
	.p2align	8
	.type	_Z33warp_inclusive_scan_reduce_kernelI6__halfLj128ELj32EENSt9enable_ifIXsr10test_utilsE35device_test_enabled_for_warp_size_vIXT1_EEEvE4typeEPT_S5_S5_,@function
_Z33warp_inclusive_scan_reduce_kernelI6__halfLj128ELj32EENSt9enable_ifIXsr10test_utilsE35device_test_enabled_for_warp_size_vIXT1_EEEvE4typeEPT_S5_S5_: ; @_Z33warp_inclusive_scan_reduce_kernelI6__halfLj128ELj32EENSt9enable_ifIXsr10test_utilsE35device_test_enabled_for_warp_size_vIXT1_EEEvE4typeEPT_S5_S5_
; %bb.0:
	s_load_dwordx4 s[8:11], s[4:5], 0x0
	s_load_dwordx2 s[12:13], s[4:5], 0x10
	v_lshl_or_b32 v1, s6, 7, v0
	v_mov_b32_e32 v2, 0
	v_lshlrev_b64 v[2:3], 1, v[1:2]
	s_waitcnt lgkmcnt(0)
	v_mov_b32_e32 v5, s9
	v_add_co_u32_e32 v4, vcc, s8, v2
	v_addc_co_u32_e32 v5, vcc, v5, v3, vcc
	global_load_ushort v7, v[4:5], off
	v_mbcnt_lo_u32_b32 v4, -1, 0
	s_bitcmp1_b32 s6, 0
	v_mbcnt_hi_u32_b32 v4, -1, v4
	s_cselect_b64 s[6:7], -1, 0
	v_and_b32_e32 v5, 15, v4
	v_and_b32_e32 v6, 16, v4
	v_cmp_eq_u32_e64 s[4:5], 0, v5
	v_cmp_lt_u32_e64 s[2:3], 1, v5
	v_cmp_lt_u32_e64 s[0:1], 3, v5
	s_and_b64 vcc, exec, s[6:7]
	v_cmp_lt_u32_e64 s[6:7], 7, v5
	s_waitcnt vmcnt(0)
	v_and_b32_e32 v8, 0xffff, v7
	s_cbranch_vccz .LBB86_2
; %bb.1:
	s_nop 0
	v_mov_b32_dpp v9, v8 row_shr:1 row_mask:0xf bank_mask:0xf
	v_add_f16_e32 v9, v7, v9
	v_cndmask_b32_e64 v9, v9, v7, s[4:5]
	v_and_b32_e32 v10, 0xffff, v9
	v_cmp_eq_u32_e32 vcc, 0, v6
	s_nop 0
	v_mov_b32_dpp v10, v10 row_shr:2 row_mask:0xf bank_mask:0xf
	v_add_f16_e32 v10, v9, v10
	v_cndmask_b32_e64 v9, v9, v10, s[2:3]
	v_and_b32_e32 v10, 0xffff, v9
	s_nop 1
	v_mov_b32_dpp v10, v10 row_shr:4 row_mask:0xf bank_mask:0xf
	v_add_f16_e32 v10, v9, v10
	v_cndmask_b32_e64 v9, v9, v10, s[0:1]
	v_and_b32_e32 v10, 0xffff, v9
	;; [unrolled: 5-line block ×3, first 2 shown]
	s_nop 1
	v_mov_b32_dpp v10, v10 row_bcast:15 row_mask:0xf bank_mask:0xf
	v_add_f16_e32 v10, v9, v10
	v_cndmask_b32_e32 v10, v10, v9, vcc
	v_mov_b32_e32 v9, 0x7c
	v_lshl_or_b32 v9, v4, 2, v9
	v_and_b32_e32 v11, 0xffff, v10
	ds_bpermute_b32 v9, v9, v11
	s_cbranch_execz .LBB86_3
	s_branch .LBB86_4
.LBB86_2:
                                        ; implicit-def: $vgpr10
                                        ; implicit-def: $vgpr9
.LBB86_3:
	s_nop 0
	v_mov_b32_dpp v8, v8 row_shr:1 row_mask:0xf bank_mask:0xf
	v_add_f16_e32 v8, v7, v8
	v_cndmask_b32_e64 v7, v8, v7, s[4:5]
	v_and_b32_e32 v8, 0xffff, v7
	v_cmp_lt_u32_e32 vcc, 7, v5
	s_nop 0
	v_mov_b32_dpp v8, v8 row_shr:2 row_mask:0xf bank_mask:0xf
	v_add_f16_e32 v8, v7, v8
	v_cndmask_b32_e64 v7, v7, v8, s[2:3]
	v_and_b32_e32 v8, 0xffff, v7
	s_nop 1
	v_mov_b32_dpp v8, v8 row_shr:4 row_mask:0xf bank_mask:0xf
	v_add_f16_e32 v8, v7, v8
	v_cndmask_b32_e64 v7, v7, v8, s[0:1]
	v_and_b32_e32 v8, 0xffff, v7
	s_nop 1
	v_mov_b32_dpp v8, v8 row_shr:8 row_mask:0xf bank_mask:0xf
	v_add_f16_e32 v8, v7, v8
	v_cndmask_b32_e32 v5, v7, v8, vcc
	v_and_b32_e32 v7, 0xffff, v5
	v_cmp_eq_u32_e32 vcc, 0, v6
	s_nop 0
	v_mov_b32_dpp v7, v7 row_bcast:15 row_mask:0xf bank_mask:0xf
	v_add_f16_e32 v7, v5, v7
	v_cndmask_b32_e32 v10, v7, v5, vcc
	v_mov_b32_e32 v5, 0x7c
	v_lshl_or_b32 v4, v4, 2, v5
	v_and_b32_e32 v5, 0xffff, v10
	s_waitcnt lgkmcnt(0)
	ds_bpermute_b32 v9, v4, v5
.LBB86_4:
	v_mov_b32_e32 v4, s11
	v_add_co_u32_e32 v2, vcc, s10, v2
	v_addc_co_u32_e32 v3, vcc, v4, v3, vcc
	v_and_b32_e32 v0, 31, v0
	v_cmp_eq_u32_e32 vcc, 0, v0
	global_store_short v[2:3], v10, off
	s_and_saveexec_b64 s[0:1], vcc
	s_cbranch_execz .LBB86_6
; %bb.5:
	v_lshrrev_b32_e32 v0, 4, v1
	s_waitcnt lgkmcnt(0)
	global_store_short v0, v9, s[12:13]
.LBB86_6:
	s_endpgm
	.section	.rodata,"a",@progbits
	.p2align	6, 0x0
	.amdhsa_kernel _Z33warp_inclusive_scan_reduce_kernelI6__halfLj128ELj32EENSt9enable_ifIXsr10test_utilsE35device_test_enabled_for_warp_size_vIXT1_EEEvE4typeEPT_S5_S5_
		.amdhsa_group_segment_fixed_size 0
		.amdhsa_private_segment_fixed_size 0
		.amdhsa_kernarg_size 24
		.amdhsa_user_sgpr_count 6
		.amdhsa_user_sgpr_private_segment_buffer 1
		.amdhsa_user_sgpr_dispatch_ptr 0
		.amdhsa_user_sgpr_queue_ptr 0
		.amdhsa_user_sgpr_kernarg_segment_ptr 1
		.amdhsa_user_sgpr_dispatch_id 0
		.amdhsa_user_sgpr_flat_scratch_init 0
		.amdhsa_user_sgpr_private_segment_size 0
		.amdhsa_uses_dynamic_stack 0
		.amdhsa_system_sgpr_private_segment_wavefront_offset 0
		.amdhsa_system_sgpr_workgroup_id_x 1
		.amdhsa_system_sgpr_workgroup_id_y 0
		.amdhsa_system_sgpr_workgroup_id_z 0
		.amdhsa_system_sgpr_workgroup_info 0
		.amdhsa_system_vgpr_workitem_id 0
		.amdhsa_next_free_vgpr 12
		.amdhsa_next_free_sgpr 14
		.amdhsa_reserve_vcc 1
		.amdhsa_reserve_flat_scratch 0
		.amdhsa_float_round_mode_32 0
		.amdhsa_float_round_mode_16_64 0
		.amdhsa_float_denorm_mode_32 3
		.amdhsa_float_denorm_mode_16_64 3
		.amdhsa_dx10_clamp 1
		.amdhsa_ieee_mode 1
		.amdhsa_fp16_overflow 0
		.amdhsa_exception_fp_ieee_invalid_op 0
		.amdhsa_exception_fp_denorm_src 0
		.amdhsa_exception_fp_ieee_div_zero 0
		.amdhsa_exception_fp_ieee_overflow 0
		.amdhsa_exception_fp_ieee_underflow 0
		.amdhsa_exception_fp_ieee_inexact 0
		.amdhsa_exception_int_div_zero 0
	.end_amdhsa_kernel
	.section	.text._Z33warp_inclusive_scan_reduce_kernelI6__halfLj128ELj32EENSt9enable_ifIXsr10test_utilsE35device_test_enabled_for_warp_size_vIXT1_EEEvE4typeEPT_S5_S5_,"axG",@progbits,_Z33warp_inclusive_scan_reduce_kernelI6__halfLj128ELj32EENSt9enable_ifIXsr10test_utilsE35device_test_enabled_for_warp_size_vIXT1_EEEvE4typeEPT_S5_S5_,comdat
.Lfunc_end86:
	.size	_Z33warp_inclusive_scan_reduce_kernelI6__halfLj128ELj32EENSt9enable_ifIXsr10test_utilsE35device_test_enabled_for_warp_size_vIXT1_EEEvE4typeEPT_S5_S5_, .Lfunc_end86-_Z33warp_inclusive_scan_reduce_kernelI6__halfLj128ELj32EENSt9enable_ifIXsr10test_utilsE35device_test_enabled_for_warp_size_vIXT1_EEEvE4typeEPT_S5_S5_
                                        ; -- End function
	.set _Z33warp_inclusive_scan_reduce_kernelI6__halfLj128ELj32EENSt9enable_ifIXsr10test_utilsE35device_test_enabled_for_warp_size_vIXT1_EEEvE4typeEPT_S5_S5_.num_vgpr, 12
	.set _Z33warp_inclusive_scan_reduce_kernelI6__halfLj128ELj32EENSt9enable_ifIXsr10test_utilsE35device_test_enabled_for_warp_size_vIXT1_EEEvE4typeEPT_S5_S5_.num_agpr, 0
	.set _Z33warp_inclusive_scan_reduce_kernelI6__halfLj128ELj32EENSt9enable_ifIXsr10test_utilsE35device_test_enabled_for_warp_size_vIXT1_EEEvE4typeEPT_S5_S5_.numbered_sgpr, 14
	.set _Z33warp_inclusive_scan_reduce_kernelI6__halfLj128ELj32EENSt9enable_ifIXsr10test_utilsE35device_test_enabled_for_warp_size_vIXT1_EEEvE4typeEPT_S5_S5_.num_named_barrier, 0
	.set _Z33warp_inclusive_scan_reduce_kernelI6__halfLj128ELj32EENSt9enable_ifIXsr10test_utilsE35device_test_enabled_for_warp_size_vIXT1_EEEvE4typeEPT_S5_S5_.private_seg_size, 0
	.set _Z33warp_inclusive_scan_reduce_kernelI6__halfLj128ELj32EENSt9enable_ifIXsr10test_utilsE35device_test_enabled_for_warp_size_vIXT1_EEEvE4typeEPT_S5_S5_.uses_vcc, 1
	.set _Z33warp_inclusive_scan_reduce_kernelI6__halfLj128ELj32EENSt9enable_ifIXsr10test_utilsE35device_test_enabled_for_warp_size_vIXT1_EEEvE4typeEPT_S5_S5_.uses_flat_scratch, 0
	.set _Z33warp_inclusive_scan_reduce_kernelI6__halfLj128ELj32EENSt9enable_ifIXsr10test_utilsE35device_test_enabled_for_warp_size_vIXT1_EEEvE4typeEPT_S5_S5_.has_dyn_sized_stack, 0
	.set _Z33warp_inclusive_scan_reduce_kernelI6__halfLj128ELj32EENSt9enable_ifIXsr10test_utilsE35device_test_enabled_for_warp_size_vIXT1_EEEvE4typeEPT_S5_S5_.has_recursion, 0
	.set _Z33warp_inclusive_scan_reduce_kernelI6__halfLj128ELj32EENSt9enable_ifIXsr10test_utilsE35device_test_enabled_for_warp_size_vIXT1_EEEvE4typeEPT_S5_S5_.has_indirect_call, 0
	.section	.AMDGPU.csdata,"",@progbits
; Kernel info:
; codeLenInByte = 580
; TotalNumSgprs: 18
; NumVgprs: 12
; ScratchSize: 0
; MemoryBound: 0
; FloatMode: 240
; IeeeMode: 1
; LDSByteSize: 0 bytes/workgroup (compile time only)
; SGPRBlocks: 2
; VGPRBlocks: 2
; NumSGPRsForWavesPerEU: 18
; NumVGPRsForWavesPerEU: 12
; Occupancy: 10
; WaveLimiterHint : 0
; COMPUTE_PGM_RSRC2:SCRATCH_EN: 0
; COMPUTE_PGM_RSRC2:USER_SGPR: 6
; COMPUTE_PGM_RSRC2:TRAP_HANDLER: 0
; COMPUTE_PGM_RSRC2:TGID_X_EN: 1
; COMPUTE_PGM_RSRC2:TGID_Y_EN: 0
; COMPUTE_PGM_RSRC2:TGID_Z_EN: 0
; COMPUTE_PGM_RSRC2:TIDIG_COMP_CNT: 0
	.section	.text._Z33warp_inclusive_scan_reduce_kernelI6__halfLj64ELj16EENSt9enable_ifIXsr10test_utilsE35device_test_enabled_for_warp_size_vIXT1_EEEvE4typeEPT_S5_S5_,"axG",@progbits,_Z33warp_inclusive_scan_reduce_kernelI6__halfLj64ELj16EENSt9enable_ifIXsr10test_utilsE35device_test_enabled_for_warp_size_vIXT1_EEEvE4typeEPT_S5_S5_,comdat
	.protected	_Z33warp_inclusive_scan_reduce_kernelI6__halfLj64ELj16EENSt9enable_ifIXsr10test_utilsE35device_test_enabled_for_warp_size_vIXT1_EEEvE4typeEPT_S5_S5_ ; -- Begin function _Z33warp_inclusive_scan_reduce_kernelI6__halfLj64ELj16EENSt9enable_ifIXsr10test_utilsE35device_test_enabled_for_warp_size_vIXT1_EEEvE4typeEPT_S5_S5_
	.globl	_Z33warp_inclusive_scan_reduce_kernelI6__halfLj64ELj16EENSt9enable_ifIXsr10test_utilsE35device_test_enabled_for_warp_size_vIXT1_EEEvE4typeEPT_S5_S5_
	.p2align	8
	.type	_Z33warp_inclusive_scan_reduce_kernelI6__halfLj64ELj16EENSt9enable_ifIXsr10test_utilsE35device_test_enabled_for_warp_size_vIXT1_EEEvE4typeEPT_S5_S5_,@function
_Z33warp_inclusive_scan_reduce_kernelI6__halfLj64ELj16EENSt9enable_ifIXsr10test_utilsE35device_test_enabled_for_warp_size_vIXT1_EEEvE4typeEPT_S5_S5_: ; @_Z33warp_inclusive_scan_reduce_kernelI6__halfLj64ELj16EENSt9enable_ifIXsr10test_utilsE35device_test_enabled_for_warp_size_vIXT1_EEEvE4typeEPT_S5_S5_
; %bb.0:
	s_load_dwordx4 s[8:11], s[4:5], 0x0
	s_load_dwordx2 s[12:13], s[4:5], 0x10
	v_lshl_or_b32 v1, s6, 6, v0
	v_mov_b32_e32 v2, 0
	v_lshlrev_b64 v[2:3], 1, v[1:2]
	s_waitcnt lgkmcnt(0)
	v_mov_b32_e32 v5, s9
	v_add_co_u32_e32 v4, vcc, s8, v2
	v_addc_co_u32_e32 v5, vcc, v5, v3, vcc
	global_load_ushort v6, v[4:5], off
	v_mbcnt_lo_u32_b32 v4, -1, 0
	s_bitcmp1_b32 s6, 0
	v_mbcnt_hi_u32_b32 v5, -1, v4
	s_cselect_b64 s[6:7], -1, 0
	v_and_b32_e32 v4, 15, v5
	v_lshl_or_b32 v5, v5, 2, 60
	v_cmp_eq_u32_e64 s[4:5], 0, v4
	v_cmp_lt_u32_e64 s[2:3], 1, v4
	v_cmp_lt_u32_e64 s[0:1], 3, v4
	s_and_b64 vcc, exec, s[6:7]
	v_cmp_lt_u32_e64 s[6:7], 7, v4
	s_waitcnt vmcnt(0)
	v_and_b32_e32 v8, 0xffff, v6
	s_cbranch_vccz .LBB87_2
; %bb.1:
	s_nop 0
	v_mov_b32_dpp v7, v8 row_shr:1 row_mask:0xf bank_mask:0xf
	v_add_f16_e32 v7, v6, v7
	v_cndmask_b32_e64 v7, v7, v6, s[4:5]
	v_and_b32_e32 v9, 0xffff, v7
	s_nop 1
	v_mov_b32_dpp v9, v9 row_shr:2 row_mask:0xf bank_mask:0xf
	v_add_f16_e32 v9, v7, v9
	v_cndmask_b32_e64 v7, v7, v9, s[2:3]
	v_and_b32_e32 v9, 0xffff, v7
	;; [unrolled: 5-line block ×4, first 2 shown]
	ds_bpermute_b32 v7, v5, v7
	s_cbranch_execz .LBB87_3
	s_branch .LBB87_4
.LBB87_2:
                                        ; implicit-def: $vgpr9
                                        ; implicit-def: $vgpr7
.LBB87_3:
	s_waitcnt lgkmcnt(0)
	s_nop 0
	v_mov_b32_dpp v7, v8 row_shr:1 row_mask:0xf bank_mask:0xf
	v_add_f16_e32 v7, v6, v7
	v_cndmask_b32_e64 v6, v7, v6, s[4:5]
	v_and_b32_e32 v7, 0xffff, v6
	v_cmp_lt_u32_e32 vcc, 7, v4
	s_nop 0
	v_mov_b32_dpp v7, v7 row_shr:2 row_mask:0xf bank_mask:0xf
	v_add_f16_e32 v7, v6, v7
	v_cndmask_b32_e64 v6, v6, v7, s[2:3]
	v_and_b32_e32 v7, 0xffff, v6
	s_nop 1
	v_mov_b32_dpp v7, v7 row_shr:4 row_mask:0xf bank_mask:0xf
	v_add_f16_e32 v7, v6, v7
	v_cndmask_b32_e64 v6, v6, v7, s[0:1]
	v_and_b32_e32 v7, 0xffff, v6
	s_nop 1
	v_mov_b32_dpp v7, v7 row_shr:8 row_mask:0xf bank_mask:0xf
	v_add_f16_e32 v7, v6, v7
	v_cndmask_b32_e32 v9, v6, v7, vcc
	v_and_b32_e32 v4, 0xffff, v9
	ds_bpermute_b32 v7, v5, v4
.LBB87_4:
	v_mov_b32_e32 v4, s11
	v_add_co_u32_e32 v2, vcc, s10, v2
	v_addc_co_u32_e32 v3, vcc, v4, v3, vcc
	v_and_b32_e32 v0, 15, v0
	v_cmp_eq_u32_e32 vcc, 0, v0
	global_store_short v[2:3], v9, off
	s_and_saveexec_b64 s[0:1], vcc
	s_cbranch_execz .LBB87_6
; %bb.5:
	v_lshrrev_b32_e32 v0, 3, v1
	s_waitcnt lgkmcnt(0)
	global_store_short v0, v7, s[12:13]
.LBB87_6:
	s_endpgm
	.section	.rodata,"a",@progbits
	.p2align	6, 0x0
	.amdhsa_kernel _Z33warp_inclusive_scan_reduce_kernelI6__halfLj64ELj16EENSt9enable_ifIXsr10test_utilsE35device_test_enabled_for_warp_size_vIXT1_EEEvE4typeEPT_S5_S5_
		.amdhsa_group_segment_fixed_size 0
		.amdhsa_private_segment_fixed_size 0
		.amdhsa_kernarg_size 24
		.amdhsa_user_sgpr_count 6
		.amdhsa_user_sgpr_private_segment_buffer 1
		.amdhsa_user_sgpr_dispatch_ptr 0
		.amdhsa_user_sgpr_queue_ptr 0
		.amdhsa_user_sgpr_kernarg_segment_ptr 1
		.amdhsa_user_sgpr_dispatch_id 0
		.amdhsa_user_sgpr_flat_scratch_init 0
		.amdhsa_user_sgpr_private_segment_size 0
		.amdhsa_uses_dynamic_stack 0
		.amdhsa_system_sgpr_private_segment_wavefront_offset 0
		.amdhsa_system_sgpr_workgroup_id_x 1
		.amdhsa_system_sgpr_workgroup_id_y 0
		.amdhsa_system_sgpr_workgroup_id_z 0
		.amdhsa_system_sgpr_workgroup_info 0
		.amdhsa_system_vgpr_workitem_id 0
		.amdhsa_next_free_vgpr 10
		.amdhsa_next_free_sgpr 14
		.amdhsa_reserve_vcc 1
		.amdhsa_reserve_flat_scratch 0
		.amdhsa_float_round_mode_32 0
		.amdhsa_float_round_mode_16_64 0
		.amdhsa_float_denorm_mode_32 3
		.amdhsa_float_denorm_mode_16_64 3
		.amdhsa_dx10_clamp 1
		.amdhsa_ieee_mode 1
		.amdhsa_fp16_overflow 0
		.amdhsa_exception_fp_ieee_invalid_op 0
		.amdhsa_exception_fp_denorm_src 0
		.amdhsa_exception_fp_ieee_div_zero 0
		.amdhsa_exception_fp_ieee_overflow 0
		.amdhsa_exception_fp_ieee_underflow 0
		.amdhsa_exception_fp_ieee_inexact 0
		.amdhsa_exception_int_div_zero 0
	.end_amdhsa_kernel
	.section	.text._Z33warp_inclusive_scan_reduce_kernelI6__halfLj64ELj16EENSt9enable_ifIXsr10test_utilsE35device_test_enabled_for_warp_size_vIXT1_EEEvE4typeEPT_S5_S5_,"axG",@progbits,_Z33warp_inclusive_scan_reduce_kernelI6__halfLj64ELj16EENSt9enable_ifIXsr10test_utilsE35device_test_enabled_for_warp_size_vIXT1_EEEvE4typeEPT_S5_S5_,comdat
.Lfunc_end87:
	.size	_Z33warp_inclusive_scan_reduce_kernelI6__halfLj64ELj16EENSt9enable_ifIXsr10test_utilsE35device_test_enabled_for_warp_size_vIXT1_EEEvE4typeEPT_S5_S5_, .Lfunc_end87-_Z33warp_inclusive_scan_reduce_kernelI6__halfLj64ELj16EENSt9enable_ifIXsr10test_utilsE35device_test_enabled_for_warp_size_vIXT1_EEEvE4typeEPT_S5_S5_
                                        ; -- End function
	.set _Z33warp_inclusive_scan_reduce_kernelI6__halfLj64ELj16EENSt9enable_ifIXsr10test_utilsE35device_test_enabled_for_warp_size_vIXT1_EEEvE4typeEPT_S5_S5_.num_vgpr, 10
	.set _Z33warp_inclusive_scan_reduce_kernelI6__halfLj64ELj16EENSt9enable_ifIXsr10test_utilsE35device_test_enabled_for_warp_size_vIXT1_EEEvE4typeEPT_S5_S5_.num_agpr, 0
	.set _Z33warp_inclusive_scan_reduce_kernelI6__halfLj64ELj16EENSt9enable_ifIXsr10test_utilsE35device_test_enabled_for_warp_size_vIXT1_EEEvE4typeEPT_S5_S5_.numbered_sgpr, 14
	.set _Z33warp_inclusive_scan_reduce_kernelI6__halfLj64ELj16EENSt9enable_ifIXsr10test_utilsE35device_test_enabled_for_warp_size_vIXT1_EEEvE4typeEPT_S5_S5_.num_named_barrier, 0
	.set _Z33warp_inclusive_scan_reduce_kernelI6__halfLj64ELj16EENSt9enable_ifIXsr10test_utilsE35device_test_enabled_for_warp_size_vIXT1_EEEvE4typeEPT_S5_S5_.private_seg_size, 0
	.set _Z33warp_inclusive_scan_reduce_kernelI6__halfLj64ELj16EENSt9enable_ifIXsr10test_utilsE35device_test_enabled_for_warp_size_vIXT1_EEEvE4typeEPT_S5_S5_.uses_vcc, 1
	.set _Z33warp_inclusive_scan_reduce_kernelI6__halfLj64ELj16EENSt9enable_ifIXsr10test_utilsE35device_test_enabled_for_warp_size_vIXT1_EEEvE4typeEPT_S5_S5_.uses_flat_scratch, 0
	.set _Z33warp_inclusive_scan_reduce_kernelI6__halfLj64ELj16EENSt9enable_ifIXsr10test_utilsE35device_test_enabled_for_warp_size_vIXT1_EEEvE4typeEPT_S5_S5_.has_dyn_sized_stack, 0
	.set _Z33warp_inclusive_scan_reduce_kernelI6__halfLj64ELj16EENSt9enable_ifIXsr10test_utilsE35device_test_enabled_for_warp_size_vIXT1_EEEvE4typeEPT_S5_S5_.has_recursion, 0
	.set _Z33warp_inclusive_scan_reduce_kernelI6__halfLj64ELj16EENSt9enable_ifIXsr10test_utilsE35device_test_enabled_for_warp_size_vIXT1_EEEvE4typeEPT_S5_S5_.has_indirect_call, 0
	.section	.AMDGPU.csdata,"",@progbits
; Kernel info:
; codeLenInByte = 488
; TotalNumSgprs: 18
; NumVgprs: 10
; ScratchSize: 0
; MemoryBound: 0
; FloatMode: 240
; IeeeMode: 1
; LDSByteSize: 0 bytes/workgroup (compile time only)
; SGPRBlocks: 2
; VGPRBlocks: 2
; NumSGPRsForWavesPerEU: 18
; NumVGPRsForWavesPerEU: 10
; Occupancy: 10
; WaveLimiterHint : 0
; COMPUTE_PGM_RSRC2:SCRATCH_EN: 0
; COMPUTE_PGM_RSRC2:USER_SGPR: 6
; COMPUTE_PGM_RSRC2:TRAP_HANDLER: 0
; COMPUTE_PGM_RSRC2:TGID_X_EN: 1
; COMPUTE_PGM_RSRC2:TGID_Y_EN: 0
; COMPUTE_PGM_RSRC2:TGID_Z_EN: 0
; COMPUTE_PGM_RSRC2:TIDIG_COMP_CNT: 0
	.section	.text._Z33warp_inclusive_scan_reduce_kernelI6__halfLj32ELj8EENSt9enable_ifIXsr10test_utilsE35device_test_enabled_for_warp_size_vIXT1_EEEvE4typeEPT_S5_S5_,"axG",@progbits,_Z33warp_inclusive_scan_reduce_kernelI6__halfLj32ELj8EENSt9enable_ifIXsr10test_utilsE35device_test_enabled_for_warp_size_vIXT1_EEEvE4typeEPT_S5_S5_,comdat
	.protected	_Z33warp_inclusive_scan_reduce_kernelI6__halfLj32ELj8EENSt9enable_ifIXsr10test_utilsE35device_test_enabled_for_warp_size_vIXT1_EEEvE4typeEPT_S5_S5_ ; -- Begin function _Z33warp_inclusive_scan_reduce_kernelI6__halfLj32ELj8EENSt9enable_ifIXsr10test_utilsE35device_test_enabled_for_warp_size_vIXT1_EEEvE4typeEPT_S5_S5_
	.globl	_Z33warp_inclusive_scan_reduce_kernelI6__halfLj32ELj8EENSt9enable_ifIXsr10test_utilsE35device_test_enabled_for_warp_size_vIXT1_EEEvE4typeEPT_S5_S5_
	.p2align	8
	.type	_Z33warp_inclusive_scan_reduce_kernelI6__halfLj32ELj8EENSt9enable_ifIXsr10test_utilsE35device_test_enabled_for_warp_size_vIXT1_EEEvE4typeEPT_S5_S5_,@function
_Z33warp_inclusive_scan_reduce_kernelI6__halfLj32ELj8EENSt9enable_ifIXsr10test_utilsE35device_test_enabled_for_warp_size_vIXT1_EEEvE4typeEPT_S5_S5_: ; @_Z33warp_inclusive_scan_reduce_kernelI6__halfLj32ELj8EENSt9enable_ifIXsr10test_utilsE35device_test_enabled_for_warp_size_vIXT1_EEEvE4typeEPT_S5_S5_
; %bb.0:
	s_load_dwordx4 s[8:11], s[4:5], 0x0
	s_load_dwordx2 s[12:13], s[4:5], 0x10
	v_lshl_or_b32 v1, s6, 5, v0
	v_mov_b32_e32 v2, 0
	v_lshlrev_b64 v[2:3], 1, v[1:2]
	s_waitcnt lgkmcnt(0)
	v_mov_b32_e32 v5, s9
	v_add_co_u32_e32 v4, vcc, s8, v2
	v_addc_co_u32_e32 v5, vcc, v5, v3, vcc
	global_load_ushort v4, v[4:5], off
	v_mbcnt_lo_u32_b32 v5, -1, 0
	s_bitcmp1_b32 s6, 0
	v_mbcnt_hi_u32_b32 v5, -1, v5
	s_cselect_b64 s[6:7], -1, 0
	v_and_b32_e32 v6, 7, v5
	v_lshl_or_b32 v5, v5, 2, 28
	v_cmp_eq_u32_e64 s[4:5], 0, v6
	v_cmp_lt_u32_e64 s[2:3], 1, v6
	v_cmp_lt_u32_e64 s[0:1], 3, v6
	s_and_b64 vcc, exec, s[6:7]
	s_waitcnt vmcnt(0)
	v_and_b32_e32 v7, 0xffff, v4
	s_cbranch_vccz .LBB88_2
; %bb.1:
	s_nop 0
	v_mov_b32_dpp v6, v7 row_shr:1 row_mask:0xf bank_mask:0xf
	v_add_f16_e32 v6, v4, v6
	v_cndmask_b32_e64 v6, v6, v4, s[4:5]
	v_and_b32_e32 v8, 0xffff, v6
	s_nop 1
	v_mov_b32_dpp v8, v8 row_shr:2 row_mask:0xf bank_mask:0xf
	v_add_f16_e32 v8, v6, v8
	v_cndmask_b32_e64 v6, v6, v8, s[2:3]
	v_and_b32_e32 v8, 0xffff, v6
	;; [unrolled: 5-line block ×3, first 2 shown]
	ds_bpermute_b32 v6, v5, v6
	s_cbranch_execz .LBB88_3
	s_branch .LBB88_4
.LBB88_2:
                                        ; implicit-def: $vgpr8
                                        ; implicit-def: $vgpr6
.LBB88_3:
	s_waitcnt lgkmcnt(0)
	s_nop 0
	v_mov_b32_dpp v6, v7 row_shr:1 row_mask:0xf bank_mask:0xf
	v_add_f16_e32 v6, v4, v6
	v_cndmask_b32_e64 v4, v6, v4, s[4:5]
	v_and_b32_e32 v6, 0xffff, v4
	s_nop 1
	v_mov_b32_dpp v6, v6 row_shr:2 row_mask:0xf bank_mask:0xf
	v_add_f16_e32 v6, v4, v6
	v_cndmask_b32_e64 v4, v4, v6, s[2:3]
	v_and_b32_e32 v6, 0xffff, v4
	;; [unrolled: 5-line block ×3, first 2 shown]
	ds_bpermute_b32 v6, v5, v4
.LBB88_4:
	v_mov_b32_e32 v4, s11
	v_add_co_u32_e32 v2, vcc, s10, v2
	v_addc_co_u32_e32 v3, vcc, v4, v3, vcc
	v_and_b32_e32 v0, 7, v0
	v_cmp_eq_u32_e32 vcc, 0, v0
	global_store_short v[2:3], v8, off
	s_and_saveexec_b64 s[0:1], vcc
	s_cbranch_execz .LBB88_6
; %bb.5:
	v_lshrrev_b32_e32 v0, 2, v1
	s_waitcnt lgkmcnt(0)
	global_store_short v0, v6, s[12:13]
.LBB88_6:
	s_endpgm
	.section	.rodata,"a",@progbits
	.p2align	6, 0x0
	.amdhsa_kernel _Z33warp_inclusive_scan_reduce_kernelI6__halfLj32ELj8EENSt9enable_ifIXsr10test_utilsE35device_test_enabled_for_warp_size_vIXT1_EEEvE4typeEPT_S5_S5_
		.amdhsa_group_segment_fixed_size 0
		.amdhsa_private_segment_fixed_size 0
		.amdhsa_kernarg_size 24
		.amdhsa_user_sgpr_count 6
		.amdhsa_user_sgpr_private_segment_buffer 1
		.amdhsa_user_sgpr_dispatch_ptr 0
		.amdhsa_user_sgpr_queue_ptr 0
		.amdhsa_user_sgpr_kernarg_segment_ptr 1
		.amdhsa_user_sgpr_dispatch_id 0
		.amdhsa_user_sgpr_flat_scratch_init 0
		.amdhsa_user_sgpr_private_segment_size 0
		.amdhsa_uses_dynamic_stack 0
		.amdhsa_system_sgpr_private_segment_wavefront_offset 0
		.amdhsa_system_sgpr_workgroup_id_x 1
		.amdhsa_system_sgpr_workgroup_id_y 0
		.amdhsa_system_sgpr_workgroup_id_z 0
		.amdhsa_system_sgpr_workgroup_info 0
		.amdhsa_system_vgpr_workitem_id 0
		.amdhsa_next_free_vgpr 9
		.amdhsa_next_free_sgpr 14
		.amdhsa_reserve_vcc 1
		.amdhsa_reserve_flat_scratch 0
		.amdhsa_float_round_mode_32 0
		.amdhsa_float_round_mode_16_64 0
		.amdhsa_float_denorm_mode_32 3
		.amdhsa_float_denorm_mode_16_64 3
		.amdhsa_dx10_clamp 1
		.amdhsa_ieee_mode 1
		.amdhsa_fp16_overflow 0
		.amdhsa_exception_fp_ieee_invalid_op 0
		.amdhsa_exception_fp_denorm_src 0
		.amdhsa_exception_fp_ieee_div_zero 0
		.amdhsa_exception_fp_ieee_overflow 0
		.amdhsa_exception_fp_ieee_underflow 0
		.amdhsa_exception_fp_ieee_inexact 0
		.amdhsa_exception_int_div_zero 0
	.end_amdhsa_kernel
	.section	.text._Z33warp_inclusive_scan_reduce_kernelI6__halfLj32ELj8EENSt9enable_ifIXsr10test_utilsE35device_test_enabled_for_warp_size_vIXT1_EEEvE4typeEPT_S5_S5_,"axG",@progbits,_Z33warp_inclusive_scan_reduce_kernelI6__halfLj32ELj8EENSt9enable_ifIXsr10test_utilsE35device_test_enabled_for_warp_size_vIXT1_EEEvE4typeEPT_S5_S5_,comdat
.Lfunc_end88:
	.size	_Z33warp_inclusive_scan_reduce_kernelI6__halfLj32ELj8EENSt9enable_ifIXsr10test_utilsE35device_test_enabled_for_warp_size_vIXT1_EEEvE4typeEPT_S5_S5_, .Lfunc_end88-_Z33warp_inclusive_scan_reduce_kernelI6__halfLj32ELj8EENSt9enable_ifIXsr10test_utilsE35device_test_enabled_for_warp_size_vIXT1_EEEvE4typeEPT_S5_S5_
                                        ; -- End function
	.set _Z33warp_inclusive_scan_reduce_kernelI6__halfLj32ELj8EENSt9enable_ifIXsr10test_utilsE35device_test_enabled_for_warp_size_vIXT1_EEEvE4typeEPT_S5_S5_.num_vgpr, 9
	.set _Z33warp_inclusive_scan_reduce_kernelI6__halfLj32ELj8EENSt9enable_ifIXsr10test_utilsE35device_test_enabled_for_warp_size_vIXT1_EEEvE4typeEPT_S5_S5_.num_agpr, 0
	.set _Z33warp_inclusive_scan_reduce_kernelI6__halfLj32ELj8EENSt9enable_ifIXsr10test_utilsE35device_test_enabled_for_warp_size_vIXT1_EEEvE4typeEPT_S5_S5_.numbered_sgpr, 14
	.set _Z33warp_inclusive_scan_reduce_kernelI6__halfLj32ELj8EENSt9enable_ifIXsr10test_utilsE35device_test_enabled_for_warp_size_vIXT1_EEEvE4typeEPT_S5_S5_.num_named_barrier, 0
	.set _Z33warp_inclusive_scan_reduce_kernelI6__halfLj32ELj8EENSt9enable_ifIXsr10test_utilsE35device_test_enabled_for_warp_size_vIXT1_EEEvE4typeEPT_S5_S5_.private_seg_size, 0
	.set _Z33warp_inclusive_scan_reduce_kernelI6__halfLj32ELj8EENSt9enable_ifIXsr10test_utilsE35device_test_enabled_for_warp_size_vIXT1_EEEvE4typeEPT_S5_S5_.uses_vcc, 1
	.set _Z33warp_inclusive_scan_reduce_kernelI6__halfLj32ELj8EENSt9enable_ifIXsr10test_utilsE35device_test_enabled_for_warp_size_vIXT1_EEEvE4typeEPT_S5_S5_.uses_flat_scratch, 0
	.set _Z33warp_inclusive_scan_reduce_kernelI6__halfLj32ELj8EENSt9enable_ifIXsr10test_utilsE35device_test_enabled_for_warp_size_vIXT1_EEEvE4typeEPT_S5_S5_.has_dyn_sized_stack, 0
	.set _Z33warp_inclusive_scan_reduce_kernelI6__halfLj32ELj8EENSt9enable_ifIXsr10test_utilsE35device_test_enabled_for_warp_size_vIXT1_EEEvE4typeEPT_S5_S5_.has_recursion, 0
	.set _Z33warp_inclusive_scan_reduce_kernelI6__halfLj32ELj8EENSt9enable_ifIXsr10test_utilsE35device_test_enabled_for_warp_size_vIXT1_EEEvE4typeEPT_S5_S5_.has_indirect_call, 0
	.section	.AMDGPU.csdata,"",@progbits
; Kernel info:
; codeLenInByte = 416
; TotalNumSgprs: 18
; NumVgprs: 9
; ScratchSize: 0
; MemoryBound: 0
; FloatMode: 240
; IeeeMode: 1
; LDSByteSize: 0 bytes/workgroup (compile time only)
; SGPRBlocks: 2
; VGPRBlocks: 2
; NumSGPRsForWavesPerEU: 18
; NumVGPRsForWavesPerEU: 9
; Occupancy: 10
; WaveLimiterHint : 0
; COMPUTE_PGM_RSRC2:SCRATCH_EN: 0
; COMPUTE_PGM_RSRC2:USER_SGPR: 6
; COMPUTE_PGM_RSRC2:TRAP_HANDLER: 0
; COMPUTE_PGM_RSRC2:TGID_X_EN: 1
; COMPUTE_PGM_RSRC2:TGID_Y_EN: 0
; COMPUTE_PGM_RSRC2:TGID_Z_EN: 0
; COMPUTE_PGM_RSRC2:TIDIG_COMP_CNT: 0
	.section	.text._Z33warp_inclusive_scan_reduce_kernelI6__halfLj64ELj8EENSt9enable_ifIXsr10test_utilsE35device_test_enabled_for_warp_size_vIXT1_EEEvE4typeEPT_S5_S5_,"axG",@progbits,_Z33warp_inclusive_scan_reduce_kernelI6__halfLj64ELj8EENSt9enable_ifIXsr10test_utilsE35device_test_enabled_for_warp_size_vIXT1_EEEvE4typeEPT_S5_S5_,comdat
	.protected	_Z33warp_inclusive_scan_reduce_kernelI6__halfLj64ELj8EENSt9enable_ifIXsr10test_utilsE35device_test_enabled_for_warp_size_vIXT1_EEEvE4typeEPT_S5_S5_ ; -- Begin function _Z33warp_inclusive_scan_reduce_kernelI6__halfLj64ELj8EENSt9enable_ifIXsr10test_utilsE35device_test_enabled_for_warp_size_vIXT1_EEEvE4typeEPT_S5_S5_
	.globl	_Z33warp_inclusive_scan_reduce_kernelI6__halfLj64ELj8EENSt9enable_ifIXsr10test_utilsE35device_test_enabled_for_warp_size_vIXT1_EEEvE4typeEPT_S5_S5_
	.p2align	8
	.type	_Z33warp_inclusive_scan_reduce_kernelI6__halfLj64ELj8EENSt9enable_ifIXsr10test_utilsE35device_test_enabled_for_warp_size_vIXT1_EEEvE4typeEPT_S5_S5_,@function
_Z33warp_inclusive_scan_reduce_kernelI6__halfLj64ELj8EENSt9enable_ifIXsr10test_utilsE35device_test_enabled_for_warp_size_vIXT1_EEEvE4typeEPT_S5_S5_: ; @_Z33warp_inclusive_scan_reduce_kernelI6__halfLj64ELj8EENSt9enable_ifIXsr10test_utilsE35device_test_enabled_for_warp_size_vIXT1_EEEvE4typeEPT_S5_S5_
; %bb.0:
	s_load_dwordx4 s[8:11], s[4:5], 0x0
	s_load_dwordx2 s[12:13], s[4:5], 0x10
	v_lshl_or_b32 v1, s6, 6, v0
	v_mov_b32_e32 v2, 0
	v_lshlrev_b64 v[2:3], 1, v[1:2]
	s_waitcnt lgkmcnt(0)
	v_mov_b32_e32 v5, s9
	v_add_co_u32_e32 v4, vcc, s8, v2
	v_addc_co_u32_e32 v5, vcc, v5, v3, vcc
	global_load_ushort v4, v[4:5], off
	v_mbcnt_lo_u32_b32 v5, -1, 0
	s_bitcmp1_b32 s6, 0
	v_mbcnt_hi_u32_b32 v5, -1, v5
	s_cselect_b64 s[6:7], -1, 0
	v_and_b32_e32 v6, 7, v5
	v_lshl_or_b32 v5, v5, 2, 28
	v_cmp_eq_u32_e64 s[4:5], 0, v6
	v_cmp_lt_u32_e64 s[2:3], 1, v6
	v_cmp_lt_u32_e64 s[0:1], 3, v6
	s_and_b64 vcc, exec, s[6:7]
	s_waitcnt vmcnt(0)
	v_and_b32_e32 v7, 0xffff, v4
	s_cbranch_vccz .LBB89_2
; %bb.1:
	s_nop 0
	v_mov_b32_dpp v6, v7 row_shr:1 row_mask:0xf bank_mask:0xf
	v_add_f16_e32 v6, v4, v6
	v_cndmask_b32_e64 v6, v6, v4, s[4:5]
	v_and_b32_e32 v8, 0xffff, v6
	s_nop 1
	v_mov_b32_dpp v8, v8 row_shr:2 row_mask:0xf bank_mask:0xf
	v_add_f16_e32 v8, v6, v8
	v_cndmask_b32_e64 v6, v6, v8, s[2:3]
	v_and_b32_e32 v8, 0xffff, v6
	;; [unrolled: 5-line block ×3, first 2 shown]
	ds_bpermute_b32 v6, v5, v6
	s_cbranch_execz .LBB89_3
	s_branch .LBB89_4
.LBB89_2:
                                        ; implicit-def: $vgpr8
                                        ; implicit-def: $vgpr6
.LBB89_3:
	s_waitcnt lgkmcnt(0)
	s_nop 0
	v_mov_b32_dpp v6, v7 row_shr:1 row_mask:0xf bank_mask:0xf
	v_add_f16_e32 v6, v4, v6
	v_cndmask_b32_e64 v4, v6, v4, s[4:5]
	v_and_b32_e32 v6, 0xffff, v4
	s_nop 1
	v_mov_b32_dpp v6, v6 row_shr:2 row_mask:0xf bank_mask:0xf
	v_add_f16_e32 v6, v4, v6
	v_cndmask_b32_e64 v4, v4, v6, s[2:3]
	v_and_b32_e32 v6, 0xffff, v4
	;; [unrolled: 5-line block ×3, first 2 shown]
	ds_bpermute_b32 v6, v5, v4
.LBB89_4:
	v_mov_b32_e32 v4, s11
	v_add_co_u32_e32 v2, vcc, s10, v2
	v_addc_co_u32_e32 v3, vcc, v4, v3, vcc
	v_and_b32_e32 v0, 7, v0
	v_cmp_eq_u32_e32 vcc, 0, v0
	global_store_short v[2:3], v8, off
	s_and_saveexec_b64 s[0:1], vcc
	s_cbranch_execz .LBB89_6
; %bb.5:
	v_lshrrev_b32_e32 v0, 2, v1
	s_waitcnt lgkmcnt(0)
	global_store_short v0, v6, s[12:13]
.LBB89_6:
	s_endpgm
	.section	.rodata,"a",@progbits
	.p2align	6, 0x0
	.amdhsa_kernel _Z33warp_inclusive_scan_reduce_kernelI6__halfLj64ELj8EENSt9enable_ifIXsr10test_utilsE35device_test_enabled_for_warp_size_vIXT1_EEEvE4typeEPT_S5_S5_
		.amdhsa_group_segment_fixed_size 0
		.amdhsa_private_segment_fixed_size 0
		.amdhsa_kernarg_size 24
		.amdhsa_user_sgpr_count 6
		.amdhsa_user_sgpr_private_segment_buffer 1
		.amdhsa_user_sgpr_dispatch_ptr 0
		.amdhsa_user_sgpr_queue_ptr 0
		.amdhsa_user_sgpr_kernarg_segment_ptr 1
		.amdhsa_user_sgpr_dispatch_id 0
		.amdhsa_user_sgpr_flat_scratch_init 0
		.amdhsa_user_sgpr_private_segment_size 0
		.amdhsa_uses_dynamic_stack 0
		.amdhsa_system_sgpr_private_segment_wavefront_offset 0
		.amdhsa_system_sgpr_workgroup_id_x 1
		.amdhsa_system_sgpr_workgroup_id_y 0
		.amdhsa_system_sgpr_workgroup_id_z 0
		.amdhsa_system_sgpr_workgroup_info 0
		.amdhsa_system_vgpr_workitem_id 0
		.amdhsa_next_free_vgpr 9
		.amdhsa_next_free_sgpr 14
		.amdhsa_reserve_vcc 1
		.amdhsa_reserve_flat_scratch 0
		.amdhsa_float_round_mode_32 0
		.amdhsa_float_round_mode_16_64 0
		.amdhsa_float_denorm_mode_32 3
		.amdhsa_float_denorm_mode_16_64 3
		.amdhsa_dx10_clamp 1
		.amdhsa_ieee_mode 1
		.amdhsa_fp16_overflow 0
		.amdhsa_exception_fp_ieee_invalid_op 0
		.amdhsa_exception_fp_denorm_src 0
		.amdhsa_exception_fp_ieee_div_zero 0
		.amdhsa_exception_fp_ieee_overflow 0
		.amdhsa_exception_fp_ieee_underflow 0
		.amdhsa_exception_fp_ieee_inexact 0
		.amdhsa_exception_int_div_zero 0
	.end_amdhsa_kernel
	.section	.text._Z33warp_inclusive_scan_reduce_kernelI6__halfLj64ELj8EENSt9enable_ifIXsr10test_utilsE35device_test_enabled_for_warp_size_vIXT1_EEEvE4typeEPT_S5_S5_,"axG",@progbits,_Z33warp_inclusive_scan_reduce_kernelI6__halfLj64ELj8EENSt9enable_ifIXsr10test_utilsE35device_test_enabled_for_warp_size_vIXT1_EEEvE4typeEPT_S5_S5_,comdat
.Lfunc_end89:
	.size	_Z33warp_inclusive_scan_reduce_kernelI6__halfLj64ELj8EENSt9enable_ifIXsr10test_utilsE35device_test_enabled_for_warp_size_vIXT1_EEEvE4typeEPT_S5_S5_, .Lfunc_end89-_Z33warp_inclusive_scan_reduce_kernelI6__halfLj64ELj8EENSt9enable_ifIXsr10test_utilsE35device_test_enabled_for_warp_size_vIXT1_EEEvE4typeEPT_S5_S5_
                                        ; -- End function
	.set _Z33warp_inclusive_scan_reduce_kernelI6__halfLj64ELj8EENSt9enable_ifIXsr10test_utilsE35device_test_enabled_for_warp_size_vIXT1_EEEvE4typeEPT_S5_S5_.num_vgpr, 9
	.set _Z33warp_inclusive_scan_reduce_kernelI6__halfLj64ELj8EENSt9enable_ifIXsr10test_utilsE35device_test_enabled_for_warp_size_vIXT1_EEEvE4typeEPT_S5_S5_.num_agpr, 0
	.set _Z33warp_inclusive_scan_reduce_kernelI6__halfLj64ELj8EENSt9enable_ifIXsr10test_utilsE35device_test_enabled_for_warp_size_vIXT1_EEEvE4typeEPT_S5_S5_.numbered_sgpr, 14
	.set _Z33warp_inclusive_scan_reduce_kernelI6__halfLj64ELj8EENSt9enable_ifIXsr10test_utilsE35device_test_enabled_for_warp_size_vIXT1_EEEvE4typeEPT_S5_S5_.num_named_barrier, 0
	.set _Z33warp_inclusive_scan_reduce_kernelI6__halfLj64ELj8EENSt9enable_ifIXsr10test_utilsE35device_test_enabled_for_warp_size_vIXT1_EEEvE4typeEPT_S5_S5_.private_seg_size, 0
	.set _Z33warp_inclusive_scan_reduce_kernelI6__halfLj64ELj8EENSt9enable_ifIXsr10test_utilsE35device_test_enabled_for_warp_size_vIXT1_EEEvE4typeEPT_S5_S5_.uses_vcc, 1
	.set _Z33warp_inclusive_scan_reduce_kernelI6__halfLj64ELj8EENSt9enable_ifIXsr10test_utilsE35device_test_enabled_for_warp_size_vIXT1_EEEvE4typeEPT_S5_S5_.uses_flat_scratch, 0
	.set _Z33warp_inclusive_scan_reduce_kernelI6__halfLj64ELj8EENSt9enable_ifIXsr10test_utilsE35device_test_enabled_for_warp_size_vIXT1_EEEvE4typeEPT_S5_S5_.has_dyn_sized_stack, 0
	.set _Z33warp_inclusive_scan_reduce_kernelI6__halfLj64ELj8EENSt9enable_ifIXsr10test_utilsE35device_test_enabled_for_warp_size_vIXT1_EEEvE4typeEPT_S5_S5_.has_recursion, 0
	.set _Z33warp_inclusive_scan_reduce_kernelI6__halfLj64ELj8EENSt9enable_ifIXsr10test_utilsE35device_test_enabled_for_warp_size_vIXT1_EEEvE4typeEPT_S5_S5_.has_indirect_call, 0
	.section	.AMDGPU.csdata,"",@progbits
; Kernel info:
; codeLenInByte = 416
; TotalNumSgprs: 18
; NumVgprs: 9
; ScratchSize: 0
; MemoryBound: 0
; FloatMode: 240
; IeeeMode: 1
; LDSByteSize: 0 bytes/workgroup (compile time only)
; SGPRBlocks: 2
; VGPRBlocks: 2
; NumSGPRsForWavesPerEU: 18
; NumVGPRsForWavesPerEU: 9
; Occupancy: 10
; WaveLimiterHint : 0
; COMPUTE_PGM_RSRC2:SCRATCH_EN: 0
; COMPUTE_PGM_RSRC2:USER_SGPR: 6
; COMPUTE_PGM_RSRC2:TRAP_HANDLER: 0
; COMPUTE_PGM_RSRC2:TGID_X_EN: 1
; COMPUTE_PGM_RSRC2:TGID_Y_EN: 0
; COMPUTE_PGM_RSRC2:TGID_Z_EN: 0
; COMPUTE_PGM_RSRC2:TIDIG_COMP_CNT: 0
	.section	.text._Z33warp_inclusive_scan_reduce_kernelI6__halfLj32ELj4EENSt9enable_ifIXsr10test_utilsE35device_test_enabled_for_warp_size_vIXT1_EEEvE4typeEPT_S5_S5_,"axG",@progbits,_Z33warp_inclusive_scan_reduce_kernelI6__halfLj32ELj4EENSt9enable_ifIXsr10test_utilsE35device_test_enabled_for_warp_size_vIXT1_EEEvE4typeEPT_S5_S5_,comdat
	.protected	_Z33warp_inclusive_scan_reduce_kernelI6__halfLj32ELj4EENSt9enable_ifIXsr10test_utilsE35device_test_enabled_for_warp_size_vIXT1_EEEvE4typeEPT_S5_S5_ ; -- Begin function _Z33warp_inclusive_scan_reduce_kernelI6__halfLj32ELj4EENSt9enable_ifIXsr10test_utilsE35device_test_enabled_for_warp_size_vIXT1_EEEvE4typeEPT_S5_S5_
	.globl	_Z33warp_inclusive_scan_reduce_kernelI6__halfLj32ELj4EENSt9enable_ifIXsr10test_utilsE35device_test_enabled_for_warp_size_vIXT1_EEEvE4typeEPT_S5_S5_
	.p2align	8
	.type	_Z33warp_inclusive_scan_reduce_kernelI6__halfLj32ELj4EENSt9enable_ifIXsr10test_utilsE35device_test_enabled_for_warp_size_vIXT1_EEEvE4typeEPT_S5_S5_,@function
_Z33warp_inclusive_scan_reduce_kernelI6__halfLj32ELj4EENSt9enable_ifIXsr10test_utilsE35device_test_enabled_for_warp_size_vIXT1_EEEvE4typeEPT_S5_S5_: ; @_Z33warp_inclusive_scan_reduce_kernelI6__halfLj32ELj4EENSt9enable_ifIXsr10test_utilsE35device_test_enabled_for_warp_size_vIXT1_EEEvE4typeEPT_S5_S5_
; %bb.0:
	s_load_dwordx4 s[8:11], s[4:5], 0x0
	s_load_dwordx2 s[12:13], s[4:5], 0x10
	v_lshl_or_b32 v1, s6, 5, v0
	v_mov_b32_e32 v2, 0
	v_lshlrev_b64 v[2:3], 1, v[1:2]
	s_waitcnt lgkmcnt(0)
	v_mov_b32_e32 v5, s9
	v_add_co_u32_e32 v4, vcc, s8, v2
	v_addc_co_u32_e32 v5, vcc, v5, v3, vcc
	global_load_ushort v4, v[4:5], off
	v_mbcnt_lo_u32_b32 v5, -1, 0
	s_bitcmp1_b32 s6, 0
	v_mbcnt_hi_u32_b32 v5, -1, v5
	s_cselect_b64 s[4:5], -1, 0
	v_and_b32_e32 v6, 3, v5
	v_lshl_or_b32 v5, v5, 2, 12
	v_cmp_eq_u32_e64 s[2:3], 0, v6
	v_cmp_lt_u32_e64 s[0:1], 1, v6
	s_and_b64 vcc, exec, s[4:5]
	s_waitcnt vmcnt(0)
	v_and_b32_e32 v8, 0xffff, v4
	s_cbranch_vccz .LBB90_2
; %bb.1:
	s_nop 0
	v_mov_b32_dpp v6, v8 row_shr:1 row_mask:0xf bank_mask:0xf
	v_add_f16_e32 v6, v4, v6
	v_cndmask_b32_e64 v6, v6, v4, s[2:3]
	v_and_b32_e32 v7, 0xffff, v6
	s_nop 1
	v_mov_b32_dpp v7, v7 row_shr:2 row_mask:0xf bank_mask:0xf
	v_add_f16_e32 v7, v6, v7
	v_cndmask_b32_e64 v7, v6, v7, s[0:1]
	v_and_b32_e32 v6, 0xffff, v7
	ds_bpermute_b32 v6, v5, v6
	s_cbranch_execz .LBB90_3
	s_branch .LBB90_4
.LBB90_2:
                                        ; implicit-def: $vgpr7
                                        ; implicit-def: $vgpr6
.LBB90_3:
	s_waitcnt lgkmcnt(0)
	s_nop 0
	v_mov_b32_dpp v6, v8 row_shr:1 row_mask:0xf bank_mask:0xf
	v_add_f16_e32 v6, v4, v6
	v_cndmask_b32_e64 v4, v6, v4, s[2:3]
	v_and_b32_e32 v6, 0xffff, v4
	s_nop 1
	v_mov_b32_dpp v6, v6 row_shr:2 row_mask:0xf bank_mask:0xf
	v_add_f16_e32 v6, v4, v6
	v_cndmask_b32_e64 v7, v4, v6, s[0:1]
	v_and_b32_e32 v4, 0xffff, v7
	ds_bpermute_b32 v6, v5, v4
.LBB90_4:
	v_mov_b32_e32 v4, s11
	v_add_co_u32_e32 v2, vcc, s10, v2
	v_addc_co_u32_e32 v3, vcc, v4, v3, vcc
	v_and_b32_e32 v0, 3, v0
	v_cmp_eq_u32_e32 vcc, 0, v0
	global_store_short v[2:3], v7, off
	s_and_saveexec_b64 s[0:1], vcc
	s_cbranch_execz .LBB90_6
; %bb.5:
	v_lshrrev_b32_e32 v0, 1, v1
	s_waitcnt lgkmcnt(0)
	global_store_short v0, v6, s[12:13]
.LBB90_6:
	s_endpgm
	.section	.rodata,"a",@progbits
	.p2align	6, 0x0
	.amdhsa_kernel _Z33warp_inclusive_scan_reduce_kernelI6__halfLj32ELj4EENSt9enable_ifIXsr10test_utilsE35device_test_enabled_for_warp_size_vIXT1_EEEvE4typeEPT_S5_S5_
		.amdhsa_group_segment_fixed_size 0
		.amdhsa_private_segment_fixed_size 0
		.amdhsa_kernarg_size 24
		.amdhsa_user_sgpr_count 6
		.amdhsa_user_sgpr_private_segment_buffer 1
		.amdhsa_user_sgpr_dispatch_ptr 0
		.amdhsa_user_sgpr_queue_ptr 0
		.amdhsa_user_sgpr_kernarg_segment_ptr 1
		.amdhsa_user_sgpr_dispatch_id 0
		.amdhsa_user_sgpr_flat_scratch_init 0
		.amdhsa_user_sgpr_private_segment_size 0
		.amdhsa_uses_dynamic_stack 0
		.amdhsa_system_sgpr_private_segment_wavefront_offset 0
		.amdhsa_system_sgpr_workgroup_id_x 1
		.amdhsa_system_sgpr_workgroup_id_y 0
		.amdhsa_system_sgpr_workgroup_id_z 0
		.amdhsa_system_sgpr_workgroup_info 0
		.amdhsa_system_vgpr_workitem_id 0
		.amdhsa_next_free_vgpr 9
		.amdhsa_next_free_sgpr 14
		.amdhsa_reserve_vcc 1
		.amdhsa_reserve_flat_scratch 0
		.amdhsa_float_round_mode_32 0
		.amdhsa_float_round_mode_16_64 0
		.amdhsa_float_denorm_mode_32 3
		.amdhsa_float_denorm_mode_16_64 3
		.amdhsa_dx10_clamp 1
		.amdhsa_ieee_mode 1
		.amdhsa_fp16_overflow 0
		.amdhsa_exception_fp_ieee_invalid_op 0
		.amdhsa_exception_fp_denorm_src 0
		.amdhsa_exception_fp_ieee_div_zero 0
		.amdhsa_exception_fp_ieee_overflow 0
		.amdhsa_exception_fp_ieee_underflow 0
		.amdhsa_exception_fp_ieee_inexact 0
		.amdhsa_exception_int_div_zero 0
	.end_amdhsa_kernel
	.section	.text._Z33warp_inclusive_scan_reduce_kernelI6__halfLj32ELj4EENSt9enable_ifIXsr10test_utilsE35device_test_enabled_for_warp_size_vIXT1_EEEvE4typeEPT_S5_S5_,"axG",@progbits,_Z33warp_inclusive_scan_reduce_kernelI6__halfLj32ELj4EENSt9enable_ifIXsr10test_utilsE35device_test_enabled_for_warp_size_vIXT1_EEEvE4typeEPT_S5_S5_,comdat
.Lfunc_end90:
	.size	_Z33warp_inclusive_scan_reduce_kernelI6__halfLj32ELj4EENSt9enable_ifIXsr10test_utilsE35device_test_enabled_for_warp_size_vIXT1_EEEvE4typeEPT_S5_S5_, .Lfunc_end90-_Z33warp_inclusive_scan_reduce_kernelI6__halfLj32ELj4EENSt9enable_ifIXsr10test_utilsE35device_test_enabled_for_warp_size_vIXT1_EEEvE4typeEPT_S5_S5_
                                        ; -- End function
	.set _Z33warp_inclusive_scan_reduce_kernelI6__halfLj32ELj4EENSt9enable_ifIXsr10test_utilsE35device_test_enabled_for_warp_size_vIXT1_EEEvE4typeEPT_S5_S5_.num_vgpr, 9
	.set _Z33warp_inclusive_scan_reduce_kernelI6__halfLj32ELj4EENSt9enable_ifIXsr10test_utilsE35device_test_enabled_for_warp_size_vIXT1_EEEvE4typeEPT_S5_S5_.num_agpr, 0
	.set _Z33warp_inclusive_scan_reduce_kernelI6__halfLj32ELj4EENSt9enable_ifIXsr10test_utilsE35device_test_enabled_for_warp_size_vIXT1_EEEvE4typeEPT_S5_S5_.numbered_sgpr, 14
	.set _Z33warp_inclusive_scan_reduce_kernelI6__halfLj32ELj4EENSt9enable_ifIXsr10test_utilsE35device_test_enabled_for_warp_size_vIXT1_EEEvE4typeEPT_S5_S5_.num_named_barrier, 0
	.set _Z33warp_inclusive_scan_reduce_kernelI6__halfLj32ELj4EENSt9enable_ifIXsr10test_utilsE35device_test_enabled_for_warp_size_vIXT1_EEEvE4typeEPT_S5_S5_.private_seg_size, 0
	.set _Z33warp_inclusive_scan_reduce_kernelI6__halfLj32ELj4EENSt9enable_ifIXsr10test_utilsE35device_test_enabled_for_warp_size_vIXT1_EEEvE4typeEPT_S5_S5_.uses_vcc, 1
	.set _Z33warp_inclusive_scan_reduce_kernelI6__halfLj32ELj4EENSt9enable_ifIXsr10test_utilsE35device_test_enabled_for_warp_size_vIXT1_EEEvE4typeEPT_S5_S5_.uses_flat_scratch, 0
	.set _Z33warp_inclusive_scan_reduce_kernelI6__halfLj32ELj4EENSt9enable_ifIXsr10test_utilsE35device_test_enabled_for_warp_size_vIXT1_EEEvE4typeEPT_S5_S5_.has_dyn_sized_stack, 0
	.set _Z33warp_inclusive_scan_reduce_kernelI6__halfLj32ELj4EENSt9enable_ifIXsr10test_utilsE35device_test_enabled_for_warp_size_vIXT1_EEEvE4typeEPT_S5_S5_.has_recursion, 0
	.set _Z33warp_inclusive_scan_reduce_kernelI6__halfLj32ELj4EENSt9enable_ifIXsr10test_utilsE35device_test_enabled_for_warp_size_vIXT1_EEEvE4typeEPT_S5_S5_.has_indirect_call, 0
	.section	.AMDGPU.csdata,"",@progbits
; Kernel info:
; codeLenInByte = 344
; TotalNumSgprs: 18
; NumVgprs: 9
; ScratchSize: 0
; MemoryBound: 0
; FloatMode: 240
; IeeeMode: 1
; LDSByteSize: 0 bytes/workgroup (compile time only)
; SGPRBlocks: 2
; VGPRBlocks: 2
; NumSGPRsForWavesPerEU: 18
; NumVGPRsForWavesPerEU: 9
; Occupancy: 10
; WaveLimiterHint : 0
; COMPUTE_PGM_RSRC2:SCRATCH_EN: 0
; COMPUTE_PGM_RSRC2:USER_SGPR: 6
; COMPUTE_PGM_RSRC2:TRAP_HANDLER: 0
; COMPUTE_PGM_RSRC2:TGID_X_EN: 1
; COMPUTE_PGM_RSRC2:TGID_Y_EN: 0
; COMPUTE_PGM_RSRC2:TGID_Z_EN: 0
; COMPUTE_PGM_RSRC2:TIDIG_COMP_CNT: 0
	.section	.text._Z33warp_inclusive_scan_reduce_kernelI6__halfLj64ELj4EENSt9enable_ifIXsr10test_utilsE35device_test_enabled_for_warp_size_vIXT1_EEEvE4typeEPT_S5_S5_,"axG",@progbits,_Z33warp_inclusive_scan_reduce_kernelI6__halfLj64ELj4EENSt9enable_ifIXsr10test_utilsE35device_test_enabled_for_warp_size_vIXT1_EEEvE4typeEPT_S5_S5_,comdat
	.protected	_Z33warp_inclusive_scan_reduce_kernelI6__halfLj64ELj4EENSt9enable_ifIXsr10test_utilsE35device_test_enabled_for_warp_size_vIXT1_EEEvE4typeEPT_S5_S5_ ; -- Begin function _Z33warp_inclusive_scan_reduce_kernelI6__halfLj64ELj4EENSt9enable_ifIXsr10test_utilsE35device_test_enabled_for_warp_size_vIXT1_EEEvE4typeEPT_S5_S5_
	.globl	_Z33warp_inclusive_scan_reduce_kernelI6__halfLj64ELj4EENSt9enable_ifIXsr10test_utilsE35device_test_enabled_for_warp_size_vIXT1_EEEvE4typeEPT_S5_S5_
	.p2align	8
	.type	_Z33warp_inclusive_scan_reduce_kernelI6__halfLj64ELj4EENSt9enable_ifIXsr10test_utilsE35device_test_enabled_for_warp_size_vIXT1_EEEvE4typeEPT_S5_S5_,@function
_Z33warp_inclusive_scan_reduce_kernelI6__halfLj64ELj4EENSt9enable_ifIXsr10test_utilsE35device_test_enabled_for_warp_size_vIXT1_EEEvE4typeEPT_S5_S5_: ; @_Z33warp_inclusive_scan_reduce_kernelI6__halfLj64ELj4EENSt9enable_ifIXsr10test_utilsE35device_test_enabled_for_warp_size_vIXT1_EEEvE4typeEPT_S5_S5_
; %bb.0:
	s_load_dwordx4 s[8:11], s[4:5], 0x0
	s_load_dwordx2 s[12:13], s[4:5], 0x10
	v_lshl_or_b32 v1, s6, 6, v0
	v_mov_b32_e32 v2, 0
	v_lshlrev_b64 v[2:3], 1, v[1:2]
	s_waitcnt lgkmcnt(0)
	v_mov_b32_e32 v5, s9
	v_add_co_u32_e32 v4, vcc, s8, v2
	v_addc_co_u32_e32 v5, vcc, v5, v3, vcc
	global_load_ushort v4, v[4:5], off
	v_mbcnt_lo_u32_b32 v5, -1, 0
	s_bitcmp1_b32 s6, 0
	v_mbcnt_hi_u32_b32 v5, -1, v5
	s_cselect_b64 s[4:5], -1, 0
	v_and_b32_e32 v6, 3, v5
	v_lshl_or_b32 v5, v5, 2, 12
	v_cmp_eq_u32_e64 s[2:3], 0, v6
	v_cmp_lt_u32_e64 s[0:1], 1, v6
	s_and_b64 vcc, exec, s[4:5]
	s_waitcnt vmcnt(0)
	v_and_b32_e32 v8, 0xffff, v4
	s_cbranch_vccz .LBB91_2
; %bb.1:
	s_nop 0
	v_mov_b32_dpp v6, v8 row_shr:1 row_mask:0xf bank_mask:0xf
	v_add_f16_e32 v6, v4, v6
	v_cndmask_b32_e64 v6, v6, v4, s[2:3]
	v_and_b32_e32 v7, 0xffff, v6
	s_nop 1
	v_mov_b32_dpp v7, v7 row_shr:2 row_mask:0xf bank_mask:0xf
	v_add_f16_e32 v7, v6, v7
	v_cndmask_b32_e64 v7, v6, v7, s[0:1]
	v_and_b32_e32 v6, 0xffff, v7
	ds_bpermute_b32 v6, v5, v6
	s_cbranch_execz .LBB91_3
	s_branch .LBB91_4
.LBB91_2:
                                        ; implicit-def: $vgpr7
                                        ; implicit-def: $vgpr6
.LBB91_3:
	s_waitcnt lgkmcnt(0)
	s_nop 0
	v_mov_b32_dpp v6, v8 row_shr:1 row_mask:0xf bank_mask:0xf
	v_add_f16_e32 v6, v4, v6
	v_cndmask_b32_e64 v4, v6, v4, s[2:3]
	v_and_b32_e32 v6, 0xffff, v4
	s_nop 1
	v_mov_b32_dpp v6, v6 row_shr:2 row_mask:0xf bank_mask:0xf
	v_add_f16_e32 v6, v4, v6
	v_cndmask_b32_e64 v7, v4, v6, s[0:1]
	v_and_b32_e32 v4, 0xffff, v7
	ds_bpermute_b32 v6, v5, v4
.LBB91_4:
	v_mov_b32_e32 v4, s11
	v_add_co_u32_e32 v2, vcc, s10, v2
	v_addc_co_u32_e32 v3, vcc, v4, v3, vcc
	v_and_b32_e32 v0, 3, v0
	v_cmp_eq_u32_e32 vcc, 0, v0
	global_store_short v[2:3], v7, off
	s_and_saveexec_b64 s[0:1], vcc
	s_cbranch_execz .LBB91_6
; %bb.5:
	v_lshrrev_b32_e32 v0, 1, v1
	s_waitcnt lgkmcnt(0)
	global_store_short v0, v6, s[12:13]
.LBB91_6:
	s_endpgm
	.section	.rodata,"a",@progbits
	.p2align	6, 0x0
	.amdhsa_kernel _Z33warp_inclusive_scan_reduce_kernelI6__halfLj64ELj4EENSt9enable_ifIXsr10test_utilsE35device_test_enabled_for_warp_size_vIXT1_EEEvE4typeEPT_S5_S5_
		.amdhsa_group_segment_fixed_size 0
		.amdhsa_private_segment_fixed_size 0
		.amdhsa_kernarg_size 24
		.amdhsa_user_sgpr_count 6
		.amdhsa_user_sgpr_private_segment_buffer 1
		.amdhsa_user_sgpr_dispatch_ptr 0
		.amdhsa_user_sgpr_queue_ptr 0
		.amdhsa_user_sgpr_kernarg_segment_ptr 1
		.amdhsa_user_sgpr_dispatch_id 0
		.amdhsa_user_sgpr_flat_scratch_init 0
		.amdhsa_user_sgpr_private_segment_size 0
		.amdhsa_uses_dynamic_stack 0
		.amdhsa_system_sgpr_private_segment_wavefront_offset 0
		.amdhsa_system_sgpr_workgroup_id_x 1
		.amdhsa_system_sgpr_workgroup_id_y 0
		.amdhsa_system_sgpr_workgroup_id_z 0
		.amdhsa_system_sgpr_workgroup_info 0
		.amdhsa_system_vgpr_workitem_id 0
		.amdhsa_next_free_vgpr 9
		.amdhsa_next_free_sgpr 14
		.amdhsa_reserve_vcc 1
		.amdhsa_reserve_flat_scratch 0
		.amdhsa_float_round_mode_32 0
		.amdhsa_float_round_mode_16_64 0
		.amdhsa_float_denorm_mode_32 3
		.amdhsa_float_denorm_mode_16_64 3
		.amdhsa_dx10_clamp 1
		.amdhsa_ieee_mode 1
		.amdhsa_fp16_overflow 0
		.amdhsa_exception_fp_ieee_invalid_op 0
		.amdhsa_exception_fp_denorm_src 0
		.amdhsa_exception_fp_ieee_div_zero 0
		.amdhsa_exception_fp_ieee_overflow 0
		.amdhsa_exception_fp_ieee_underflow 0
		.amdhsa_exception_fp_ieee_inexact 0
		.amdhsa_exception_int_div_zero 0
	.end_amdhsa_kernel
	.section	.text._Z33warp_inclusive_scan_reduce_kernelI6__halfLj64ELj4EENSt9enable_ifIXsr10test_utilsE35device_test_enabled_for_warp_size_vIXT1_EEEvE4typeEPT_S5_S5_,"axG",@progbits,_Z33warp_inclusive_scan_reduce_kernelI6__halfLj64ELj4EENSt9enable_ifIXsr10test_utilsE35device_test_enabled_for_warp_size_vIXT1_EEEvE4typeEPT_S5_S5_,comdat
.Lfunc_end91:
	.size	_Z33warp_inclusive_scan_reduce_kernelI6__halfLj64ELj4EENSt9enable_ifIXsr10test_utilsE35device_test_enabled_for_warp_size_vIXT1_EEEvE4typeEPT_S5_S5_, .Lfunc_end91-_Z33warp_inclusive_scan_reduce_kernelI6__halfLj64ELj4EENSt9enable_ifIXsr10test_utilsE35device_test_enabled_for_warp_size_vIXT1_EEEvE4typeEPT_S5_S5_
                                        ; -- End function
	.set _Z33warp_inclusive_scan_reduce_kernelI6__halfLj64ELj4EENSt9enable_ifIXsr10test_utilsE35device_test_enabled_for_warp_size_vIXT1_EEEvE4typeEPT_S5_S5_.num_vgpr, 9
	.set _Z33warp_inclusive_scan_reduce_kernelI6__halfLj64ELj4EENSt9enable_ifIXsr10test_utilsE35device_test_enabled_for_warp_size_vIXT1_EEEvE4typeEPT_S5_S5_.num_agpr, 0
	.set _Z33warp_inclusive_scan_reduce_kernelI6__halfLj64ELj4EENSt9enable_ifIXsr10test_utilsE35device_test_enabled_for_warp_size_vIXT1_EEEvE4typeEPT_S5_S5_.numbered_sgpr, 14
	.set _Z33warp_inclusive_scan_reduce_kernelI6__halfLj64ELj4EENSt9enable_ifIXsr10test_utilsE35device_test_enabled_for_warp_size_vIXT1_EEEvE4typeEPT_S5_S5_.num_named_barrier, 0
	.set _Z33warp_inclusive_scan_reduce_kernelI6__halfLj64ELj4EENSt9enable_ifIXsr10test_utilsE35device_test_enabled_for_warp_size_vIXT1_EEEvE4typeEPT_S5_S5_.private_seg_size, 0
	.set _Z33warp_inclusive_scan_reduce_kernelI6__halfLj64ELj4EENSt9enable_ifIXsr10test_utilsE35device_test_enabled_for_warp_size_vIXT1_EEEvE4typeEPT_S5_S5_.uses_vcc, 1
	.set _Z33warp_inclusive_scan_reduce_kernelI6__halfLj64ELj4EENSt9enable_ifIXsr10test_utilsE35device_test_enabled_for_warp_size_vIXT1_EEEvE4typeEPT_S5_S5_.uses_flat_scratch, 0
	.set _Z33warp_inclusive_scan_reduce_kernelI6__halfLj64ELj4EENSt9enable_ifIXsr10test_utilsE35device_test_enabled_for_warp_size_vIXT1_EEEvE4typeEPT_S5_S5_.has_dyn_sized_stack, 0
	.set _Z33warp_inclusive_scan_reduce_kernelI6__halfLj64ELj4EENSt9enable_ifIXsr10test_utilsE35device_test_enabled_for_warp_size_vIXT1_EEEvE4typeEPT_S5_S5_.has_recursion, 0
	.set _Z33warp_inclusive_scan_reduce_kernelI6__halfLj64ELj4EENSt9enable_ifIXsr10test_utilsE35device_test_enabled_for_warp_size_vIXT1_EEEvE4typeEPT_S5_S5_.has_indirect_call, 0
	.section	.AMDGPU.csdata,"",@progbits
; Kernel info:
; codeLenInByte = 344
; TotalNumSgprs: 18
; NumVgprs: 9
; ScratchSize: 0
; MemoryBound: 0
; FloatMode: 240
; IeeeMode: 1
; LDSByteSize: 0 bytes/workgroup (compile time only)
; SGPRBlocks: 2
; VGPRBlocks: 2
; NumSGPRsForWavesPerEU: 18
; NumVGPRsForWavesPerEU: 9
; Occupancy: 10
; WaveLimiterHint : 0
; COMPUTE_PGM_RSRC2:SCRATCH_EN: 0
; COMPUTE_PGM_RSRC2:USER_SGPR: 6
; COMPUTE_PGM_RSRC2:TRAP_HANDLER: 0
; COMPUTE_PGM_RSRC2:TGID_X_EN: 1
; COMPUTE_PGM_RSRC2:TGID_Y_EN: 0
; COMPUTE_PGM_RSRC2:TGID_Z_EN: 0
; COMPUTE_PGM_RSRC2:TIDIG_COMP_CNT: 0
	.section	.text._Z33warp_inclusive_scan_reduce_kernelI6__halfLj32ELj2EENSt9enable_ifIXsr10test_utilsE35device_test_enabled_for_warp_size_vIXT1_EEEvE4typeEPT_S5_S5_,"axG",@progbits,_Z33warp_inclusive_scan_reduce_kernelI6__halfLj32ELj2EENSt9enable_ifIXsr10test_utilsE35device_test_enabled_for_warp_size_vIXT1_EEEvE4typeEPT_S5_S5_,comdat
	.protected	_Z33warp_inclusive_scan_reduce_kernelI6__halfLj32ELj2EENSt9enable_ifIXsr10test_utilsE35device_test_enabled_for_warp_size_vIXT1_EEEvE4typeEPT_S5_S5_ ; -- Begin function _Z33warp_inclusive_scan_reduce_kernelI6__halfLj32ELj2EENSt9enable_ifIXsr10test_utilsE35device_test_enabled_for_warp_size_vIXT1_EEEvE4typeEPT_S5_S5_
	.globl	_Z33warp_inclusive_scan_reduce_kernelI6__halfLj32ELj2EENSt9enable_ifIXsr10test_utilsE35device_test_enabled_for_warp_size_vIXT1_EEEvE4typeEPT_S5_S5_
	.p2align	8
	.type	_Z33warp_inclusive_scan_reduce_kernelI6__halfLj32ELj2EENSt9enable_ifIXsr10test_utilsE35device_test_enabled_for_warp_size_vIXT1_EEEvE4typeEPT_S5_S5_,@function
_Z33warp_inclusive_scan_reduce_kernelI6__halfLj32ELj2EENSt9enable_ifIXsr10test_utilsE35device_test_enabled_for_warp_size_vIXT1_EEEvE4typeEPT_S5_S5_: ; @_Z33warp_inclusive_scan_reduce_kernelI6__halfLj32ELj2EENSt9enable_ifIXsr10test_utilsE35device_test_enabled_for_warp_size_vIXT1_EEEvE4typeEPT_S5_S5_
; %bb.0:
	s_load_dwordx4 s[0:3], s[4:5], 0x0
	s_load_dwordx2 s[8:9], s[4:5], 0x10
	v_lshl_or_b32 v1, s6, 5, v0
	v_mov_b32_e32 v2, 0
	v_lshlrev_b64 v[2:3], 1, v[1:2]
	s_waitcnt lgkmcnt(0)
	v_mov_b32_e32 v5, s1
	v_add_co_u32_e32 v4, vcc, s0, v2
	v_addc_co_u32_e32 v5, vcc, v5, v3, vcc
	global_load_ushort v5, v[4:5], off
	v_mbcnt_lo_u32_b32 v4, -1, 0
	s_bitcmp1_b32 s6, 0
	v_mbcnt_hi_u32_b32 v4, -1, v4
	s_cselect_b64 s[4:5], -1, 0
	v_and_b32_e32 v7, 1, v4
	v_lshl_or_b32 v6, v4, 2, 4
	v_cmp_eq_u32_e64 s[0:1], 0, v7
	s_and_b64 vcc, exec, s[4:5]
	s_waitcnt vmcnt(0)
	v_and_b32_e32 v8, 0xffff, v5
	s_cbranch_vccz .LBB92_2
; %bb.1:
	s_nop 0
	v_mov_b32_dpp v4, v8 row_shr:1 row_mask:0xf bank_mask:0xf
	v_add_f16_e32 v4, v5, v4
	v_cndmask_b32_e64 v7, v4, v5, s[0:1]
	v_and_b32_e32 v4, 0xffff, v7
	ds_bpermute_b32 v4, v6, v4
	s_cbranch_execz .LBB92_3
	s_branch .LBB92_4
.LBB92_2:
                                        ; implicit-def: $vgpr7
                                        ; implicit-def: $vgpr4
.LBB92_3:
	s_waitcnt lgkmcnt(0)
	s_nop 0
	v_mov_b32_dpp v4, v8 row_shr:1 row_mask:0xf bank_mask:0xf
	v_add_f16_e32 v4, v5, v4
	v_cndmask_b32_e64 v7, v4, v5, s[0:1]
	v_and_b32_e32 v4, 0xffff, v7
	ds_bpermute_b32 v4, v6, v4
.LBB92_4:
	v_mov_b32_e32 v5, s3
	v_add_co_u32_e32 v2, vcc, s2, v2
	v_addc_co_u32_e32 v3, vcc, v5, v3, vcc
	v_and_b32_e32 v0, 1, v0
	v_cmp_eq_u32_e32 vcc, 0, v0
	global_store_short v[2:3], v7, off
	s_and_saveexec_b64 s[0:1], vcc
	s_cbranch_execz .LBB92_6
; %bb.5:
	v_mov_b32_e32 v2, s9
	v_add_co_u32_e32 v0, vcc, s8, v1
	v_addc_co_u32_e32 v1, vcc, 0, v2, vcc
	s_waitcnt lgkmcnt(0)
	global_store_short v[0:1], v4, off
.LBB92_6:
	s_endpgm
	.section	.rodata,"a",@progbits
	.p2align	6, 0x0
	.amdhsa_kernel _Z33warp_inclusive_scan_reduce_kernelI6__halfLj32ELj2EENSt9enable_ifIXsr10test_utilsE35device_test_enabled_for_warp_size_vIXT1_EEEvE4typeEPT_S5_S5_
		.amdhsa_group_segment_fixed_size 0
		.amdhsa_private_segment_fixed_size 0
		.amdhsa_kernarg_size 24
		.amdhsa_user_sgpr_count 6
		.amdhsa_user_sgpr_private_segment_buffer 1
		.amdhsa_user_sgpr_dispatch_ptr 0
		.amdhsa_user_sgpr_queue_ptr 0
		.amdhsa_user_sgpr_kernarg_segment_ptr 1
		.amdhsa_user_sgpr_dispatch_id 0
		.amdhsa_user_sgpr_flat_scratch_init 0
		.amdhsa_user_sgpr_private_segment_size 0
		.amdhsa_uses_dynamic_stack 0
		.amdhsa_system_sgpr_private_segment_wavefront_offset 0
		.amdhsa_system_sgpr_workgroup_id_x 1
		.amdhsa_system_sgpr_workgroup_id_y 0
		.amdhsa_system_sgpr_workgroup_id_z 0
		.amdhsa_system_sgpr_workgroup_info 0
		.amdhsa_system_vgpr_workitem_id 0
		.amdhsa_next_free_vgpr 9
		.amdhsa_next_free_sgpr 10
		.amdhsa_reserve_vcc 1
		.amdhsa_reserve_flat_scratch 0
		.amdhsa_float_round_mode_32 0
		.amdhsa_float_round_mode_16_64 0
		.amdhsa_float_denorm_mode_32 3
		.amdhsa_float_denorm_mode_16_64 3
		.amdhsa_dx10_clamp 1
		.amdhsa_ieee_mode 1
		.amdhsa_fp16_overflow 0
		.amdhsa_exception_fp_ieee_invalid_op 0
		.amdhsa_exception_fp_denorm_src 0
		.amdhsa_exception_fp_ieee_div_zero 0
		.amdhsa_exception_fp_ieee_overflow 0
		.amdhsa_exception_fp_ieee_underflow 0
		.amdhsa_exception_fp_ieee_inexact 0
		.amdhsa_exception_int_div_zero 0
	.end_amdhsa_kernel
	.section	.text._Z33warp_inclusive_scan_reduce_kernelI6__halfLj32ELj2EENSt9enable_ifIXsr10test_utilsE35device_test_enabled_for_warp_size_vIXT1_EEEvE4typeEPT_S5_S5_,"axG",@progbits,_Z33warp_inclusive_scan_reduce_kernelI6__halfLj32ELj2EENSt9enable_ifIXsr10test_utilsE35device_test_enabled_for_warp_size_vIXT1_EEEvE4typeEPT_S5_S5_,comdat
.Lfunc_end92:
	.size	_Z33warp_inclusive_scan_reduce_kernelI6__halfLj32ELj2EENSt9enable_ifIXsr10test_utilsE35device_test_enabled_for_warp_size_vIXT1_EEEvE4typeEPT_S5_S5_, .Lfunc_end92-_Z33warp_inclusive_scan_reduce_kernelI6__halfLj32ELj2EENSt9enable_ifIXsr10test_utilsE35device_test_enabled_for_warp_size_vIXT1_EEEvE4typeEPT_S5_S5_
                                        ; -- End function
	.set _Z33warp_inclusive_scan_reduce_kernelI6__halfLj32ELj2EENSt9enable_ifIXsr10test_utilsE35device_test_enabled_for_warp_size_vIXT1_EEEvE4typeEPT_S5_S5_.num_vgpr, 9
	.set _Z33warp_inclusive_scan_reduce_kernelI6__halfLj32ELj2EENSt9enable_ifIXsr10test_utilsE35device_test_enabled_for_warp_size_vIXT1_EEEvE4typeEPT_S5_S5_.num_agpr, 0
	.set _Z33warp_inclusive_scan_reduce_kernelI6__halfLj32ELj2EENSt9enable_ifIXsr10test_utilsE35device_test_enabled_for_warp_size_vIXT1_EEEvE4typeEPT_S5_S5_.numbered_sgpr, 10
	.set _Z33warp_inclusive_scan_reduce_kernelI6__halfLj32ELj2EENSt9enable_ifIXsr10test_utilsE35device_test_enabled_for_warp_size_vIXT1_EEEvE4typeEPT_S5_S5_.num_named_barrier, 0
	.set _Z33warp_inclusive_scan_reduce_kernelI6__halfLj32ELj2EENSt9enable_ifIXsr10test_utilsE35device_test_enabled_for_warp_size_vIXT1_EEEvE4typeEPT_S5_S5_.private_seg_size, 0
	.set _Z33warp_inclusive_scan_reduce_kernelI6__halfLj32ELj2EENSt9enable_ifIXsr10test_utilsE35device_test_enabled_for_warp_size_vIXT1_EEEvE4typeEPT_S5_S5_.uses_vcc, 1
	.set _Z33warp_inclusive_scan_reduce_kernelI6__halfLj32ELj2EENSt9enable_ifIXsr10test_utilsE35device_test_enabled_for_warp_size_vIXT1_EEEvE4typeEPT_S5_S5_.uses_flat_scratch, 0
	.set _Z33warp_inclusive_scan_reduce_kernelI6__halfLj32ELj2EENSt9enable_ifIXsr10test_utilsE35device_test_enabled_for_warp_size_vIXT1_EEEvE4typeEPT_S5_S5_.has_dyn_sized_stack, 0
	.set _Z33warp_inclusive_scan_reduce_kernelI6__halfLj32ELj2EENSt9enable_ifIXsr10test_utilsE35device_test_enabled_for_warp_size_vIXT1_EEEvE4typeEPT_S5_S5_.has_recursion, 0
	.set _Z33warp_inclusive_scan_reduce_kernelI6__halfLj32ELj2EENSt9enable_ifIXsr10test_utilsE35device_test_enabled_for_warp_size_vIXT1_EEEvE4typeEPT_S5_S5_.has_indirect_call, 0
	.section	.AMDGPU.csdata,"",@progbits
; Kernel info:
; codeLenInByte = 280
; TotalNumSgprs: 14
; NumVgprs: 9
; ScratchSize: 0
; MemoryBound: 0
; FloatMode: 240
; IeeeMode: 1
; LDSByteSize: 0 bytes/workgroup (compile time only)
; SGPRBlocks: 1
; VGPRBlocks: 2
; NumSGPRsForWavesPerEU: 14
; NumVGPRsForWavesPerEU: 9
; Occupancy: 10
; WaveLimiterHint : 0
; COMPUTE_PGM_RSRC2:SCRATCH_EN: 0
; COMPUTE_PGM_RSRC2:USER_SGPR: 6
; COMPUTE_PGM_RSRC2:TRAP_HANDLER: 0
; COMPUTE_PGM_RSRC2:TGID_X_EN: 1
; COMPUTE_PGM_RSRC2:TGID_Y_EN: 0
; COMPUTE_PGM_RSRC2:TGID_Z_EN: 0
; COMPUTE_PGM_RSRC2:TIDIG_COMP_CNT: 0
	.section	.text._Z33warp_inclusive_scan_reduce_kernelI6__halfLj64ELj2EENSt9enable_ifIXsr10test_utilsE35device_test_enabled_for_warp_size_vIXT1_EEEvE4typeEPT_S5_S5_,"axG",@progbits,_Z33warp_inclusive_scan_reduce_kernelI6__halfLj64ELj2EENSt9enable_ifIXsr10test_utilsE35device_test_enabled_for_warp_size_vIXT1_EEEvE4typeEPT_S5_S5_,comdat
	.protected	_Z33warp_inclusive_scan_reduce_kernelI6__halfLj64ELj2EENSt9enable_ifIXsr10test_utilsE35device_test_enabled_for_warp_size_vIXT1_EEEvE4typeEPT_S5_S5_ ; -- Begin function _Z33warp_inclusive_scan_reduce_kernelI6__halfLj64ELj2EENSt9enable_ifIXsr10test_utilsE35device_test_enabled_for_warp_size_vIXT1_EEEvE4typeEPT_S5_S5_
	.globl	_Z33warp_inclusive_scan_reduce_kernelI6__halfLj64ELj2EENSt9enable_ifIXsr10test_utilsE35device_test_enabled_for_warp_size_vIXT1_EEEvE4typeEPT_S5_S5_
	.p2align	8
	.type	_Z33warp_inclusive_scan_reduce_kernelI6__halfLj64ELj2EENSt9enable_ifIXsr10test_utilsE35device_test_enabled_for_warp_size_vIXT1_EEEvE4typeEPT_S5_S5_,@function
_Z33warp_inclusive_scan_reduce_kernelI6__halfLj64ELj2EENSt9enable_ifIXsr10test_utilsE35device_test_enabled_for_warp_size_vIXT1_EEEvE4typeEPT_S5_S5_: ; @_Z33warp_inclusive_scan_reduce_kernelI6__halfLj64ELj2EENSt9enable_ifIXsr10test_utilsE35device_test_enabled_for_warp_size_vIXT1_EEEvE4typeEPT_S5_S5_
; %bb.0:
	s_load_dwordx4 s[0:3], s[4:5], 0x0
	s_load_dwordx2 s[8:9], s[4:5], 0x10
	v_lshl_or_b32 v1, s6, 6, v0
	v_mov_b32_e32 v2, 0
	v_lshlrev_b64 v[2:3], 1, v[1:2]
	s_waitcnt lgkmcnt(0)
	v_mov_b32_e32 v5, s1
	v_add_co_u32_e32 v4, vcc, s0, v2
	v_addc_co_u32_e32 v5, vcc, v5, v3, vcc
	global_load_ushort v5, v[4:5], off
	v_mbcnt_lo_u32_b32 v4, -1, 0
	s_bitcmp1_b32 s6, 0
	v_mbcnt_hi_u32_b32 v4, -1, v4
	s_cselect_b64 s[4:5], -1, 0
	v_and_b32_e32 v7, 1, v4
	v_lshl_or_b32 v6, v4, 2, 4
	v_cmp_eq_u32_e64 s[0:1], 0, v7
	s_and_b64 vcc, exec, s[4:5]
	s_waitcnt vmcnt(0)
	v_and_b32_e32 v8, 0xffff, v5
	s_cbranch_vccz .LBB93_2
; %bb.1:
	s_nop 0
	v_mov_b32_dpp v4, v8 row_shr:1 row_mask:0xf bank_mask:0xf
	v_add_f16_e32 v4, v5, v4
	v_cndmask_b32_e64 v7, v4, v5, s[0:1]
	v_and_b32_e32 v4, 0xffff, v7
	ds_bpermute_b32 v4, v6, v4
	s_cbranch_execz .LBB93_3
	s_branch .LBB93_4
.LBB93_2:
                                        ; implicit-def: $vgpr7
                                        ; implicit-def: $vgpr4
.LBB93_3:
	s_waitcnt lgkmcnt(0)
	s_nop 0
	v_mov_b32_dpp v4, v8 row_shr:1 row_mask:0xf bank_mask:0xf
	v_add_f16_e32 v4, v5, v4
	v_cndmask_b32_e64 v7, v4, v5, s[0:1]
	v_and_b32_e32 v4, 0xffff, v7
	ds_bpermute_b32 v4, v6, v4
.LBB93_4:
	v_mov_b32_e32 v5, s3
	v_add_co_u32_e32 v2, vcc, s2, v2
	v_addc_co_u32_e32 v3, vcc, v5, v3, vcc
	v_and_b32_e32 v0, 1, v0
	v_cmp_eq_u32_e32 vcc, 0, v0
	global_store_short v[2:3], v7, off
	s_and_saveexec_b64 s[0:1], vcc
	s_cbranch_execz .LBB93_6
; %bb.5:
	v_mov_b32_e32 v2, s9
	v_add_co_u32_e32 v0, vcc, s8, v1
	v_addc_co_u32_e32 v1, vcc, 0, v2, vcc
	s_waitcnt lgkmcnt(0)
	global_store_short v[0:1], v4, off
.LBB93_6:
	s_endpgm
	.section	.rodata,"a",@progbits
	.p2align	6, 0x0
	.amdhsa_kernel _Z33warp_inclusive_scan_reduce_kernelI6__halfLj64ELj2EENSt9enable_ifIXsr10test_utilsE35device_test_enabled_for_warp_size_vIXT1_EEEvE4typeEPT_S5_S5_
		.amdhsa_group_segment_fixed_size 0
		.amdhsa_private_segment_fixed_size 0
		.amdhsa_kernarg_size 24
		.amdhsa_user_sgpr_count 6
		.amdhsa_user_sgpr_private_segment_buffer 1
		.amdhsa_user_sgpr_dispatch_ptr 0
		.amdhsa_user_sgpr_queue_ptr 0
		.amdhsa_user_sgpr_kernarg_segment_ptr 1
		.amdhsa_user_sgpr_dispatch_id 0
		.amdhsa_user_sgpr_flat_scratch_init 0
		.amdhsa_user_sgpr_private_segment_size 0
		.amdhsa_uses_dynamic_stack 0
		.amdhsa_system_sgpr_private_segment_wavefront_offset 0
		.amdhsa_system_sgpr_workgroup_id_x 1
		.amdhsa_system_sgpr_workgroup_id_y 0
		.amdhsa_system_sgpr_workgroup_id_z 0
		.amdhsa_system_sgpr_workgroup_info 0
		.amdhsa_system_vgpr_workitem_id 0
		.amdhsa_next_free_vgpr 9
		.amdhsa_next_free_sgpr 10
		.amdhsa_reserve_vcc 1
		.amdhsa_reserve_flat_scratch 0
		.amdhsa_float_round_mode_32 0
		.amdhsa_float_round_mode_16_64 0
		.amdhsa_float_denorm_mode_32 3
		.amdhsa_float_denorm_mode_16_64 3
		.amdhsa_dx10_clamp 1
		.amdhsa_ieee_mode 1
		.amdhsa_fp16_overflow 0
		.amdhsa_exception_fp_ieee_invalid_op 0
		.amdhsa_exception_fp_denorm_src 0
		.amdhsa_exception_fp_ieee_div_zero 0
		.amdhsa_exception_fp_ieee_overflow 0
		.amdhsa_exception_fp_ieee_underflow 0
		.amdhsa_exception_fp_ieee_inexact 0
		.amdhsa_exception_int_div_zero 0
	.end_amdhsa_kernel
	.section	.text._Z33warp_inclusive_scan_reduce_kernelI6__halfLj64ELj2EENSt9enable_ifIXsr10test_utilsE35device_test_enabled_for_warp_size_vIXT1_EEEvE4typeEPT_S5_S5_,"axG",@progbits,_Z33warp_inclusive_scan_reduce_kernelI6__halfLj64ELj2EENSt9enable_ifIXsr10test_utilsE35device_test_enabled_for_warp_size_vIXT1_EEEvE4typeEPT_S5_S5_,comdat
.Lfunc_end93:
	.size	_Z33warp_inclusive_scan_reduce_kernelI6__halfLj64ELj2EENSt9enable_ifIXsr10test_utilsE35device_test_enabled_for_warp_size_vIXT1_EEEvE4typeEPT_S5_S5_, .Lfunc_end93-_Z33warp_inclusive_scan_reduce_kernelI6__halfLj64ELj2EENSt9enable_ifIXsr10test_utilsE35device_test_enabled_for_warp_size_vIXT1_EEEvE4typeEPT_S5_S5_
                                        ; -- End function
	.set _Z33warp_inclusive_scan_reduce_kernelI6__halfLj64ELj2EENSt9enable_ifIXsr10test_utilsE35device_test_enabled_for_warp_size_vIXT1_EEEvE4typeEPT_S5_S5_.num_vgpr, 9
	.set _Z33warp_inclusive_scan_reduce_kernelI6__halfLj64ELj2EENSt9enable_ifIXsr10test_utilsE35device_test_enabled_for_warp_size_vIXT1_EEEvE4typeEPT_S5_S5_.num_agpr, 0
	.set _Z33warp_inclusive_scan_reduce_kernelI6__halfLj64ELj2EENSt9enable_ifIXsr10test_utilsE35device_test_enabled_for_warp_size_vIXT1_EEEvE4typeEPT_S5_S5_.numbered_sgpr, 10
	.set _Z33warp_inclusive_scan_reduce_kernelI6__halfLj64ELj2EENSt9enable_ifIXsr10test_utilsE35device_test_enabled_for_warp_size_vIXT1_EEEvE4typeEPT_S5_S5_.num_named_barrier, 0
	.set _Z33warp_inclusive_scan_reduce_kernelI6__halfLj64ELj2EENSt9enable_ifIXsr10test_utilsE35device_test_enabled_for_warp_size_vIXT1_EEEvE4typeEPT_S5_S5_.private_seg_size, 0
	.set _Z33warp_inclusive_scan_reduce_kernelI6__halfLj64ELj2EENSt9enable_ifIXsr10test_utilsE35device_test_enabled_for_warp_size_vIXT1_EEEvE4typeEPT_S5_S5_.uses_vcc, 1
	.set _Z33warp_inclusive_scan_reduce_kernelI6__halfLj64ELj2EENSt9enable_ifIXsr10test_utilsE35device_test_enabled_for_warp_size_vIXT1_EEEvE4typeEPT_S5_S5_.uses_flat_scratch, 0
	.set _Z33warp_inclusive_scan_reduce_kernelI6__halfLj64ELj2EENSt9enable_ifIXsr10test_utilsE35device_test_enabled_for_warp_size_vIXT1_EEEvE4typeEPT_S5_S5_.has_dyn_sized_stack, 0
	.set _Z33warp_inclusive_scan_reduce_kernelI6__halfLj64ELj2EENSt9enable_ifIXsr10test_utilsE35device_test_enabled_for_warp_size_vIXT1_EEEvE4typeEPT_S5_S5_.has_recursion, 0
	.set _Z33warp_inclusive_scan_reduce_kernelI6__halfLj64ELj2EENSt9enable_ifIXsr10test_utilsE35device_test_enabled_for_warp_size_vIXT1_EEEvE4typeEPT_S5_S5_.has_indirect_call, 0
	.section	.AMDGPU.csdata,"",@progbits
; Kernel info:
; codeLenInByte = 280
; TotalNumSgprs: 14
; NumVgprs: 9
; ScratchSize: 0
; MemoryBound: 0
; FloatMode: 240
; IeeeMode: 1
; LDSByteSize: 0 bytes/workgroup (compile time only)
; SGPRBlocks: 1
; VGPRBlocks: 2
; NumSGPRsForWavesPerEU: 14
; NumVGPRsForWavesPerEU: 9
; Occupancy: 10
; WaveLimiterHint : 0
; COMPUTE_PGM_RSRC2:SCRATCH_EN: 0
; COMPUTE_PGM_RSRC2:USER_SGPR: 6
; COMPUTE_PGM_RSRC2:TRAP_HANDLER: 0
; COMPUTE_PGM_RSRC2:TGID_X_EN: 1
; COMPUTE_PGM_RSRC2:TGID_Y_EN: 0
; COMPUTE_PGM_RSRC2:TGID_Z_EN: 0
; COMPUTE_PGM_RSRC2:TIDIG_COMP_CNT: 0
	.section	.text._Z33warp_inclusive_scan_reduce_kernelIfLj256ELj64EENSt9enable_ifIXsr10test_utilsE35device_test_enabled_for_warp_size_vIXT1_EEEvE4typeEPT_S4_S4_,"axG",@progbits,_Z33warp_inclusive_scan_reduce_kernelIfLj256ELj64EENSt9enable_ifIXsr10test_utilsE35device_test_enabled_for_warp_size_vIXT1_EEEvE4typeEPT_S4_S4_,comdat
	.protected	_Z33warp_inclusive_scan_reduce_kernelIfLj256ELj64EENSt9enable_ifIXsr10test_utilsE35device_test_enabled_for_warp_size_vIXT1_EEEvE4typeEPT_S4_S4_ ; -- Begin function _Z33warp_inclusive_scan_reduce_kernelIfLj256ELj64EENSt9enable_ifIXsr10test_utilsE35device_test_enabled_for_warp_size_vIXT1_EEEvE4typeEPT_S4_S4_
	.globl	_Z33warp_inclusive_scan_reduce_kernelIfLj256ELj64EENSt9enable_ifIXsr10test_utilsE35device_test_enabled_for_warp_size_vIXT1_EEEvE4typeEPT_S4_S4_
	.p2align	8
	.type	_Z33warp_inclusive_scan_reduce_kernelIfLj256ELj64EENSt9enable_ifIXsr10test_utilsE35device_test_enabled_for_warp_size_vIXT1_EEEvE4typeEPT_S4_S4_,@function
_Z33warp_inclusive_scan_reduce_kernelIfLj256ELj64EENSt9enable_ifIXsr10test_utilsE35device_test_enabled_for_warp_size_vIXT1_EEEvE4typeEPT_S4_S4_: ; @_Z33warp_inclusive_scan_reduce_kernelIfLj256ELj64EENSt9enable_ifIXsr10test_utilsE35device_test_enabled_for_warp_size_vIXT1_EEEvE4typeEPT_S4_S4_
; %bb.0:
	s_load_dwordx4 s[8:11], s[4:5], 0x0
	s_load_dwordx2 s[12:13], s[4:5], 0x10
	v_lshl_or_b32 v1, s6, 8, v0
	v_mov_b32_e32 v2, 0
	v_lshlrev_b64 v[2:3], 2, v[1:2]
	s_waitcnt lgkmcnt(0)
	v_mov_b32_e32 v5, s9
	v_add_co_u32_e32 v4, vcc, s8, v2
	v_addc_co_u32_e32 v5, vcc, v5, v3, vcc
	global_load_dword v6, v[4:5], off
	v_mbcnt_lo_u32_b32 v4, -1, 0
	s_bitcmp1_b32 s6, 0
	v_mbcnt_hi_u32_b32 v4, -1, v4
	s_cselect_b64 s[8:9], -1, 0
	v_and_b32_e32 v5, 15, v4
	v_cmp_eq_u32_e64 s[6:7], 0, v5
	v_cmp_lt_u32_e64 s[4:5], 1, v5
	v_cmp_lt_u32_e64 s[2:3], 3, v5
	;; [unrolled: 1-line block ×3, first 2 shown]
	s_and_b64 vcc, exec, s[8:9]
	v_and_b32_e32 v5, 16, v4
	v_cmp_lt_u32_e64 s[8:9], 31, v4
	s_cbranch_vccz .LBB94_2
; %bb.1:
	s_waitcnt vmcnt(0)
	v_mov_b32_dpp v7, v6 row_shr:1 row_mask:0xf bank_mask:0xf
	v_add_f32_e32 v7, v6, v7
	v_cndmask_b32_e64 v7, v7, v6, s[6:7]
	v_cmp_eq_u32_e32 vcc, 0, v5
	s_nop 0
	v_mov_b32_dpp v8, v7 row_shr:2 row_mask:0xf bank_mask:0xf
	v_add_f32_e32 v8, v7, v8
	v_cndmask_b32_e64 v7, v7, v8, s[4:5]
	s_nop 1
	v_mov_b32_dpp v8, v7 row_shr:4 row_mask:0xf bank_mask:0xf
	v_add_f32_e32 v8, v7, v8
	v_cndmask_b32_e64 v7, v7, v8, s[2:3]
	;; [unrolled: 4-line block ×3, first 2 shown]
	s_nop 1
	v_mov_b32_dpp v8, v7 row_bcast:15 row_mask:0xf bank_mask:0xf
	v_add_f32_e32 v8, v7, v8
	v_cndmask_b32_e32 v7, v8, v7, vcc
	s_nop 1
	v_mov_b32_dpp v8, v7 row_bcast:31 row_mask:0xf bank_mask:0xf
	v_add_f32_e32 v8, v7, v8
	v_cndmask_b32_e64 v8, v7, v8, s[8:9]
	v_bfrev_b32_e32 v7, 0.5
	v_lshl_or_b32 v7, v4, 2, v7
	ds_bpermute_b32 v7, v7, v8
	s_cbranch_execz .LBB94_3
	s_branch .LBB94_4
.LBB94_2:
                                        ; implicit-def: $vgpr8
                                        ; implicit-def: $vgpr7
.LBB94_3:
	s_waitcnt vmcnt(0) lgkmcnt(0)
	s_nop 0
	v_mov_b32_dpp v7, v6 row_shr:1 row_mask:0xf bank_mask:0xf
	v_add_f32_e32 v7, v6, v7
	v_cndmask_b32_e64 v6, v7, v6, s[6:7]
	v_cmp_eq_u32_e32 vcc, 0, v5
	s_nop 0
	v_mov_b32_dpp v7, v6 row_shr:2 row_mask:0xf bank_mask:0xf
	v_add_f32_e32 v7, v6, v7
	v_cndmask_b32_e64 v6, v6, v7, s[4:5]
	s_nop 1
	v_mov_b32_dpp v7, v6 row_shr:4 row_mask:0xf bank_mask:0xf
	v_add_f32_e32 v7, v6, v7
	v_cndmask_b32_e64 v6, v6, v7, s[2:3]
	;; [unrolled: 4-line block ×3, first 2 shown]
	s_nop 1
	v_mov_b32_dpp v7, v6 row_bcast:15 row_mask:0xf bank_mask:0xf
	v_add_f32_e32 v7, v6, v7
	v_cndmask_b32_e32 v5, v7, v6, vcc
	v_cmp_lt_u32_e32 vcc, 31, v4
	s_nop 0
	v_mov_b32_dpp v6, v5 row_bcast:31 row_mask:0xf bank_mask:0xf
	v_add_f32_e32 v6, v5, v6
	v_cndmask_b32_e32 v8, v5, v6, vcc
	v_bfrev_b32_e32 v5, 0.5
	v_lshl_or_b32 v4, v4, 2, v5
	ds_bpermute_b32 v7, v4, v8
.LBB94_4:
	v_mov_b32_e32 v4, s11
	v_add_co_u32_e32 v2, vcc, s10, v2
	v_addc_co_u32_e32 v3, vcc, v4, v3, vcc
	v_and_b32_e32 v0, 63, v0
	v_cmp_eq_u32_e32 vcc, 0, v0
	global_store_dword v[2:3], v8, off
	s_and_saveexec_b64 s[0:1], vcc
	s_cbranch_execz .LBB94_6
; %bb.5:
	v_lshrrev_b32_e32 v0, 4, v1
	s_waitcnt lgkmcnt(0)
	global_store_dword v0, v7, s[12:13]
.LBB94_6:
	s_endpgm
	.section	.rodata,"a",@progbits
	.p2align	6, 0x0
	.amdhsa_kernel _Z33warp_inclusive_scan_reduce_kernelIfLj256ELj64EENSt9enable_ifIXsr10test_utilsE35device_test_enabled_for_warp_size_vIXT1_EEEvE4typeEPT_S4_S4_
		.amdhsa_group_segment_fixed_size 0
		.amdhsa_private_segment_fixed_size 0
		.amdhsa_kernarg_size 24
		.amdhsa_user_sgpr_count 6
		.amdhsa_user_sgpr_private_segment_buffer 1
		.amdhsa_user_sgpr_dispatch_ptr 0
		.amdhsa_user_sgpr_queue_ptr 0
		.amdhsa_user_sgpr_kernarg_segment_ptr 1
		.amdhsa_user_sgpr_dispatch_id 0
		.amdhsa_user_sgpr_flat_scratch_init 0
		.amdhsa_user_sgpr_private_segment_size 0
		.amdhsa_uses_dynamic_stack 0
		.amdhsa_system_sgpr_private_segment_wavefront_offset 0
		.amdhsa_system_sgpr_workgroup_id_x 1
		.amdhsa_system_sgpr_workgroup_id_y 0
		.amdhsa_system_sgpr_workgroup_id_z 0
		.amdhsa_system_sgpr_workgroup_info 0
		.amdhsa_system_vgpr_workitem_id 0
		.amdhsa_next_free_vgpr 9
		.amdhsa_next_free_sgpr 14
		.amdhsa_reserve_vcc 1
		.amdhsa_reserve_flat_scratch 0
		.amdhsa_float_round_mode_32 0
		.amdhsa_float_round_mode_16_64 0
		.amdhsa_float_denorm_mode_32 3
		.amdhsa_float_denorm_mode_16_64 3
		.amdhsa_dx10_clamp 1
		.amdhsa_ieee_mode 1
		.amdhsa_fp16_overflow 0
		.amdhsa_exception_fp_ieee_invalid_op 0
		.amdhsa_exception_fp_denorm_src 0
		.amdhsa_exception_fp_ieee_div_zero 0
		.amdhsa_exception_fp_ieee_overflow 0
		.amdhsa_exception_fp_ieee_underflow 0
		.amdhsa_exception_fp_ieee_inexact 0
		.amdhsa_exception_int_div_zero 0
	.end_amdhsa_kernel
	.section	.text._Z33warp_inclusive_scan_reduce_kernelIfLj256ELj64EENSt9enable_ifIXsr10test_utilsE35device_test_enabled_for_warp_size_vIXT1_EEEvE4typeEPT_S4_S4_,"axG",@progbits,_Z33warp_inclusive_scan_reduce_kernelIfLj256ELj64EENSt9enable_ifIXsr10test_utilsE35device_test_enabled_for_warp_size_vIXT1_EEEvE4typeEPT_S4_S4_,comdat
.Lfunc_end94:
	.size	_Z33warp_inclusive_scan_reduce_kernelIfLj256ELj64EENSt9enable_ifIXsr10test_utilsE35device_test_enabled_for_warp_size_vIXT1_EEEvE4typeEPT_S4_S4_, .Lfunc_end94-_Z33warp_inclusive_scan_reduce_kernelIfLj256ELj64EENSt9enable_ifIXsr10test_utilsE35device_test_enabled_for_warp_size_vIXT1_EEEvE4typeEPT_S4_S4_
                                        ; -- End function
	.set _Z33warp_inclusive_scan_reduce_kernelIfLj256ELj64EENSt9enable_ifIXsr10test_utilsE35device_test_enabled_for_warp_size_vIXT1_EEEvE4typeEPT_S4_S4_.num_vgpr, 9
	.set _Z33warp_inclusive_scan_reduce_kernelIfLj256ELj64EENSt9enable_ifIXsr10test_utilsE35device_test_enabled_for_warp_size_vIXT1_EEEvE4typeEPT_S4_S4_.num_agpr, 0
	.set _Z33warp_inclusive_scan_reduce_kernelIfLj256ELj64EENSt9enable_ifIXsr10test_utilsE35device_test_enabled_for_warp_size_vIXT1_EEEvE4typeEPT_S4_S4_.numbered_sgpr, 14
	.set _Z33warp_inclusive_scan_reduce_kernelIfLj256ELj64EENSt9enable_ifIXsr10test_utilsE35device_test_enabled_for_warp_size_vIXT1_EEEvE4typeEPT_S4_S4_.num_named_barrier, 0
	.set _Z33warp_inclusive_scan_reduce_kernelIfLj256ELj64EENSt9enable_ifIXsr10test_utilsE35device_test_enabled_for_warp_size_vIXT1_EEEvE4typeEPT_S4_S4_.private_seg_size, 0
	.set _Z33warp_inclusive_scan_reduce_kernelIfLj256ELj64EENSt9enable_ifIXsr10test_utilsE35device_test_enabled_for_warp_size_vIXT1_EEEvE4typeEPT_S4_S4_.uses_vcc, 1
	.set _Z33warp_inclusive_scan_reduce_kernelIfLj256ELj64EENSt9enable_ifIXsr10test_utilsE35device_test_enabled_for_warp_size_vIXT1_EEEvE4typeEPT_S4_S4_.uses_flat_scratch, 0
	.set _Z33warp_inclusive_scan_reduce_kernelIfLj256ELj64EENSt9enable_ifIXsr10test_utilsE35device_test_enabled_for_warp_size_vIXT1_EEEvE4typeEPT_S4_S4_.has_dyn_sized_stack, 0
	.set _Z33warp_inclusive_scan_reduce_kernelIfLj256ELj64EENSt9enable_ifIXsr10test_utilsE35device_test_enabled_for_warp_size_vIXT1_EEEvE4typeEPT_S4_S4_.has_recursion, 0
	.set _Z33warp_inclusive_scan_reduce_kernelIfLj256ELj64EENSt9enable_ifIXsr10test_utilsE35device_test_enabled_for_warp_size_vIXT1_EEEvE4typeEPT_S4_S4_.has_indirect_call, 0
	.section	.AMDGPU.csdata,"",@progbits
; Kernel info:
; codeLenInByte = 536
; TotalNumSgprs: 18
; NumVgprs: 9
; ScratchSize: 0
; MemoryBound: 0
; FloatMode: 240
; IeeeMode: 1
; LDSByteSize: 0 bytes/workgroup (compile time only)
; SGPRBlocks: 2
; VGPRBlocks: 2
; NumSGPRsForWavesPerEU: 18
; NumVGPRsForWavesPerEU: 9
; Occupancy: 10
; WaveLimiterHint : 0
; COMPUTE_PGM_RSRC2:SCRATCH_EN: 0
; COMPUTE_PGM_RSRC2:USER_SGPR: 6
; COMPUTE_PGM_RSRC2:TRAP_HANDLER: 0
; COMPUTE_PGM_RSRC2:TGID_X_EN: 1
; COMPUTE_PGM_RSRC2:TGID_Y_EN: 0
; COMPUTE_PGM_RSRC2:TGID_Z_EN: 0
; COMPUTE_PGM_RSRC2:TIDIG_COMP_CNT: 0
	.section	.text._Z33warp_inclusive_scan_reduce_kernelIfLj128ELj32EENSt9enable_ifIXsr10test_utilsE35device_test_enabled_for_warp_size_vIXT1_EEEvE4typeEPT_S4_S4_,"axG",@progbits,_Z33warp_inclusive_scan_reduce_kernelIfLj128ELj32EENSt9enable_ifIXsr10test_utilsE35device_test_enabled_for_warp_size_vIXT1_EEEvE4typeEPT_S4_S4_,comdat
	.protected	_Z33warp_inclusive_scan_reduce_kernelIfLj128ELj32EENSt9enable_ifIXsr10test_utilsE35device_test_enabled_for_warp_size_vIXT1_EEEvE4typeEPT_S4_S4_ ; -- Begin function _Z33warp_inclusive_scan_reduce_kernelIfLj128ELj32EENSt9enable_ifIXsr10test_utilsE35device_test_enabled_for_warp_size_vIXT1_EEEvE4typeEPT_S4_S4_
	.globl	_Z33warp_inclusive_scan_reduce_kernelIfLj128ELj32EENSt9enable_ifIXsr10test_utilsE35device_test_enabled_for_warp_size_vIXT1_EEEvE4typeEPT_S4_S4_
	.p2align	8
	.type	_Z33warp_inclusive_scan_reduce_kernelIfLj128ELj32EENSt9enable_ifIXsr10test_utilsE35device_test_enabled_for_warp_size_vIXT1_EEEvE4typeEPT_S4_S4_,@function
_Z33warp_inclusive_scan_reduce_kernelIfLj128ELj32EENSt9enable_ifIXsr10test_utilsE35device_test_enabled_for_warp_size_vIXT1_EEEvE4typeEPT_S4_S4_: ; @_Z33warp_inclusive_scan_reduce_kernelIfLj128ELj32EENSt9enable_ifIXsr10test_utilsE35device_test_enabled_for_warp_size_vIXT1_EEEvE4typeEPT_S4_S4_
; %bb.0:
	s_load_dwordx4 s[8:11], s[4:5], 0x0
	s_load_dwordx2 s[12:13], s[4:5], 0x10
	v_lshl_or_b32 v1, s6, 7, v0
	v_mov_b32_e32 v2, 0
	v_lshlrev_b64 v[2:3], 2, v[1:2]
	s_waitcnt lgkmcnt(0)
	v_mov_b32_e32 v5, s9
	v_add_co_u32_e32 v4, vcc, s8, v2
	v_addc_co_u32_e32 v5, vcc, v5, v3, vcc
	global_load_dword v6, v[4:5], off
	v_mbcnt_lo_u32_b32 v4, -1, 0
	s_bitcmp1_b32 s6, 0
	v_mbcnt_hi_u32_b32 v4, -1, v4
	s_cselect_b64 s[8:9], -1, 0
	v_and_b32_e32 v5, 15, v4
	v_cmp_eq_u32_e64 s[6:7], 0, v5
	v_cmp_lt_u32_e64 s[4:5], 1, v5
	v_cmp_lt_u32_e64 s[2:3], 3, v5
	;; [unrolled: 1-line block ×3, first 2 shown]
	s_and_b64 vcc, exec, s[8:9]
	v_and_b32_e32 v5, 16, v4
	s_cbranch_vccz .LBB95_2
; %bb.1:
	s_waitcnt vmcnt(0)
	v_mov_b32_dpp v7, v6 row_shr:1 row_mask:0xf bank_mask:0xf
	v_add_f32_e32 v7, v6, v7
	v_cndmask_b32_e64 v7, v7, v6, s[6:7]
	v_cmp_eq_u32_e32 vcc, 0, v5
	s_nop 0
	v_mov_b32_dpp v8, v7 row_shr:2 row_mask:0xf bank_mask:0xf
	v_add_f32_e32 v8, v7, v8
	v_cndmask_b32_e64 v7, v7, v8, s[4:5]
	s_nop 1
	v_mov_b32_dpp v8, v7 row_shr:4 row_mask:0xf bank_mask:0xf
	v_add_f32_e32 v8, v7, v8
	v_cndmask_b32_e64 v7, v7, v8, s[2:3]
	;; [unrolled: 4-line block ×3, first 2 shown]
	s_nop 1
	v_mov_b32_dpp v8, v7 row_bcast:15 row_mask:0xf bank_mask:0xf
	v_add_f32_e32 v8, v7, v8
	v_cndmask_b32_e32 v8, v8, v7, vcc
	v_mov_b32_e32 v7, 0x7c
	v_lshl_or_b32 v7, v4, 2, v7
	ds_bpermute_b32 v7, v7, v8
	s_cbranch_execz .LBB95_3
	s_branch .LBB95_4
.LBB95_2:
                                        ; implicit-def: $vgpr8
                                        ; implicit-def: $vgpr7
.LBB95_3:
	s_waitcnt vmcnt(0) lgkmcnt(0)
	s_nop 0
	v_mov_b32_dpp v7, v6 row_shr:1 row_mask:0xf bank_mask:0xf
	v_add_f32_e32 v7, v6, v7
	v_cndmask_b32_e64 v6, v7, v6, s[6:7]
	v_cmp_eq_u32_e32 vcc, 0, v5
	v_mov_b32_e32 v5, 0x7c
	v_mov_b32_dpp v7, v6 row_shr:2 row_mask:0xf bank_mask:0xf
	v_add_f32_e32 v7, v6, v7
	v_cndmask_b32_e64 v6, v6, v7, s[4:5]
	v_lshl_or_b32 v4, v4, 2, v5
	s_nop 0
	v_mov_b32_dpp v7, v6 row_shr:4 row_mask:0xf bank_mask:0xf
	v_add_f32_e32 v7, v6, v7
	v_cndmask_b32_e64 v6, v6, v7, s[2:3]
	s_nop 1
	v_mov_b32_dpp v7, v6 row_shr:8 row_mask:0xf bank_mask:0xf
	v_add_f32_e32 v7, v6, v7
	v_cndmask_b32_e64 v6, v6, v7, s[0:1]
	s_nop 1
	v_mov_b32_dpp v7, v6 row_bcast:15 row_mask:0xf bank_mask:0xf
	v_add_f32_e32 v7, v6, v7
	v_cndmask_b32_e32 v8, v7, v6, vcc
	ds_bpermute_b32 v7, v4, v8
.LBB95_4:
	v_mov_b32_e32 v4, s11
	v_add_co_u32_e32 v2, vcc, s10, v2
	v_addc_co_u32_e32 v3, vcc, v4, v3, vcc
	v_and_b32_e32 v0, 31, v0
	v_cmp_eq_u32_e32 vcc, 0, v0
	global_store_dword v[2:3], v8, off
	s_and_saveexec_b64 s[0:1], vcc
	s_cbranch_execz .LBB95_6
; %bb.5:
	v_lshrrev_b32_e32 v0, 3, v1
	s_waitcnt lgkmcnt(0)
	global_store_dword v0, v7, s[12:13]
.LBB95_6:
	s_endpgm
	.section	.rodata,"a",@progbits
	.p2align	6, 0x0
	.amdhsa_kernel _Z33warp_inclusive_scan_reduce_kernelIfLj128ELj32EENSt9enable_ifIXsr10test_utilsE35device_test_enabled_for_warp_size_vIXT1_EEEvE4typeEPT_S4_S4_
		.amdhsa_group_segment_fixed_size 0
		.amdhsa_private_segment_fixed_size 0
		.amdhsa_kernarg_size 24
		.amdhsa_user_sgpr_count 6
		.amdhsa_user_sgpr_private_segment_buffer 1
		.amdhsa_user_sgpr_dispatch_ptr 0
		.amdhsa_user_sgpr_queue_ptr 0
		.amdhsa_user_sgpr_kernarg_segment_ptr 1
		.amdhsa_user_sgpr_dispatch_id 0
		.amdhsa_user_sgpr_flat_scratch_init 0
		.amdhsa_user_sgpr_private_segment_size 0
		.amdhsa_uses_dynamic_stack 0
		.amdhsa_system_sgpr_private_segment_wavefront_offset 0
		.amdhsa_system_sgpr_workgroup_id_x 1
		.amdhsa_system_sgpr_workgroup_id_y 0
		.amdhsa_system_sgpr_workgroup_id_z 0
		.amdhsa_system_sgpr_workgroup_info 0
		.amdhsa_system_vgpr_workitem_id 0
		.amdhsa_next_free_vgpr 9
		.amdhsa_next_free_sgpr 14
		.amdhsa_reserve_vcc 1
		.amdhsa_reserve_flat_scratch 0
		.amdhsa_float_round_mode_32 0
		.amdhsa_float_round_mode_16_64 0
		.amdhsa_float_denorm_mode_32 3
		.amdhsa_float_denorm_mode_16_64 3
		.amdhsa_dx10_clamp 1
		.amdhsa_ieee_mode 1
		.amdhsa_fp16_overflow 0
		.amdhsa_exception_fp_ieee_invalid_op 0
		.amdhsa_exception_fp_denorm_src 0
		.amdhsa_exception_fp_ieee_div_zero 0
		.amdhsa_exception_fp_ieee_overflow 0
		.amdhsa_exception_fp_ieee_underflow 0
		.amdhsa_exception_fp_ieee_inexact 0
		.amdhsa_exception_int_div_zero 0
	.end_amdhsa_kernel
	.section	.text._Z33warp_inclusive_scan_reduce_kernelIfLj128ELj32EENSt9enable_ifIXsr10test_utilsE35device_test_enabled_for_warp_size_vIXT1_EEEvE4typeEPT_S4_S4_,"axG",@progbits,_Z33warp_inclusive_scan_reduce_kernelIfLj128ELj32EENSt9enable_ifIXsr10test_utilsE35device_test_enabled_for_warp_size_vIXT1_EEEvE4typeEPT_S4_S4_,comdat
.Lfunc_end95:
	.size	_Z33warp_inclusive_scan_reduce_kernelIfLj128ELj32EENSt9enable_ifIXsr10test_utilsE35device_test_enabled_for_warp_size_vIXT1_EEEvE4typeEPT_S4_S4_, .Lfunc_end95-_Z33warp_inclusive_scan_reduce_kernelIfLj128ELj32EENSt9enable_ifIXsr10test_utilsE35device_test_enabled_for_warp_size_vIXT1_EEEvE4typeEPT_S4_S4_
                                        ; -- End function
	.set _Z33warp_inclusive_scan_reduce_kernelIfLj128ELj32EENSt9enable_ifIXsr10test_utilsE35device_test_enabled_for_warp_size_vIXT1_EEEvE4typeEPT_S4_S4_.num_vgpr, 9
	.set _Z33warp_inclusive_scan_reduce_kernelIfLj128ELj32EENSt9enable_ifIXsr10test_utilsE35device_test_enabled_for_warp_size_vIXT1_EEEvE4typeEPT_S4_S4_.num_agpr, 0
	.set _Z33warp_inclusive_scan_reduce_kernelIfLj128ELj32EENSt9enable_ifIXsr10test_utilsE35device_test_enabled_for_warp_size_vIXT1_EEEvE4typeEPT_S4_S4_.numbered_sgpr, 14
	.set _Z33warp_inclusive_scan_reduce_kernelIfLj128ELj32EENSt9enable_ifIXsr10test_utilsE35device_test_enabled_for_warp_size_vIXT1_EEEvE4typeEPT_S4_S4_.num_named_barrier, 0
	.set _Z33warp_inclusive_scan_reduce_kernelIfLj128ELj32EENSt9enable_ifIXsr10test_utilsE35device_test_enabled_for_warp_size_vIXT1_EEEvE4typeEPT_S4_S4_.private_seg_size, 0
	.set _Z33warp_inclusive_scan_reduce_kernelIfLj128ELj32EENSt9enable_ifIXsr10test_utilsE35device_test_enabled_for_warp_size_vIXT1_EEEvE4typeEPT_S4_S4_.uses_vcc, 1
	.set _Z33warp_inclusive_scan_reduce_kernelIfLj128ELj32EENSt9enable_ifIXsr10test_utilsE35device_test_enabled_for_warp_size_vIXT1_EEEvE4typeEPT_S4_S4_.uses_flat_scratch, 0
	.set _Z33warp_inclusive_scan_reduce_kernelIfLj128ELj32EENSt9enable_ifIXsr10test_utilsE35device_test_enabled_for_warp_size_vIXT1_EEEvE4typeEPT_S4_S4_.has_dyn_sized_stack, 0
	.set _Z33warp_inclusive_scan_reduce_kernelIfLj128ELj32EENSt9enable_ifIXsr10test_utilsE35device_test_enabled_for_warp_size_vIXT1_EEEvE4typeEPT_S4_S4_.has_recursion, 0
	.set _Z33warp_inclusive_scan_reduce_kernelIfLj128ELj32EENSt9enable_ifIXsr10test_utilsE35device_test_enabled_for_warp_size_vIXT1_EEEvE4typeEPT_S4_S4_.has_indirect_call, 0
	.section	.AMDGPU.csdata,"",@progbits
; Kernel info:
; codeLenInByte = 484
; TotalNumSgprs: 18
; NumVgprs: 9
; ScratchSize: 0
; MemoryBound: 0
; FloatMode: 240
; IeeeMode: 1
; LDSByteSize: 0 bytes/workgroup (compile time only)
; SGPRBlocks: 2
; VGPRBlocks: 2
; NumSGPRsForWavesPerEU: 18
; NumVGPRsForWavesPerEU: 9
; Occupancy: 10
; WaveLimiterHint : 0
; COMPUTE_PGM_RSRC2:SCRATCH_EN: 0
; COMPUTE_PGM_RSRC2:USER_SGPR: 6
; COMPUTE_PGM_RSRC2:TRAP_HANDLER: 0
; COMPUTE_PGM_RSRC2:TGID_X_EN: 1
; COMPUTE_PGM_RSRC2:TGID_Y_EN: 0
; COMPUTE_PGM_RSRC2:TGID_Z_EN: 0
; COMPUTE_PGM_RSRC2:TIDIG_COMP_CNT: 0
	.section	.text._Z33warp_inclusive_scan_reduce_kernelIfLj64ELj16EENSt9enable_ifIXsr10test_utilsE35device_test_enabled_for_warp_size_vIXT1_EEEvE4typeEPT_S4_S4_,"axG",@progbits,_Z33warp_inclusive_scan_reduce_kernelIfLj64ELj16EENSt9enable_ifIXsr10test_utilsE35device_test_enabled_for_warp_size_vIXT1_EEEvE4typeEPT_S4_S4_,comdat
	.protected	_Z33warp_inclusive_scan_reduce_kernelIfLj64ELj16EENSt9enable_ifIXsr10test_utilsE35device_test_enabled_for_warp_size_vIXT1_EEEvE4typeEPT_S4_S4_ ; -- Begin function _Z33warp_inclusive_scan_reduce_kernelIfLj64ELj16EENSt9enable_ifIXsr10test_utilsE35device_test_enabled_for_warp_size_vIXT1_EEEvE4typeEPT_S4_S4_
	.globl	_Z33warp_inclusive_scan_reduce_kernelIfLj64ELj16EENSt9enable_ifIXsr10test_utilsE35device_test_enabled_for_warp_size_vIXT1_EEEvE4typeEPT_S4_S4_
	.p2align	8
	.type	_Z33warp_inclusive_scan_reduce_kernelIfLj64ELj16EENSt9enable_ifIXsr10test_utilsE35device_test_enabled_for_warp_size_vIXT1_EEEvE4typeEPT_S4_S4_,@function
_Z33warp_inclusive_scan_reduce_kernelIfLj64ELj16EENSt9enable_ifIXsr10test_utilsE35device_test_enabled_for_warp_size_vIXT1_EEEvE4typeEPT_S4_S4_: ; @_Z33warp_inclusive_scan_reduce_kernelIfLj64ELj16EENSt9enable_ifIXsr10test_utilsE35device_test_enabled_for_warp_size_vIXT1_EEEvE4typeEPT_S4_S4_
; %bb.0:
	s_load_dwordx4 s[8:11], s[4:5], 0x0
	s_load_dwordx2 s[12:13], s[4:5], 0x10
	v_lshl_or_b32 v1, s6, 6, v0
	v_mov_b32_e32 v2, 0
	v_lshlrev_b64 v[2:3], 2, v[1:2]
	s_waitcnt lgkmcnt(0)
	v_mov_b32_e32 v5, s9
	v_add_co_u32_e32 v4, vcc, s8, v2
	v_addc_co_u32_e32 v5, vcc, v5, v3, vcc
	global_load_dword v4, v[4:5], off
	v_mbcnt_lo_u32_b32 v5, -1, 0
	s_bitcmp1_b32 s6, 0
	v_mbcnt_hi_u32_b32 v5, -1, v5
	s_cselect_b64 s[8:9], -1, 0
	v_and_b32_e32 v6, 15, v5
	v_cmp_eq_u32_e64 s[6:7], 0, v6
	v_cmp_lt_u32_e64 s[4:5], 1, v6
	v_cmp_lt_u32_e64 s[2:3], 3, v6
	;; [unrolled: 1-line block ×3, first 2 shown]
	v_lshl_or_b32 v5, v5, 2, 60
	s_and_b64 vcc, exec, s[8:9]
	s_cbranch_vccz .LBB96_2
; %bb.1:
	s_waitcnt vmcnt(0)
	v_mov_b32_dpp v6, v4 row_shr:1 row_mask:0xf bank_mask:0xf
	v_add_f32_e32 v6, v4, v6
	v_cndmask_b32_e64 v6, v6, v4, s[6:7]
	s_nop 1
	v_mov_b32_dpp v7, v6 row_shr:2 row_mask:0xf bank_mask:0xf
	v_add_f32_e32 v7, v6, v7
	v_cndmask_b32_e64 v6, v6, v7, s[4:5]
	s_nop 1
	;; [unrolled: 4-line block ×3, first 2 shown]
	v_mov_b32_dpp v7, v6 row_shr:8 row_mask:0xf bank_mask:0xf
	v_add_f32_e32 v7, v6, v7
	v_cndmask_b32_e64 v7, v6, v7, s[0:1]
	ds_bpermute_b32 v6, v5, v7
	s_cbranch_execz .LBB96_3
	s_branch .LBB96_4
.LBB96_2:
                                        ; implicit-def: $vgpr7
                                        ; implicit-def: $vgpr6
.LBB96_3:
	s_waitcnt vmcnt(0) lgkmcnt(0)
	s_nop 0
	v_mov_b32_dpp v6, v4 row_shr:1 row_mask:0xf bank_mask:0xf
	v_add_f32_e32 v6, v4, v6
	v_cndmask_b32_e64 v4, v6, v4, s[6:7]
	s_nop 1
	v_mov_b32_dpp v6, v4 row_shr:2 row_mask:0xf bank_mask:0xf
	v_add_f32_e32 v6, v4, v6
	v_cndmask_b32_e64 v4, v4, v6, s[4:5]
	s_nop 1
	v_mov_b32_dpp v6, v4 row_shr:4 row_mask:0xf bank_mask:0xf
	v_add_f32_e32 v6, v4, v6
	v_cndmask_b32_e64 v4, v4, v6, s[2:3]
	s_nop 1
	v_mov_b32_dpp v6, v4 row_shr:8 row_mask:0xf bank_mask:0xf
	v_add_f32_e32 v6, v4, v6
	v_cndmask_b32_e64 v7, v4, v6, s[0:1]
	ds_bpermute_b32 v6, v5, v7
.LBB96_4:
	s_waitcnt vmcnt(0)
	v_mov_b32_e32 v4, s11
	v_add_co_u32_e32 v2, vcc, s10, v2
	v_addc_co_u32_e32 v3, vcc, v4, v3, vcc
	v_and_b32_e32 v0, 15, v0
	v_cmp_eq_u32_e32 vcc, 0, v0
	global_store_dword v[2:3], v7, off
	s_and_saveexec_b64 s[0:1], vcc
	s_cbranch_execz .LBB96_6
; %bb.5:
	v_lshrrev_b32_e32 v0, 2, v1
	s_waitcnt lgkmcnt(0)
	global_store_dword v0, v6, s[12:13]
.LBB96_6:
	s_endpgm
	.section	.rodata,"a",@progbits
	.p2align	6, 0x0
	.amdhsa_kernel _Z33warp_inclusive_scan_reduce_kernelIfLj64ELj16EENSt9enable_ifIXsr10test_utilsE35device_test_enabled_for_warp_size_vIXT1_EEEvE4typeEPT_S4_S4_
		.amdhsa_group_segment_fixed_size 0
		.amdhsa_private_segment_fixed_size 0
		.amdhsa_kernarg_size 24
		.amdhsa_user_sgpr_count 6
		.amdhsa_user_sgpr_private_segment_buffer 1
		.amdhsa_user_sgpr_dispatch_ptr 0
		.amdhsa_user_sgpr_queue_ptr 0
		.amdhsa_user_sgpr_kernarg_segment_ptr 1
		.amdhsa_user_sgpr_dispatch_id 0
		.amdhsa_user_sgpr_flat_scratch_init 0
		.amdhsa_user_sgpr_private_segment_size 0
		.amdhsa_uses_dynamic_stack 0
		.amdhsa_system_sgpr_private_segment_wavefront_offset 0
		.amdhsa_system_sgpr_workgroup_id_x 1
		.amdhsa_system_sgpr_workgroup_id_y 0
		.amdhsa_system_sgpr_workgroup_id_z 0
		.amdhsa_system_sgpr_workgroup_info 0
		.amdhsa_system_vgpr_workitem_id 0
		.amdhsa_next_free_vgpr 8
		.amdhsa_next_free_sgpr 14
		.amdhsa_reserve_vcc 1
		.amdhsa_reserve_flat_scratch 0
		.amdhsa_float_round_mode_32 0
		.amdhsa_float_round_mode_16_64 0
		.amdhsa_float_denorm_mode_32 3
		.amdhsa_float_denorm_mode_16_64 3
		.amdhsa_dx10_clamp 1
		.amdhsa_ieee_mode 1
		.amdhsa_fp16_overflow 0
		.amdhsa_exception_fp_ieee_invalid_op 0
		.amdhsa_exception_fp_denorm_src 0
		.amdhsa_exception_fp_ieee_div_zero 0
		.amdhsa_exception_fp_ieee_overflow 0
		.amdhsa_exception_fp_ieee_underflow 0
		.amdhsa_exception_fp_ieee_inexact 0
		.amdhsa_exception_int_div_zero 0
	.end_amdhsa_kernel
	.section	.text._Z33warp_inclusive_scan_reduce_kernelIfLj64ELj16EENSt9enable_ifIXsr10test_utilsE35device_test_enabled_for_warp_size_vIXT1_EEEvE4typeEPT_S4_S4_,"axG",@progbits,_Z33warp_inclusive_scan_reduce_kernelIfLj64ELj16EENSt9enable_ifIXsr10test_utilsE35device_test_enabled_for_warp_size_vIXT1_EEEvE4typeEPT_S4_S4_,comdat
.Lfunc_end96:
	.size	_Z33warp_inclusive_scan_reduce_kernelIfLj64ELj16EENSt9enable_ifIXsr10test_utilsE35device_test_enabled_for_warp_size_vIXT1_EEEvE4typeEPT_S4_S4_, .Lfunc_end96-_Z33warp_inclusive_scan_reduce_kernelIfLj64ELj16EENSt9enable_ifIXsr10test_utilsE35device_test_enabled_for_warp_size_vIXT1_EEEvE4typeEPT_S4_S4_
                                        ; -- End function
	.set _Z33warp_inclusive_scan_reduce_kernelIfLj64ELj16EENSt9enable_ifIXsr10test_utilsE35device_test_enabled_for_warp_size_vIXT1_EEEvE4typeEPT_S4_S4_.num_vgpr, 8
	.set _Z33warp_inclusive_scan_reduce_kernelIfLj64ELj16EENSt9enable_ifIXsr10test_utilsE35device_test_enabled_for_warp_size_vIXT1_EEEvE4typeEPT_S4_S4_.num_agpr, 0
	.set _Z33warp_inclusive_scan_reduce_kernelIfLj64ELj16EENSt9enable_ifIXsr10test_utilsE35device_test_enabled_for_warp_size_vIXT1_EEEvE4typeEPT_S4_S4_.numbered_sgpr, 14
	.set _Z33warp_inclusive_scan_reduce_kernelIfLj64ELj16EENSt9enable_ifIXsr10test_utilsE35device_test_enabled_for_warp_size_vIXT1_EEEvE4typeEPT_S4_S4_.num_named_barrier, 0
	.set _Z33warp_inclusive_scan_reduce_kernelIfLj64ELj16EENSt9enable_ifIXsr10test_utilsE35device_test_enabled_for_warp_size_vIXT1_EEEvE4typeEPT_S4_S4_.private_seg_size, 0
	.set _Z33warp_inclusive_scan_reduce_kernelIfLj64ELj16EENSt9enable_ifIXsr10test_utilsE35device_test_enabled_for_warp_size_vIXT1_EEEvE4typeEPT_S4_S4_.uses_vcc, 1
	.set _Z33warp_inclusive_scan_reduce_kernelIfLj64ELj16EENSt9enable_ifIXsr10test_utilsE35device_test_enabled_for_warp_size_vIXT1_EEEvE4typeEPT_S4_S4_.uses_flat_scratch, 0
	.set _Z33warp_inclusive_scan_reduce_kernelIfLj64ELj16EENSt9enable_ifIXsr10test_utilsE35device_test_enabled_for_warp_size_vIXT1_EEEvE4typeEPT_S4_S4_.has_dyn_sized_stack, 0
	.set _Z33warp_inclusive_scan_reduce_kernelIfLj64ELj16EENSt9enable_ifIXsr10test_utilsE35device_test_enabled_for_warp_size_vIXT1_EEEvE4typeEPT_S4_S4_.has_recursion, 0
	.set _Z33warp_inclusive_scan_reduce_kernelIfLj64ELj16EENSt9enable_ifIXsr10test_utilsE35device_test_enabled_for_warp_size_vIXT1_EEEvE4typeEPT_S4_S4_.has_indirect_call, 0
	.section	.AMDGPU.csdata,"",@progbits
; Kernel info:
; codeLenInByte = 416
; TotalNumSgprs: 18
; NumVgprs: 8
; ScratchSize: 0
; MemoryBound: 0
; FloatMode: 240
; IeeeMode: 1
; LDSByteSize: 0 bytes/workgroup (compile time only)
; SGPRBlocks: 2
; VGPRBlocks: 1
; NumSGPRsForWavesPerEU: 18
; NumVGPRsForWavesPerEU: 8
; Occupancy: 10
; WaveLimiterHint : 0
; COMPUTE_PGM_RSRC2:SCRATCH_EN: 0
; COMPUTE_PGM_RSRC2:USER_SGPR: 6
; COMPUTE_PGM_RSRC2:TRAP_HANDLER: 0
; COMPUTE_PGM_RSRC2:TGID_X_EN: 1
; COMPUTE_PGM_RSRC2:TGID_Y_EN: 0
; COMPUTE_PGM_RSRC2:TGID_Z_EN: 0
; COMPUTE_PGM_RSRC2:TIDIG_COMP_CNT: 0
	.section	.text._Z33warp_inclusive_scan_reduce_kernelIfLj32ELj8EENSt9enable_ifIXsr10test_utilsE35device_test_enabled_for_warp_size_vIXT1_EEEvE4typeEPT_S4_S4_,"axG",@progbits,_Z33warp_inclusive_scan_reduce_kernelIfLj32ELj8EENSt9enable_ifIXsr10test_utilsE35device_test_enabled_for_warp_size_vIXT1_EEEvE4typeEPT_S4_S4_,comdat
	.protected	_Z33warp_inclusive_scan_reduce_kernelIfLj32ELj8EENSt9enable_ifIXsr10test_utilsE35device_test_enabled_for_warp_size_vIXT1_EEEvE4typeEPT_S4_S4_ ; -- Begin function _Z33warp_inclusive_scan_reduce_kernelIfLj32ELj8EENSt9enable_ifIXsr10test_utilsE35device_test_enabled_for_warp_size_vIXT1_EEEvE4typeEPT_S4_S4_
	.globl	_Z33warp_inclusive_scan_reduce_kernelIfLj32ELj8EENSt9enable_ifIXsr10test_utilsE35device_test_enabled_for_warp_size_vIXT1_EEEvE4typeEPT_S4_S4_
	.p2align	8
	.type	_Z33warp_inclusive_scan_reduce_kernelIfLj32ELj8EENSt9enable_ifIXsr10test_utilsE35device_test_enabled_for_warp_size_vIXT1_EEEvE4typeEPT_S4_S4_,@function
_Z33warp_inclusive_scan_reduce_kernelIfLj32ELj8EENSt9enable_ifIXsr10test_utilsE35device_test_enabled_for_warp_size_vIXT1_EEEvE4typeEPT_S4_S4_: ; @_Z33warp_inclusive_scan_reduce_kernelIfLj32ELj8EENSt9enable_ifIXsr10test_utilsE35device_test_enabled_for_warp_size_vIXT1_EEEvE4typeEPT_S4_S4_
; %bb.0:
	s_load_dwordx4 s[8:11], s[4:5], 0x0
	s_load_dwordx2 s[12:13], s[4:5], 0x10
	v_lshl_or_b32 v1, s6, 5, v0
	v_mov_b32_e32 v2, 0
	v_lshlrev_b64 v[2:3], 2, v[1:2]
	s_waitcnt lgkmcnt(0)
	v_mov_b32_e32 v5, s9
	v_add_co_u32_e32 v4, vcc, s8, v2
	v_addc_co_u32_e32 v5, vcc, v5, v3, vcc
	global_load_dword v4, v[4:5], off
	v_mbcnt_lo_u32_b32 v5, -1, 0
	s_bitcmp1_b32 s6, 0
	v_mbcnt_hi_u32_b32 v5, -1, v5
	s_cselect_b64 s[6:7], -1, 0
	v_and_b32_e32 v6, 7, v5
	v_cmp_eq_u32_e64 s[4:5], 0, v6
	v_cmp_lt_u32_e64 s[2:3], 1, v6
	v_cmp_lt_u32_e64 s[0:1], 3, v6
	v_lshl_or_b32 v5, v5, 2, 28
	s_and_b64 vcc, exec, s[6:7]
	s_cbranch_vccz .LBB97_2
; %bb.1:
	s_waitcnt vmcnt(0)
	v_mov_b32_dpp v6, v4 row_shr:1 row_mask:0xf bank_mask:0xf
	v_add_f32_e32 v6, v4, v6
	v_cndmask_b32_e64 v6, v6, v4, s[4:5]
	s_nop 1
	v_mov_b32_dpp v7, v6 row_shr:2 row_mask:0xf bank_mask:0xf
	v_add_f32_e32 v7, v6, v7
	v_cndmask_b32_e64 v6, v6, v7, s[2:3]
	s_nop 1
	v_mov_b32_dpp v7, v6 row_shr:4 row_mask:0xf bank_mask:0xf
	v_add_f32_e32 v7, v6, v7
	v_cndmask_b32_e64 v7, v6, v7, s[0:1]
	ds_bpermute_b32 v6, v5, v7
	s_cbranch_execz .LBB97_3
	s_branch .LBB97_4
.LBB97_2:
                                        ; implicit-def: $vgpr7
                                        ; implicit-def: $vgpr6
.LBB97_3:
	s_waitcnt vmcnt(0) lgkmcnt(0)
	s_nop 0
	v_mov_b32_dpp v6, v4 row_shr:1 row_mask:0xf bank_mask:0xf
	v_add_f32_e32 v6, v4, v6
	v_cndmask_b32_e64 v4, v6, v4, s[4:5]
	s_nop 1
	v_mov_b32_dpp v6, v4 row_shr:2 row_mask:0xf bank_mask:0xf
	v_add_f32_e32 v6, v4, v6
	v_cndmask_b32_e64 v4, v4, v6, s[2:3]
	;; [unrolled: 4-line block ×3, first 2 shown]
	ds_bpermute_b32 v6, v5, v7
.LBB97_4:
	s_waitcnt vmcnt(0)
	v_mov_b32_e32 v4, s11
	v_add_co_u32_e32 v2, vcc, s10, v2
	v_addc_co_u32_e32 v3, vcc, v4, v3, vcc
	v_and_b32_e32 v0, 7, v0
	v_cmp_eq_u32_e32 vcc, 0, v0
	global_store_dword v[2:3], v7, off
	s_and_saveexec_b64 s[0:1], vcc
	s_cbranch_execz .LBB97_6
; %bb.5:
	v_lshrrev_b32_e32 v0, 1, v1
	s_waitcnt lgkmcnt(0)
	global_store_dword v0, v6, s[12:13]
.LBB97_6:
	s_endpgm
	.section	.rodata,"a",@progbits
	.p2align	6, 0x0
	.amdhsa_kernel _Z33warp_inclusive_scan_reduce_kernelIfLj32ELj8EENSt9enable_ifIXsr10test_utilsE35device_test_enabled_for_warp_size_vIXT1_EEEvE4typeEPT_S4_S4_
		.amdhsa_group_segment_fixed_size 0
		.amdhsa_private_segment_fixed_size 0
		.amdhsa_kernarg_size 24
		.amdhsa_user_sgpr_count 6
		.amdhsa_user_sgpr_private_segment_buffer 1
		.amdhsa_user_sgpr_dispatch_ptr 0
		.amdhsa_user_sgpr_queue_ptr 0
		.amdhsa_user_sgpr_kernarg_segment_ptr 1
		.amdhsa_user_sgpr_dispatch_id 0
		.amdhsa_user_sgpr_flat_scratch_init 0
		.amdhsa_user_sgpr_private_segment_size 0
		.amdhsa_uses_dynamic_stack 0
		.amdhsa_system_sgpr_private_segment_wavefront_offset 0
		.amdhsa_system_sgpr_workgroup_id_x 1
		.amdhsa_system_sgpr_workgroup_id_y 0
		.amdhsa_system_sgpr_workgroup_id_z 0
		.amdhsa_system_sgpr_workgroup_info 0
		.amdhsa_system_vgpr_workitem_id 0
		.amdhsa_next_free_vgpr 8
		.amdhsa_next_free_sgpr 14
		.amdhsa_reserve_vcc 1
		.amdhsa_reserve_flat_scratch 0
		.amdhsa_float_round_mode_32 0
		.amdhsa_float_round_mode_16_64 0
		.amdhsa_float_denorm_mode_32 3
		.amdhsa_float_denorm_mode_16_64 3
		.amdhsa_dx10_clamp 1
		.amdhsa_ieee_mode 1
		.amdhsa_fp16_overflow 0
		.amdhsa_exception_fp_ieee_invalid_op 0
		.amdhsa_exception_fp_denorm_src 0
		.amdhsa_exception_fp_ieee_div_zero 0
		.amdhsa_exception_fp_ieee_overflow 0
		.amdhsa_exception_fp_ieee_underflow 0
		.amdhsa_exception_fp_ieee_inexact 0
		.amdhsa_exception_int_div_zero 0
	.end_amdhsa_kernel
	.section	.text._Z33warp_inclusive_scan_reduce_kernelIfLj32ELj8EENSt9enable_ifIXsr10test_utilsE35device_test_enabled_for_warp_size_vIXT1_EEEvE4typeEPT_S4_S4_,"axG",@progbits,_Z33warp_inclusive_scan_reduce_kernelIfLj32ELj8EENSt9enable_ifIXsr10test_utilsE35device_test_enabled_for_warp_size_vIXT1_EEEvE4typeEPT_S4_S4_,comdat
.Lfunc_end97:
	.size	_Z33warp_inclusive_scan_reduce_kernelIfLj32ELj8EENSt9enable_ifIXsr10test_utilsE35device_test_enabled_for_warp_size_vIXT1_EEEvE4typeEPT_S4_S4_, .Lfunc_end97-_Z33warp_inclusive_scan_reduce_kernelIfLj32ELj8EENSt9enable_ifIXsr10test_utilsE35device_test_enabled_for_warp_size_vIXT1_EEEvE4typeEPT_S4_S4_
                                        ; -- End function
	.set _Z33warp_inclusive_scan_reduce_kernelIfLj32ELj8EENSt9enable_ifIXsr10test_utilsE35device_test_enabled_for_warp_size_vIXT1_EEEvE4typeEPT_S4_S4_.num_vgpr, 8
	.set _Z33warp_inclusive_scan_reduce_kernelIfLj32ELj8EENSt9enable_ifIXsr10test_utilsE35device_test_enabled_for_warp_size_vIXT1_EEEvE4typeEPT_S4_S4_.num_agpr, 0
	.set _Z33warp_inclusive_scan_reduce_kernelIfLj32ELj8EENSt9enable_ifIXsr10test_utilsE35device_test_enabled_for_warp_size_vIXT1_EEEvE4typeEPT_S4_S4_.numbered_sgpr, 14
	.set _Z33warp_inclusive_scan_reduce_kernelIfLj32ELj8EENSt9enable_ifIXsr10test_utilsE35device_test_enabled_for_warp_size_vIXT1_EEEvE4typeEPT_S4_S4_.num_named_barrier, 0
	.set _Z33warp_inclusive_scan_reduce_kernelIfLj32ELj8EENSt9enable_ifIXsr10test_utilsE35device_test_enabled_for_warp_size_vIXT1_EEEvE4typeEPT_S4_S4_.private_seg_size, 0
	.set _Z33warp_inclusive_scan_reduce_kernelIfLj32ELj8EENSt9enable_ifIXsr10test_utilsE35device_test_enabled_for_warp_size_vIXT1_EEEvE4typeEPT_S4_S4_.uses_vcc, 1
	.set _Z33warp_inclusive_scan_reduce_kernelIfLj32ELj8EENSt9enable_ifIXsr10test_utilsE35device_test_enabled_for_warp_size_vIXT1_EEEvE4typeEPT_S4_S4_.uses_flat_scratch, 0
	.set _Z33warp_inclusive_scan_reduce_kernelIfLj32ELj8EENSt9enable_ifIXsr10test_utilsE35device_test_enabled_for_warp_size_vIXT1_EEEvE4typeEPT_S4_S4_.has_dyn_sized_stack, 0
	.set _Z33warp_inclusive_scan_reduce_kernelIfLj32ELj8EENSt9enable_ifIXsr10test_utilsE35device_test_enabled_for_warp_size_vIXT1_EEEvE4typeEPT_S4_S4_.has_recursion, 0
	.set _Z33warp_inclusive_scan_reduce_kernelIfLj32ELj8EENSt9enable_ifIXsr10test_utilsE35device_test_enabled_for_warp_size_vIXT1_EEEvE4typeEPT_S4_S4_.has_indirect_call, 0
	.section	.AMDGPU.csdata,"",@progbits
; Kernel info:
; codeLenInByte = 360
; TotalNumSgprs: 18
; NumVgprs: 8
; ScratchSize: 0
; MemoryBound: 0
; FloatMode: 240
; IeeeMode: 1
; LDSByteSize: 0 bytes/workgroup (compile time only)
; SGPRBlocks: 2
; VGPRBlocks: 1
; NumSGPRsForWavesPerEU: 18
; NumVGPRsForWavesPerEU: 8
; Occupancy: 10
; WaveLimiterHint : 0
; COMPUTE_PGM_RSRC2:SCRATCH_EN: 0
; COMPUTE_PGM_RSRC2:USER_SGPR: 6
; COMPUTE_PGM_RSRC2:TRAP_HANDLER: 0
; COMPUTE_PGM_RSRC2:TGID_X_EN: 1
; COMPUTE_PGM_RSRC2:TGID_Y_EN: 0
; COMPUTE_PGM_RSRC2:TGID_Z_EN: 0
; COMPUTE_PGM_RSRC2:TIDIG_COMP_CNT: 0
	.section	.text._Z33warp_inclusive_scan_reduce_kernelIfLj64ELj8EENSt9enable_ifIXsr10test_utilsE35device_test_enabled_for_warp_size_vIXT1_EEEvE4typeEPT_S4_S4_,"axG",@progbits,_Z33warp_inclusive_scan_reduce_kernelIfLj64ELj8EENSt9enable_ifIXsr10test_utilsE35device_test_enabled_for_warp_size_vIXT1_EEEvE4typeEPT_S4_S4_,comdat
	.protected	_Z33warp_inclusive_scan_reduce_kernelIfLj64ELj8EENSt9enable_ifIXsr10test_utilsE35device_test_enabled_for_warp_size_vIXT1_EEEvE4typeEPT_S4_S4_ ; -- Begin function _Z33warp_inclusive_scan_reduce_kernelIfLj64ELj8EENSt9enable_ifIXsr10test_utilsE35device_test_enabled_for_warp_size_vIXT1_EEEvE4typeEPT_S4_S4_
	.globl	_Z33warp_inclusive_scan_reduce_kernelIfLj64ELj8EENSt9enable_ifIXsr10test_utilsE35device_test_enabled_for_warp_size_vIXT1_EEEvE4typeEPT_S4_S4_
	.p2align	8
	.type	_Z33warp_inclusive_scan_reduce_kernelIfLj64ELj8EENSt9enable_ifIXsr10test_utilsE35device_test_enabled_for_warp_size_vIXT1_EEEvE4typeEPT_S4_S4_,@function
_Z33warp_inclusive_scan_reduce_kernelIfLj64ELj8EENSt9enable_ifIXsr10test_utilsE35device_test_enabled_for_warp_size_vIXT1_EEEvE4typeEPT_S4_S4_: ; @_Z33warp_inclusive_scan_reduce_kernelIfLj64ELj8EENSt9enable_ifIXsr10test_utilsE35device_test_enabled_for_warp_size_vIXT1_EEEvE4typeEPT_S4_S4_
; %bb.0:
	s_load_dwordx4 s[8:11], s[4:5], 0x0
	s_load_dwordx2 s[12:13], s[4:5], 0x10
	v_lshl_or_b32 v1, s6, 6, v0
	v_mov_b32_e32 v2, 0
	v_lshlrev_b64 v[2:3], 2, v[1:2]
	s_waitcnt lgkmcnt(0)
	v_mov_b32_e32 v5, s9
	v_add_co_u32_e32 v4, vcc, s8, v2
	v_addc_co_u32_e32 v5, vcc, v5, v3, vcc
	global_load_dword v4, v[4:5], off
	v_mbcnt_lo_u32_b32 v5, -1, 0
	s_bitcmp1_b32 s6, 0
	v_mbcnt_hi_u32_b32 v5, -1, v5
	s_cselect_b64 s[6:7], -1, 0
	v_and_b32_e32 v6, 7, v5
	v_cmp_eq_u32_e64 s[4:5], 0, v6
	v_cmp_lt_u32_e64 s[2:3], 1, v6
	v_cmp_lt_u32_e64 s[0:1], 3, v6
	v_lshl_or_b32 v5, v5, 2, 28
	s_and_b64 vcc, exec, s[6:7]
	s_cbranch_vccz .LBB98_2
; %bb.1:
	s_waitcnt vmcnt(0)
	v_mov_b32_dpp v6, v4 row_shr:1 row_mask:0xf bank_mask:0xf
	v_add_f32_e32 v6, v4, v6
	v_cndmask_b32_e64 v6, v6, v4, s[4:5]
	s_nop 1
	v_mov_b32_dpp v7, v6 row_shr:2 row_mask:0xf bank_mask:0xf
	v_add_f32_e32 v7, v6, v7
	v_cndmask_b32_e64 v6, v6, v7, s[2:3]
	s_nop 1
	v_mov_b32_dpp v7, v6 row_shr:4 row_mask:0xf bank_mask:0xf
	v_add_f32_e32 v7, v6, v7
	v_cndmask_b32_e64 v7, v6, v7, s[0:1]
	ds_bpermute_b32 v6, v5, v7
	s_cbranch_execz .LBB98_3
	s_branch .LBB98_4
.LBB98_2:
                                        ; implicit-def: $vgpr7
                                        ; implicit-def: $vgpr6
.LBB98_3:
	s_waitcnt vmcnt(0) lgkmcnt(0)
	s_nop 0
	v_mov_b32_dpp v6, v4 row_shr:1 row_mask:0xf bank_mask:0xf
	v_add_f32_e32 v6, v4, v6
	v_cndmask_b32_e64 v4, v6, v4, s[4:5]
	s_nop 1
	v_mov_b32_dpp v6, v4 row_shr:2 row_mask:0xf bank_mask:0xf
	v_add_f32_e32 v6, v4, v6
	v_cndmask_b32_e64 v4, v4, v6, s[2:3]
	;; [unrolled: 4-line block ×3, first 2 shown]
	ds_bpermute_b32 v6, v5, v7
.LBB98_4:
	s_waitcnt vmcnt(0)
	v_mov_b32_e32 v4, s11
	v_add_co_u32_e32 v2, vcc, s10, v2
	v_addc_co_u32_e32 v3, vcc, v4, v3, vcc
	v_and_b32_e32 v0, 7, v0
	v_cmp_eq_u32_e32 vcc, 0, v0
	global_store_dword v[2:3], v7, off
	s_and_saveexec_b64 s[0:1], vcc
	s_cbranch_execz .LBB98_6
; %bb.5:
	v_lshrrev_b32_e32 v0, 1, v1
	s_waitcnt lgkmcnt(0)
	global_store_dword v0, v6, s[12:13]
.LBB98_6:
	s_endpgm
	.section	.rodata,"a",@progbits
	.p2align	6, 0x0
	.amdhsa_kernel _Z33warp_inclusive_scan_reduce_kernelIfLj64ELj8EENSt9enable_ifIXsr10test_utilsE35device_test_enabled_for_warp_size_vIXT1_EEEvE4typeEPT_S4_S4_
		.amdhsa_group_segment_fixed_size 0
		.amdhsa_private_segment_fixed_size 0
		.amdhsa_kernarg_size 24
		.amdhsa_user_sgpr_count 6
		.amdhsa_user_sgpr_private_segment_buffer 1
		.amdhsa_user_sgpr_dispatch_ptr 0
		.amdhsa_user_sgpr_queue_ptr 0
		.amdhsa_user_sgpr_kernarg_segment_ptr 1
		.amdhsa_user_sgpr_dispatch_id 0
		.amdhsa_user_sgpr_flat_scratch_init 0
		.amdhsa_user_sgpr_private_segment_size 0
		.amdhsa_uses_dynamic_stack 0
		.amdhsa_system_sgpr_private_segment_wavefront_offset 0
		.amdhsa_system_sgpr_workgroup_id_x 1
		.amdhsa_system_sgpr_workgroup_id_y 0
		.amdhsa_system_sgpr_workgroup_id_z 0
		.amdhsa_system_sgpr_workgroup_info 0
		.amdhsa_system_vgpr_workitem_id 0
		.amdhsa_next_free_vgpr 8
		.amdhsa_next_free_sgpr 14
		.amdhsa_reserve_vcc 1
		.amdhsa_reserve_flat_scratch 0
		.amdhsa_float_round_mode_32 0
		.amdhsa_float_round_mode_16_64 0
		.amdhsa_float_denorm_mode_32 3
		.amdhsa_float_denorm_mode_16_64 3
		.amdhsa_dx10_clamp 1
		.amdhsa_ieee_mode 1
		.amdhsa_fp16_overflow 0
		.amdhsa_exception_fp_ieee_invalid_op 0
		.amdhsa_exception_fp_denorm_src 0
		.amdhsa_exception_fp_ieee_div_zero 0
		.amdhsa_exception_fp_ieee_overflow 0
		.amdhsa_exception_fp_ieee_underflow 0
		.amdhsa_exception_fp_ieee_inexact 0
		.amdhsa_exception_int_div_zero 0
	.end_amdhsa_kernel
	.section	.text._Z33warp_inclusive_scan_reduce_kernelIfLj64ELj8EENSt9enable_ifIXsr10test_utilsE35device_test_enabled_for_warp_size_vIXT1_EEEvE4typeEPT_S4_S4_,"axG",@progbits,_Z33warp_inclusive_scan_reduce_kernelIfLj64ELj8EENSt9enable_ifIXsr10test_utilsE35device_test_enabled_for_warp_size_vIXT1_EEEvE4typeEPT_S4_S4_,comdat
.Lfunc_end98:
	.size	_Z33warp_inclusive_scan_reduce_kernelIfLj64ELj8EENSt9enable_ifIXsr10test_utilsE35device_test_enabled_for_warp_size_vIXT1_EEEvE4typeEPT_S4_S4_, .Lfunc_end98-_Z33warp_inclusive_scan_reduce_kernelIfLj64ELj8EENSt9enable_ifIXsr10test_utilsE35device_test_enabled_for_warp_size_vIXT1_EEEvE4typeEPT_S4_S4_
                                        ; -- End function
	.set _Z33warp_inclusive_scan_reduce_kernelIfLj64ELj8EENSt9enable_ifIXsr10test_utilsE35device_test_enabled_for_warp_size_vIXT1_EEEvE4typeEPT_S4_S4_.num_vgpr, 8
	.set _Z33warp_inclusive_scan_reduce_kernelIfLj64ELj8EENSt9enable_ifIXsr10test_utilsE35device_test_enabled_for_warp_size_vIXT1_EEEvE4typeEPT_S4_S4_.num_agpr, 0
	.set _Z33warp_inclusive_scan_reduce_kernelIfLj64ELj8EENSt9enable_ifIXsr10test_utilsE35device_test_enabled_for_warp_size_vIXT1_EEEvE4typeEPT_S4_S4_.numbered_sgpr, 14
	.set _Z33warp_inclusive_scan_reduce_kernelIfLj64ELj8EENSt9enable_ifIXsr10test_utilsE35device_test_enabled_for_warp_size_vIXT1_EEEvE4typeEPT_S4_S4_.num_named_barrier, 0
	.set _Z33warp_inclusive_scan_reduce_kernelIfLj64ELj8EENSt9enable_ifIXsr10test_utilsE35device_test_enabled_for_warp_size_vIXT1_EEEvE4typeEPT_S4_S4_.private_seg_size, 0
	.set _Z33warp_inclusive_scan_reduce_kernelIfLj64ELj8EENSt9enable_ifIXsr10test_utilsE35device_test_enabled_for_warp_size_vIXT1_EEEvE4typeEPT_S4_S4_.uses_vcc, 1
	.set _Z33warp_inclusive_scan_reduce_kernelIfLj64ELj8EENSt9enable_ifIXsr10test_utilsE35device_test_enabled_for_warp_size_vIXT1_EEEvE4typeEPT_S4_S4_.uses_flat_scratch, 0
	.set _Z33warp_inclusive_scan_reduce_kernelIfLj64ELj8EENSt9enable_ifIXsr10test_utilsE35device_test_enabled_for_warp_size_vIXT1_EEEvE4typeEPT_S4_S4_.has_dyn_sized_stack, 0
	.set _Z33warp_inclusive_scan_reduce_kernelIfLj64ELj8EENSt9enable_ifIXsr10test_utilsE35device_test_enabled_for_warp_size_vIXT1_EEEvE4typeEPT_S4_S4_.has_recursion, 0
	.set _Z33warp_inclusive_scan_reduce_kernelIfLj64ELj8EENSt9enable_ifIXsr10test_utilsE35device_test_enabled_for_warp_size_vIXT1_EEEvE4typeEPT_S4_S4_.has_indirect_call, 0
	.section	.AMDGPU.csdata,"",@progbits
; Kernel info:
; codeLenInByte = 360
; TotalNumSgprs: 18
; NumVgprs: 8
; ScratchSize: 0
; MemoryBound: 0
; FloatMode: 240
; IeeeMode: 1
; LDSByteSize: 0 bytes/workgroup (compile time only)
; SGPRBlocks: 2
; VGPRBlocks: 1
; NumSGPRsForWavesPerEU: 18
; NumVGPRsForWavesPerEU: 8
; Occupancy: 10
; WaveLimiterHint : 0
; COMPUTE_PGM_RSRC2:SCRATCH_EN: 0
; COMPUTE_PGM_RSRC2:USER_SGPR: 6
; COMPUTE_PGM_RSRC2:TRAP_HANDLER: 0
; COMPUTE_PGM_RSRC2:TGID_X_EN: 1
; COMPUTE_PGM_RSRC2:TGID_Y_EN: 0
; COMPUTE_PGM_RSRC2:TGID_Z_EN: 0
; COMPUTE_PGM_RSRC2:TIDIG_COMP_CNT: 0
	.section	.text._Z33warp_inclusive_scan_reduce_kernelIfLj32ELj4EENSt9enable_ifIXsr10test_utilsE35device_test_enabled_for_warp_size_vIXT1_EEEvE4typeEPT_S4_S4_,"axG",@progbits,_Z33warp_inclusive_scan_reduce_kernelIfLj32ELj4EENSt9enable_ifIXsr10test_utilsE35device_test_enabled_for_warp_size_vIXT1_EEEvE4typeEPT_S4_S4_,comdat
	.protected	_Z33warp_inclusive_scan_reduce_kernelIfLj32ELj4EENSt9enable_ifIXsr10test_utilsE35device_test_enabled_for_warp_size_vIXT1_EEEvE4typeEPT_S4_S4_ ; -- Begin function _Z33warp_inclusive_scan_reduce_kernelIfLj32ELj4EENSt9enable_ifIXsr10test_utilsE35device_test_enabled_for_warp_size_vIXT1_EEEvE4typeEPT_S4_S4_
	.globl	_Z33warp_inclusive_scan_reduce_kernelIfLj32ELj4EENSt9enable_ifIXsr10test_utilsE35device_test_enabled_for_warp_size_vIXT1_EEEvE4typeEPT_S4_S4_
	.p2align	8
	.type	_Z33warp_inclusive_scan_reduce_kernelIfLj32ELj4EENSt9enable_ifIXsr10test_utilsE35device_test_enabled_for_warp_size_vIXT1_EEEvE4typeEPT_S4_S4_,@function
_Z33warp_inclusive_scan_reduce_kernelIfLj32ELj4EENSt9enable_ifIXsr10test_utilsE35device_test_enabled_for_warp_size_vIXT1_EEEvE4typeEPT_S4_S4_: ; @_Z33warp_inclusive_scan_reduce_kernelIfLj32ELj4EENSt9enable_ifIXsr10test_utilsE35device_test_enabled_for_warp_size_vIXT1_EEEvE4typeEPT_S4_S4_
; %bb.0:
	s_load_dwordx4 s[8:11], s[4:5], 0x0
	s_load_dwordx2 s[12:13], s[4:5], 0x10
	v_lshl_or_b32 v1, s6, 5, v0
	v_mov_b32_e32 v2, 0
	v_lshlrev_b64 v[2:3], 2, v[1:2]
	s_waitcnt lgkmcnt(0)
	v_mov_b32_e32 v5, s9
	v_add_co_u32_e32 v4, vcc, s8, v2
	v_addc_co_u32_e32 v5, vcc, v5, v3, vcc
	global_load_dword v5, v[4:5], off
	v_mbcnt_lo_u32_b32 v4, -1, 0
	s_bitcmp1_b32 s6, 0
	v_mbcnt_hi_u32_b32 v4, -1, v4
	s_cselect_b64 s[4:5], -1, 0
	v_and_b32_e32 v6, 3, v4
	v_cmp_eq_u32_e64 s[2:3], 0, v6
	v_cmp_lt_u32_e64 s[0:1], 1, v6
	v_lshl_or_b32 v6, v4, 2, 12
	s_and_b64 vcc, exec, s[4:5]
	s_cbranch_vccz .LBB99_2
; %bb.1:
	s_waitcnt vmcnt(0)
	v_mov_b32_dpp v4, v5 row_shr:1 row_mask:0xf bank_mask:0xf
	v_add_f32_e32 v4, v5, v4
	v_cndmask_b32_e64 v4, v4, v5, s[2:3]
	s_nop 1
	v_mov_b32_dpp v7, v4 row_shr:2 row_mask:0xf bank_mask:0xf
	v_add_f32_e32 v7, v4, v7
	v_cndmask_b32_e64 v7, v4, v7, s[0:1]
	ds_bpermute_b32 v4, v6, v7
	s_cbranch_execz .LBB99_3
	s_branch .LBB99_4
.LBB99_2:
                                        ; implicit-def: $vgpr7
                                        ; implicit-def: $vgpr4
.LBB99_3:
	s_waitcnt vmcnt(0) lgkmcnt(0)
	s_nop 0
	v_mov_b32_dpp v4, v5 row_shr:1 row_mask:0xf bank_mask:0xf
	v_add_f32_e32 v4, v5, v4
	v_cndmask_b32_e64 v4, v4, v5, s[2:3]
	s_nop 1
	v_mov_b32_dpp v5, v4 row_shr:2 row_mask:0xf bank_mask:0xf
	v_add_f32_e32 v5, v4, v5
	v_cndmask_b32_e64 v7, v4, v5, s[0:1]
	ds_bpermute_b32 v4, v6, v7
.LBB99_4:
	s_waitcnt vmcnt(0)
	v_mov_b32_e32 v5, s11
	v_add_co_u32_e32 v2, vcc, s10, v2
	v_addc_co_u32_e32 v3, vcc, v5, v3, vcc
	v_and_b32_e32 v0, 3, v0
	v_cmp_eq_u32_e32 vcc, 0, v0
	global_store_dword v[2:3], v7, off
	s_and_saveexec_b64 s[0:1], vcc
	s_cbranch_execz .LBB99_6
; %bb.5:
	v_mov_b32_e32 v2, s13
	v_add_co_u32_e32 v0, vcc, s12, v1
	v_addc_co_u32_e32 v1, vcc, 0, v2, vcc
	s_waitcnt lgkmcnt(0)
	global_store_dword v[0:1], v4, off
.LBB99_6:
	s_endpgm
	.section	.rodata,"a",@progbits
	.p2align	6, 0x0
	.amdhsa_kernel _Z33warp_inclusive_scan_reduce_kernelIfLj32ELj4EENSt9enable_ifIXsr10test_utilsE35device_test_enabled_for_warp_size_vIXT1_EEEvE4typeEPT_S4_S4_
		.amdhsa_group_segment_fixed_size 0
		.amdhsa_private_segment_fixed_size 0
		.amdhsa_kernarg_size 24
		.amdhsa_user_sgpr_count 6
		.amdhsa_user_sgpr_private_segment_buffer 1
		.amdhsa_user_sgpr_dispatch_ptr 0
		.amdhsa_user_sgpr_queue_ptr 0
		.amdhsa_user_sgpr_kernarg_segment_ptr 1
		.amdhsa_user_sgpr_dispatch_id 0
		.amdhsa_user_sgpr_flat_scratch_init 0
		.amdhsa_user_sgpr_private_segment_size 0
		.amdhsa_uses_dynamic_stack 0
		.amdhsa_system_sgpr_private_segment_wavefront_offset 0
		.amdhsa_system_sgpr_workgroup_id_x 1
		.amdhsa_system_sgpr_workgroup_id_y 0
		.amdhsa_system_sgpr_workgroup_id_z 0
		.amdhsa_system_sgpr_workgroup_info 0
		.amdhsa_system_vgpr_workitem_id 0
		.amdhsa_next_free_vgpr 8
		.amdhsa_next_free_sgpr 14
		.amdhsa_reserve_vcc 1
		.amdhsa_reserve_flat_scratch 0
		.amdhsa_float_round_mode_32 0
		.amdhsa_float_round_mode_16_64 0
		.amdhsa_float_denorm_mode_32 3
		.amdhsa_float_denorm_mode_16_64 3
		.amdhsa_dx10_clamp 1
		.amdhsa_ieee_mode 1
		.amdhsa_fp16_overflow 0
		.amdhsa_exception_fp_ieee_invalid_op 0
		.amdhsa_exception_fp_denorm_src 0
		.amdhsa_exception_fp_ieee_div_zero 0
		.amdhsa_exception_fp_ieee_overflow 0
		.amdhsa_exception_fp_ieee_underflow 0
		.amdhsa_exception_fp_ieee_inexact 0
		.amdhsa_exception_int_div_zero 0
	.end_amdhsa_kernel
	.section	.text._Z33warp_inclusive_scan_reduce_kernelIfLj32ELj4EENSt9enable_ifIXsr10test_utilsE35device_test_enabled_for_warp_size_vIXT1_EEEvE4typeEPT_S4_S4_,"axG",@progbits,_Z33warp_inclusive_scan_reduce_kernelIfLj32ELj4EENSt9enable_ifIXsr10test_utilsE35device_test_enabled_for_warp_size_vIXT1_EEEvE4typeEPT_S4_S4_,comdat
.Lfunc_end99:
	.size	_Z33warp_inclusive_scan_reduce_kernelIfLj32ELj4EENSt9enable_ifIXsr10test_utilsE35device_test_enabled_for_warp_size_vIXT1_EEEvE4typeEPT_S4_S4_, .Lfunc_end99-_Z33warp_inclusive_scan_reduce_kernelIfLj32ELj4EENSt9enable_ifIXsr10test_utilsE35device_test_enabled_for_warp_size_vIXT1_EEEvE4typeEPT_S4_S4_
                                        ; -- End function
	.set _Z33warp_inclusive_scan_reduce_kernelIfLj32ELj4EENSt9enable_ifIXsr10test_utilsE35device_test_enabled_for_warp_size_vIXT1_EEEvE4typeEPT_S4_S4_.num_vgpr, 8
	.set _Z33warp_inclusive_scan_reduce_kernelIfLj32ELj4EENSt9enable_ifIXsr10test_utilsE35device_test_enabled_for_warp_size_vIXT1_EEEvE4typeEPT_S4_S4_.num_agpr, 0
	.set _Z33warp_inclusive_scan_reduce_kernelIfLj32ELj4EENSt9enable_ifIXsr10test_utilsE35device_test_enabled_for_warp_size_vIXT1_EEEvE4typeEPT_S4_S4_.numbered_sgpr, 14
	.set _Z33warp_inclusive_scan_reduce_kernelIfLj32ELj4EENSt9enable_ifIXsr10test_utilsE35device_test_enabled_for_warp_size_vIXT1_EEEvE4typeEPT_S4_S4_.num_named_barrier, 0
	.set _Z33warp_inclusive_scan_reduce_kernelIfLj32ELj4EENSt9enable_ifIXsr10test_utilsE35device_test_enabled_for_warp_size_vIXT1_EEEvE4typeEPT_S4_S4_.private_seg_size, 0
	.set _Z33warp_inclusive_scan_reduce_kernelIfLj32ELj4EENSt9enable_ifIXsr10test_utilsE35device_test_enabled_for_warp_size_vIXT1_EEEvE4typeEPT_S4_S4_.uses_vcc, 1
	.set _Z33warp_inclusive_scan_reduce_kernelIfLj32ELj4EENSt9enable_ifIXsr10test_utilsE35device_test_enabled_for_warp_size_vIXT1_EEEvE4typeEPT_S4_S4_.uses_flat_scratch, 0
	.set _Z33warp_inclusive_scan_reduce_kernelIfLj32ELj4EENSt9enable_ifIXsr10test_utilsE35device_test_enabled_for_warp_size_vIXT1_EEEvE4typeEPT_S4_S4_.has_dyn_sized_stack, 0
	.set _Z33warp_inclusive_scan_reduce_kernelIfLj32ELj4EENSt9enable_ifIXsr10test_utilsE35device_test_enabled_for_warp_size_vIXT1_EEEvE4typeEPT_S4_S4_.has_recursion, 0
	.set _Z33warp_inclusive_scan_reduce_kernelIfLj32ELj4EENSt9enable_ifIXsr10test_utilsE35device_test_enabled_for_warp_size_vIXT1_EEEvE4typeEPT_S4_S4_.has_indirect_call, 0
	.section	.AMDGPU.csdata,"",@progbits
; Kernel info:
; codeLenInByte = 312
; TotalNumSgprs: 18
; NumVgprs: 8
; ScratchSize: 0
; MemoryBound: 0
; FloatMode: 240
; IeeeMode: 1
; LDSByteSize: 0 bytes/workgroup (compile time only)
; SGPRBlocks: 2
; VGPRBlocks: 1
; NumSGPRsForWavesPerEU: 18
; NumVGPRsForWavesPerEU: 8
; Occupancy: 10
; WaveLimiterHint : 0
; COMPUTE_PGM_RSRC2:SCRATCH_EN: 0
; COMPUTE_PGM_RSRC2:USER_SGPR: 6
; COMPUTE_PGM_RSRC2:TRAP_HANDLER: 0
; COMPUTE_PGM_RSRC2:TGID_X_EN: 1
; COMPUTE_PGM_RSRC2:TGID_Y_EN: 0
; COMPUTE_PGM_RSRC2:TGID_Z_EN: 0
; COMPUTE_PGM_RSRC2:TIDIG_COMP_CNT: 0
	.section	.text._Z33warp_inclusive_scan_reduce_kernelIfLj64ELj4EENSt9enable_ifIXsr10test_utilsE35device_test_enabled_for_warp_size_vIXT1_EEEvE4typeEPT_S4_S4_,"axG",@progbits,_Z33warp_inclusive_scan_reduce_kernelIfLj64ELj4EENSt9enable_ifIXsr10test_utilsE35device_test_enabled_for_warp_size_vIXT1_EEEvE4typeEPT_S4_S4_,comdat
	.protected	_Z33warp_inclusive_scan_reduce_kernelIfLj64ELj4EENSt9enable_ifIXsr10test_utilsE35device_test_enabled_for_warp_size_vIXT1_EEEvE4typeEPT_S4_S4_ ; -- Begin function _Z33warp_inclusive_scan_reduce_kernelIfLj64ELj4EENSt9enable_ifIXsr10test_utilsE35device_test_enabled_for_warp_size_vIXT1_EEEvE4typeEPT_S4_S4_
	.globl	_Z33warp_inclusive_scan_reduce_kernelIfLj64ELj4EENSt9enable_ifIXsr10test_utilsE35device_test_enabled_for_warp_size_vIXT1_EEEvE4typeEPT_S4_S4_
	.p2align	8
	.type	_Z33warp_inclusive_scan_reduce_kernelIfLj64ELj4EENSt9enable_ifIXsr10test_utilsE35device_test_enabled_for_warp_size_vIXT1_EEEvE4typeEPT_S4_S4_,@function
_Z33warp_inclusive_scan_reduce_kernelIfLj64ELj4EENSt9enable_ifIXsr10test_utilsE35device_test_enabled_for_warp_size_vIXT1_EEEvE4typeEPT_S4_S4_: ; @_Z33warp_inclusive_scan_reduce_kernelIfLj64ELj4EENSt9enable_ifIXsr10test_utilsE35device_test_enabled_for_warp_size_vIXT1_EEEvE4typeEPT_S4_S4_
; %bb.0:
	s_load_dwordx4 s[8:11], s[4:5], 0x0
	s_load_dwordx2 s[12:13], s[4:5], 0x10
	v_lshl_or_b32 v1, s6, 6, v0
	v_mov_b32_e32 v2, 0
	v_lshlrev_b64 v[2:3], 2, v[1:2]
	s_waitcnt lgkmcnt(0)
	v_mov_b32_e32 v5, s9
	v_add_co_u32_e32 v4, vcc, s8, v2
	v_addc_co_u32_e32 v5, vcc, v5, v3, vcc
	global_load_dword v5, v[4:5], off
	v_mbcnt_lo_u32_b32 v4, -1, 0
	s_bitcmp1_b32 s6, 0
	v_mbcnt_hi_u32_b32 v4, -1, v4
	s_cselect_b64 s[4:5], -1, 0
	v_and_b32_e32 v6, 3, v4
	v_cmp_eq_u32_e64 s[2:3], 0, v6
	v_cmp_lt_u32_e64 s[0:1], 1, v6
	v_lshl_or_b32 v6, v4, 2, 12
	s_and_b64 vcc, exec, s[4:5]
	s_cbranch_vccz .LBB100_2
; %bb.1:
	s_waitcnt vmcnt(0)
	v_mov_b32_dpp v4, v5 row_shr:1 row_mask:0xf bank_mask:0xf
	v_add_f32_e32 v4, v5, v4
	v_cndmask_b32_e64 v4, v4, v5, s[2:3]
	s_nop 1
	v_mov_b32_dpp v7, v4 row_shr:2 row_mask:0xf bank_mask:0xf
	v_add_f32_e32 v7, v4, v7
	v_cndmask_b32_e64 v7, v4, v7, s[0:1]
	ds_bpermute_b32 v4, v6, v7
	s_cbranch_execz .LBB100_3
	s_branch .LBB100_4
.LBB100_2:
                                        ; implicit-def: $vgpr7
                                        ; implicit-def: $vgpr4
.LBB100_3:
	s_waitcnt vmcnt(0) lgkmcnt(0)
	s_nop 0
	v_mov_b32_dpp v4, v5 row_shr:1 row_mask:0xf bank_mask:0xf
	v_add_f32_e32 v4, v5, v4
	v_cndmask_b32_e64 v4, v4, v5, s[2:3]
	s_nop 1
	v_mov_b32_dpp v5, v4 row_shr:2 row_mask:0xf bank_mask:0xf
	v_add_f32_e32 v5, v4, v5
	v_cndmask_b32_e64 v7, v4, v5, s[0:1]
	ds_bpermute_b32 v4, v6, v7
.LBB100_4:
	s_waitcnt vmcnt(0)
	v_mov_b32_e32 v5, s11
	v_add_co_u32_e32 v2, vcc, s10, v2
	v_addc_co_u32_e32 v3, vcc, v5, v3, vcc
	v_and_b32_e32 v0, 3, v0
	v_cmp_eq_u32_e32 vcc, 0, v0
	global_store_dword v[2:3], v7, off
	s_and_saveexec_b64 s[0:1], vcc
	s_cbranch_execz .LBB100_6
; %bb.5:
	v_mov_b32_e32 v2, s13
	v_add_co_u32_e32 v0, vcc, s12, v1
	v_addc_co_u32_e32 v1, vcc, 0, v2, vcc
	s_waitcnt lgkmcnt(0)
	global_store_dword v[0:1], v4, off
.LBB100_6:
	s_endpgm
	.section	.rodata,"a",@progbits
	.p2align	6, 0x0
	.amdhsa_kernel _Z33warp_inclusive_scan_reduce_kernelIfLj64ELj4EENSt9enable_ifIXsr10test_utilsE35device_test_enabled_for_warp_size_vIXT1_EEEvE4typeEPT_S4_S4_
		.amdhsa_group_segment_fixed_size 0
		.amdhsa_private_segment_fixed_size 0
		.amdhsa_kernarg_size 24
		.amdhsa_user_sgpr_count 6
		.amdhsa_user_sgpr_private_segment_buffer 1
		.amdhsa_user_sgpr_dispatch_ptr 0
		.amdhsa_user_sgpr_queue_ptr 0
		.amdhsa_user_sgpr_kernarg_segment_ptr 1
		.amdhsa_user_sgpr_dispatch_id 0
		.amdhsa_user_sgpr_flat_scratch_init 0
		.amdhsa_user_sgpr_private_segment_size 0
		.amdhsa_uses_dynamic_stack 0
		.amdhsa_system_sgpr_private_segment_wavefront_offset 0
		.amdhsa_system_sgpr_workgroup_id_x 1
		.amdhsa_system_sgpr_workgroup_id_y 0
		.amdhsa_system_sgpr_workgroup_id_z 0
		.amdhsa_system_sgpr_workgroup_info 0
		.amdhsa_system_vgpr_workitem_id 0
		.amdhsa_next_free_vgpr 8
		.amdhsa_next_free_sgpr 14
		.amdhsa_reserve_vcc 1
		.amdhsa_reserve_flat_scratch 0
		.amdhsa_float_round_mode_32 0
		.amdhsa_float_round_mode_16_64 0
		.amdhsa_float_denorm_mode_32 3
		.amdhsa_float_denorm_mode_16_64 3
		.amdhsa_dx10_clamp 1
		.amdhsa_ieee_mode 1
		.amdhsa_fp16_overflow 0
		.amdhsa_exception_fp_ieee_invalid_op 0
		.amdhsa_exception_fp_denorm_src 0
		.amdhsa_exception_fp_ieee_div_zero 0
		.amdhsa_exception_fp_ieee_overflow 0
		.amdhsa_exception_fp_ieee_underflow 0
		.amdhsa_exception_fp_ieee_inexact 0
		.amdhsa_exception_int_div_zero 0
	.end_amdhsa_kernel
	.section	.text._Z33warp_inclusive_scan_reduce_kernelIfLj64ELj4EENSt9enable_ifIXsr10test_utilsE35device_test_enabled_for_warp_size_vIXT1_EEEvE4typeEPT_S4_S4_,"axG",@progbits,_Z33warp_inclusive_scan_reduce_kernelIfLj64ELj4EENSt9enable_ifIXsr10test_utilsE35device_test_enabled_for_warp_size_vIXT1_EEEvE4typeEPT_S4_S4_,comdat
.Lfunc_end100:
	.size	_Z33warp_inclusive_scan_reduce_kernelIfLj64ELj4EENSt9enable_ifIXsr10test_utilsE35device_test_enabled_for_warp_size_vIXT1_EEEvE4typeEPT_S4_S4_, .Lfunc_end100-_Z33warp_inclusive_scan_reduce_kernelIfLj64ELj4EENSt9enable_ifIXsr10test_utilsE35device_test_enabled_for_warp_size_vIXT1_EEEvE4typeEPT_S4_S4_
                                        ; -- End function
	.set _Z33warp_inclusive_scan_reduce_kernelIfLj64ELj4EENSt9enable_ifIXsr10test_utilsE35device_test_enabled_for_warp_size_vIXT1_EEEvE4typeEPT_S4_S4_.num_vgpr, 8
	.set _Z33warp_inclusive_scan_reduce_kernelIfLj64ELj4EENSt9enable_ifIXsr10test_utilsE35device_test_enabled_for_warp_size_vIXT1_EEEvE4typeEPT_S4_S4_.num_agpr, 0
	.set _Z33warp_inclusive_scan_reduce_kernelIfLj64ELj4EENSt9enable_ifIXsr10test_utilsE35device_test_enabled_for_warp_size_vIXT1_EEEvE4typeEPT_S4_S4_.numbered_sgpr, 14
	.set _Z33warp_inclusive_scan_reduce_kernelIfLj64ELj4EENSt9enable_ifIXsr10test_utilsE35device_test_enabled_for_warp_size_vIXT1_EEEvE4typeEPT_S4_S4_.num_named_barrier, 0
	.set _Z33warp_inclusive_scan_reduce_kernelIfLj64ELj4EENSt9enable_ifIXsr10test_utilsE35device_test_enabled_for_warp_size_vIXT1_EEEvE4typeEPT_S4_S4_.private_seg_size, 0
	.set _Z33warp_inclusive_scan_reduce_kernelIfLj64ELj4EENSt9enable_ifIXsr10test_utilsE35device_test_enabled_for_warp_size_vIXT1_EEEvE4typeEPT_S4_S4_.uses_vcc, 1
	.set _Z33warp_inclusive_scan_reduce_kernelIfLj64ELj4EENSt9enable_ifIXsr10test_utilsE35device_test_enabled_for_warp_size_vIXT1_EEEvE4typeEPT_S4_S4_.uses_flat_scratch, 0
	.set _Z33warp_inclusive_scan_reduce_kernelIfLj64ELj4EENSt9enable_ifIXsr10test_utilsE35device_test_enabled_for_warp_size_vIXT1_EEEvE4typeEPT_S4_S4_.has_dyn_sized_stack, 0
	.set _Z33warp_inclusive_scan_reduce_kernelIfLj64ELj4EENSt9enable_ifIXsr10test_utilsE35device_test_enabled_for_warp_size_vIXT1_EEEvE4typeEPT_S4_S4_.has_recursion, 0
	.set _Z33warp_inclusive_scan_reduce_kernelIfLj64ELj4EENSt9enable_ifIXsr10test_utilsE35device_test_enabled_for_warp_size_vIXT1_EEEvE4typeEPT_S4_S4_.has_indirect_call, 0
	.section	.AMDGPU.csdata,"",@progbits
; Kernel info:
; codeLenInByte = 312
; TotalNumSgprs: 18
; NumVgprs: 8
; ScratchSize: 0
; MemoryBound: 0
; FloatMode: 240
; IeeeMode: 1
; LDSByteSize: 0 bytes/workgroup (compile time only)
; SGPRBlocks: 2
; VGPRBlocks: 1
; NumSGPRsForWavesPerEU: 18
; NumVGPRsForWavesPerEU: 8
; Occupancy: 10
; WaveLimiterHint : 0
; COMPUTE_PGM_RSRC2:SCRATCH_EN: 0
; COMPUTE_PGM_RSRC2:USER_SGPR: 6
; COMPUTE_PGM_RSRC2:TRAP_HANDLER: 0
; COMPUTE_PGM_RSRC2:TGID_X_EN: 1
; COMPUTE_PGM_RSRC2:TGID_Y_EN: 0
; COMPUTE_PGM_RSRC2:TGID_Z_EN: 0
; COMPUTE_PGM_RSRC2:TIDIG_COMP_CNT: 0
	.section	.text._Z33warp_inclusive_scan_reduce_kernelIfLj32ELj2EENSt9enable_ifIXsr10test_utilsE35device_test_enabled_for_warp_size_vIXT1_EEEvE4typeEPT_S4_S4_,"axG",@progbits,_Z33warp_inclusive_scan_reduce_kernelIfLj32ELj2EENSt9enable_ifIXsr10test_utilsE35device_test_enabled_for_warp_size_vIXT1_EEEvE4typeEPT_S4_S4_,comdat
	.protected	_Z33warp_inclusive_scan_reduce_kernelIfLj32ELj2EENSt9enable_ifIXsr10test_utilsE35device_test_enabled_for_warp_size_vIXT1_EEEvE4typeEPT_S4_S4_ ; -- Begin function _Z33warp_inclusive_scan_reduce_kernelIfLj32ELj2EENSt9enable_ifIXsr10test_utilsE35device_test_enabled_for_warp_size_vIXT1_EEEvE4typeEPT_S4_S4_
	.globl	_Z33warp_inclusive_scan_reduce_kernelIfLj32ELj2EENSt9enable_ifIXsr10test_utilsE35device_test_enabled_for_warp_size_vIXT1_EEEvE4typeEPT_S4_S4_
	.p2align	8
	.type	_Z33warp_inclusive_scan_reduce_kernelIfLj32ELj2EENSt9enable_ifIXsr10test_utilsE35device_test_enabled_for_warp_size_vIXT1_EEEvE4typeEPT_S4_S4_,@function
_Z33warp_inclusive_scan_reduce_kernelIfLj32ELj2EENSt9enable_ifIXsr10test_utilsE35device_test_enabled_for_warp_size_vIXT1_EEEvE4typeEPT_S4_S4_: ; @_Z33warp_inclusive_scan_reduce_kernelIfLj32ELj2EENSt9enable_ifIXsr10test_utilsE35device_test_enabled_for_warp_size_vIXT1_EEEvE4typeEPT_S4_S4_
; %bb.0:
	s_load_dwordx4 s[0:3], s[4:5], 0x0
	s_load_dwordx2 s[8:9], s[4:5], 0x10
	v_lshl_or_b32 v1, s6, 5, v0
	v_mov_b32_e32 v2, 0
	v_lshlrev_b64 v[2:3], 2, v[1:2]
	s_waitcnt lgkmcnt(0)
	v_mov_b32_e32 v5, s1
	v_add_co_u32_e32 v4, vcc, s0, v2
	v_addc_co_u32_e32 v5, vcc, v5, v3, vcc
	global_load_dword v5, v[4:5], off
	v_mbcnt_lo_u32_b32 v4, -1, 0
	s_bitcmp1_b32 s6, 0
	v_mbcnt_hi_u32_b32 v4, -1, v4
	s_cselect_b64 s[4:5], -1, 0
	v_and_b32_e32 v6, 1, v4
	v_cmp_eq_u32_e64 s[0:1], 0, v6
	v_lshl_or_b32 v7, v4, 2, 4
	s_and_b64 vcc, exec, s[4:5]
	s_cbranch_vccz .LBB101_2
; %bb.1:
	s_waitcnt vmcnt(0)
	v_mov_b32_dpp v4, v5 row_shr:1 row_mask:0xf bank_mask:0xf
	v_add_f32_e32 v4, v5, v4
	v_cndmask_b32_e64 v6, v4, v5, s[0:1]
	ds_bpermute_b32 v4, v7, v6
	s_cbranch_execz .LBB101_3
	s_branch .LBB101_4
.LBB101_2:
                                        ; implicit-def: $vgpr6
                                        ; implicit-def: $vgpr4
.LBB101_3:
	s_waitcnt vmcnt(0) lgkmcnt(0)
	s_nop 0
	v_mov_b32_dpp v4, v5 row_shr:1 row_mask:0xf bank_mask:0xf
	v_add_f32_e32 v4, v5, v4
	v_cndmask_b32_e64 v6, v4, v5, s[0:1]
	ds_bpermute_b32 v4, v7, v6
.LBB101_4:
	s_waitcnt vmcnt(0)
	v_mov_b32_e32 v5, s3
	v_add_co_u32_e32 v2, vcc, s2, v2
	v_addc_co_u32_e32 v3, vcc, v5, v3, vcc
	v_and_b32_e32 v0, 1, v0
	v_cmp_eq_u32_e32 vcc, 0, v0
	global_store_dword v[2:3], v6, off
	s_and_saveexec_b64 s[0:1], vcc
	s_cbranch_execz .LBB101_6
; %bb.5:
	v_lshrrev_b32_e32 v0, 1, v1
	v_mov_b32_e32 v1, 0
	v_lshlrev_b64 v[0:1], 2, v[0:1]
	v_mov_b32_e32 v2, s9
	v_add_co_u32_e32 v0, vcc, s8, v0
	v_addc_co_u32_e32 v1, vcc, v2, v1, vcc
	s_waitcnt lgkmcnt(0)
	global_store_dword v[0:1], v4, off
.LBB101_6:
	s_endpgm
	.section	.rodata,"a",@progbits
	.p2align	6, 0x0
	.amdhsa_kernel _Z33warp_inclusive_scan_reduce_kernelIfLj32ELj2EENSt9enable_ifIXsr10test_utilsE35device_test_enabled_for_warp_size_vIXT1_EEEvE4typeEPT_S4_S4_
		.amdhsa_group_segment_fixed_size 0
		.amdhsa_private_segment_fixed_size 0
		.amdhsa_kernarg_size 24
		.amdhsa_user_sgpr_count 6
		.amdhsa_user_sgpr_private_segment_buffer 1
		.amdhsa_user_sgpr_dispatch_ptr 0
		.amdhsa_user_sgpr_queue_ptr 0
		.amdhsa_user_sgpr_kernarg_segment_ptr 1
		.amdhsa_user_sgpr_dispatch_id 0
		.amdhsa_user_sgpr_flat_scratch_init 0
		.amdhsa_user_sgpr_private_segment_size 0
		.amdhsa_uses_dynamic_stack 0
		.amdhsa_system_sgpr_private_segment_wavefront_offset 0
		.amdhsa_system_sgpr_workgroup_id_x 1
		.amdhsa_system_sgpr_workgroup_id_y 0
		.amdhsa_system_sgpr_workgroup_id_z 0
		.amdhsa_system_sgpr_workgroup_info 0
		.amdhsa_system_vgpr_workitem_id 0
		.amdhsa_next_free_vgpr 8
		.amdhsa_next_free_sgpr 10
		.amdhsa_reserve_vcc 1
		.amdhsa_reserve_flat_scratch 0
		.amdhsa_float_round_mode_32 0
		.amdhsa_float_round_mode_16_64 0
		.amdhsa_float_denorm_mode_32 3
		.amdhsa_float_denorm_mode_16_64 3
		.amdhsa_dx10_clamp 1
		.amdhsa_ieee_mode 1
		.amdhsa_fp16_overflow 0
		.amdhsa_exception_fp_ieee_invalid_op 0
		.amdhsa_exception_fp_denorm_src 0
		.amdhsa_exception_fp_ieee_div_zero 0
		.amdhsa_exception_fp_ieee_overflow 0
		.amdhsa_exception_fp_ieee_underflow 0
		.amdhsa_exception_fp_ieee_inexact 0
		.amdhsa_exception_int_div_zero 0
	.end_amdhsa_kernel
	.section	.text._Z33warp_inclusive_scan_reduce_kernelIfLj32ELj2EENSt9enable_ifIXsr10test_utilsE35device_test_enabled_for_warp_size_vIXT1_EEEvE4typeEPT_S4_S4_,"axG",@progbits,_Z33warp_inclusive_scan_reduce_kernelIfLj32ELj2EENSt9enable_ifIXsr10test_utilsE35device_test_enabled_for_warp_size_vIXT1_EEEvE4typeEPT_S4_S4_,comdat
.Lfunc_end101:
	.size	_Z33warp_inclusive_scan_reduce_kernelIfLj32ELj2EENSt9enable_ifIXsr10test_utilsE35device_test_enabled_for_warp_size_vIXT1_EEEvE4typeEPT_S4_S4_, .Lfunc_end101-_Z33warp_inclusive_scan_reduce_kernelIfLj32ELj2EENSt9enable_ifIXsr10test_utilsE35device_test_enabled_for_warp_size_vIXT1_EEEvE4typeEPT_S4_S4_
                                        ; -- End function
	.set _Z33warp_inclusive_scan_reduce_kernelIfLj32ELj2EENSt9enable_ifIXsr10test_utilsE35device_test_enabled_for_warp_size_vIXT1_EEEvE4typeEPT_S4_S4_.num_vgpr, 8
	.set _Z33warp_inclusive_scan_reduce_kernelIfLj32ELj2EENSt9enable_ifIXsr10test_utilsE35device_test_enabled_for_warp_size_vIXT1_EEEvE4typeEPT_S4_S4_.num_agpr, 0
	.set _Z33warp_inclusive_scan_reduce_kernelIfLj32ELj2EENSt9enable_ifIXsr10test_utilsE35device_test_enabled_for_warp_size_vIXT1_EEEvE4typeEPT_S4_S4_.numbered_sgpr, 10
	.set _Z33warp_inclusive_scan_reduce_kernelIfLj32ELj2EENSt9enable_ifIXsr10test_utilsE35device_test_enabled_for_warp_size_vIXT1_EEEvE4typeEPT_S4_S4_.num_named_barrier, 0
	.set _Z33warp_inclusive_scan_reduce_kernelIfLj32ELj2EENSt9enable_ifIXsr10test_utilsE35device_test_enabled_for_warp_size_vIXT1_EEEvE4typeEPT_S4_S4_.private_seg_size, 0
	.set _Z33warp_inclusive_scan_reduce_kernelIfLj32ELj2EENSt9enable_ifIXsr10test_utilsE35device_test_enabled_for_warp_size_vIXT1_EEEvE4typeEPT_S4_S4_.uses_vcc, 1
	.set _Z33warp_inclusive_scan_reduce_kernelIfLj32ELj2EENSt9enable_ifIXsr10test_utilsE35device_test_enabled_for_warp_size_vIXT1_EEEvE4typeEPT_S4_S4_.uses_flat_scratch, 0
	.set _Z33warp_inclusive_scan_reduce_kernelIfLj32ELj2EENSt9enable_ifIXsr10test_utilsE35device_test_enabled_for_warp_size_vIXT1_EEEvE4typeEPT_S4_S4_.has_dyn_sized_stack, 0
	.set _Z33warp_inclusive_scan_reduce_kernelIfLj32ELj2EENSt9enable_ifIXsr10test_utilsE35device_test_enabled_for_warp_size_vIXT1_EEEvE4typeEPT_S4_S4_.has_recursion, 0
	.set _Z33warp_inclusive_scan_reduce_kernelIfLj32ELj2EENSt9enable_ifIXsr10test_utilsE35device_test_enabled_for_warp_size_vIXT1_EEEvE4typeEPT_S4_S4_.has_indirect_call, 0
	.section	.AMDGPU.csdata,"",@progbits
; Kernel info:
; codeLenInByte = 272
; TotalNumSgprs: 14
; NumVgprs: 8
; ScratchSize: 0
; MemoryBound: 0
; FloatMode: 240
; IeeeMode: 1
; LDSByteSize: 0 bytes/workgroup (compile time only)
; SGPRBlocks: 1
; VGPRBlocks: 1
; NumSGPRsForWavesPerEU: 14
; NumVGPRsForWavesPerEU: 8
; Occupancy: 10
; WaveLimiterHint : 0
; COMPUTE_PGM_RSRC2:SCRATCH_EN: 0
; COMPUTE_PGM_RSRC2:USER_SGPR: 6
; COMPUTE_PGM_RSRC2:TRAP_HANDLER: 0
; COMPUTE_PGM_RSRC2:TGID_X_EN: 1
; COMPUTE_PGM_RSRC2:TGID_Y_EN: 0
; COMPUTE_PGM_RSRC2:TGID_Z_EN: 0
; COMPUTE_PGM_RSRC2:TIDIG_COMP_CNT: 0
	.section	.text._Z33warp_inclusive_scan_reduce_kernelIfLj64ELj2EENSt9enable_ifIXsr10test_utilsE35device_test_enabled_for_warp_size_vIXT1_EEEvE4typeEPT_S4_S4_,"axG",@progbits,_Z33warp_inclusive_scan_reduce_kernelIfLj64ELj2EENSt9enable_ifIXsr10test_utilsE35device_test_enabled_for_warp_size_vIXT1_EEEvE4typeEPT_S4_S4_,comdat
	.protected	_Z33warp_inclusive_scan_reduce_kernelIfLj64ELj2EENSt9enable_ifIXsr10test_utilsE35device_test_enabled_for_warp_size_vIXT1_EEEvE4typeEPT_S4_S4_ ; -- Begin function _Z33warp_inclusive_scan_reduce_kernelIfLj64ELj2EENSt9enable_ifIXsr10test_utilsE35device_test_enabled_for_warp_size_vIXT1_EEEvE4typeEPT_S4_S4_
	.globl	_Z33warp_inclusive_scan_reduce_kernelIfLj64ELj2EENSt9enable_ifIXsr10test_utilsE35device_test_enabled_for_warp_size_vIXT1_EEEvE4typeEPT_S4_S4_
	.p2align	8
	.type	_Z33warp_inclusive_scan_reduce_kernelIfLj64ELj2EENSt9enable_ifIXsr10test_utilsE35device_test_enabled_for_warp_size_vIXT1_EEEvE4typeEPT_S4_S4_,@function
_Z33warp_inclusive_scan_reduce_kernelIfLj64ELj2EENSt9enable_ifIXsr10test_utilsE35device_test_enabled_for_warp_size_vIXT1_EEEvE4typeEPT_S4_S4_: ; @_Z33warp_inclusive_scan_reduce_kernelIfLj64ELj2EENSt9enable_ifIXsr10test_utilsE35device_test_enabled_for_warp_size_vIXT1_EEEvE4typeEPT_S4_S4_
; %bb.0:
	s_load_dwordx4 s[0:3], s[4:5], 0x0
	s_load_dwordx2 s[8:9], s[4:5], 0x10
	v_lshl_or_b32 v1, s6, 6, v0
	v_mov_b32_e32 v2, 0
	v_lshlrev_b64 v[2:3], 2, v[1:2]
	s_waitcnt lgkmcnt(0)
	v_mov_b32_e32 v5, s1
	v_add_co_u32_e32 v4, vcc, s0, v2
	v_addc_co_u32_e32 v5, vcc, v5, v3, vcc
	global_load_dword v5, v[4:5], off
	v_mbcnt_lo_u32_b32 v4, -1, 0
	s_bitcmp1_b32 s6, 0
	v_mbcnt_hi_u32_b32 v4, -1, v4
	s_cselect_b64 s[4:5], -1, 0
	v_and_b32_e32 v6, 1, v4
	v_cmp_eq_u32_e64 s[0:1], 0, v6
	v_lshl_or_b32 v7, v4, 2, 4
	s_and_b64 vcc, exec, s[4:5]
	s_cbranch_vccz .LBB102_2
; %bb.1:
	s_waitcnt vmcnt(0)
	v_mov_b32_dpp v4, v5 row_shr:1 row_mask:0xf bank_mask:0xf
	v_add_f32_e32 v4, v5, v4
	v_cndmask_b32_e64 v6, v4, v5, s[0:1]
	ds_bpermute_b32 v4, v7, v6
	s_cbranch_execz .LBB102_3
	s_branch .LBB102_4
.LBB102_2:
                                        ; implicit-def: $vgpr6
                                        ; implicit-def: $vgpr4
.LBB102_3:
	s_waitcnt vmcnt(0) lgkmcnt(0)
	s_nop 0
	v_mov_b32_dpp v4, v5 row_shr:1 row_mask:0xf bank_mask:0xf
	v_add_f32_e32 v4, v5, v4
	v_cndmask_b32_e64 v6, v4, v5, s[0:1]
	ds_bpermute_b32 v4, v7, v6
.LBB102_4:
	s_waitcnt vmcnt(0)
	v_mov_b32_e32 v5, s3
	v_add_co_u32_e32 v2, vcc, s2, v2
	v_addc_co_u32_e32 v3, vcc, v5, v3, vcc
	v_and_b32_e32 v0, 1, v0
	v_cmp_eq_u32_e32 vcc, 0, v0
	global_store_dword v[2:3], v6, off
	s_and_saveexec_b64 s[0:1], vcc
	s_cbranch_execz .LBB102_6
; %bb.5:
	v_lshrrev_b32_e32 v0, 1, v1
	v_mov_b32_e32 v1, 0
	v_lshlrev_b64 v[0:1], 2, v[0:1]
	v_mov_b32_e32 v2, s9
	v_add_co_u32_e32 v0, vcc, s8, v0
	v_addc_co_u32_e32 v1, vcc, v2, v1, vcc
	s_waitcnt lgkmcnt(0)
	global_store_dword v[0:1], v4, off
.LBB102_6:
	s_endpgm
	.section	.rodata,"a",@progbits
	.p2align	6, 0x0
	.amdhsa_kernel _Z33warp_inclusive_scan_reduce_kernelIfLj64ELj2EENSt9enable_ifIXsr10test_utilsE35device_test_enabled_for_warp_size_vIXT1_EEEvE4typeEPT_S4_S4_
		.amdhsa_group_segment_fixed_size 0
		.amdhsa_private_segment_fixed_size 0
		.amdhsa_kernarg_size 24
		.amdhsa_user_sgpr_count 6
		.amdhsa_user_sgpr_private_segment_buffer 1
		.amdhsa_user_sgpr_dispatch_ptr 0
		.amdhsa_user_sgpr_queue_ptr 0
		.amdhsa_user_sgpr_kernarg_segment_ptr 1
		.amdhsa_user_sgpr_dispatch_id 0
		.amdhsa_user_sgpr_flat_scratch_init 0
		.amdhsa_user_sgpr_private_segment_size 0
		.amdhsa_uses_dynamic_stack 0
		.amdhsa_system_sgpr_private_segment_wavefront_offset 0
		.amdhsa_system_sgpr_workgroup_id_x 1
		.amdhsa_system_sgpr_workgroup_id_y 0
		.amdhsa_system_sgpr_workgroup_id_z 0
		.amdhsa_system_sgpr_workgroup_info 0
		.amdhsa_system_vgpr_workitem_id 0
		.amdhsa_next_free_vgpr 8
		.amdhsa_next_free_sgpr 10
		.amdhsa_reserve_vcc 1
		.amdhsa_reserve_flat_scratch 0
		.amdhsa_float_round_mode_32 0
		.amdhsa_float_round_mode_16_64 0
		.amdhsa_float_denorm_mode_32 3
		.amdhsa_float_denorm_mode_16_64 3
		.amdhsa_dx10_clamp 1
		.amdhsa_ieee_mode 1
		.amdhsa_fp16_overflow 0
		.amdhsa_exception_fp_ieee_invalid_op 0
		.amdhsa_exception_fp_denorm_src 0
		.amdhsa_exception_fp_ieee_div_zero 0
		.amdhsa_exception_fp_ieee_overflow 0
		.amdhsa_exception_fp_ieee_underflow 0
		.amdhsa_exception_fp_ieee_inexact 0
		.amdhsa_exception_int_div_zero 0
	.end_amdhsa_kernel
	.section	.text._Z33warp_inclusive_scan_reduce_kernelIfLj64ELj2EENSt9enable_ifIXsr10test_utilsE35device_test_enabled_for_warp_size_vIXT1_EEEvE4typeEPT_S4_S4_,"axG",@progbits,_Z33warp_inclusive_scan_reduce_kernelIfLj64ELj2EENSt9enable_ifIXsr10test_utilsE35device_test_enabled_for_warp_size_vIXT1_EEEvE4typeEPT_S4_S4_,comdat
.Lfunc_end102:
	.size	_Z33warp_inclusive_scan_reduce_kernelIfLj64ELj2EENSt9enable_ifIXsr10test_utilsE35device_test_enabled_for_warp_size_vIXT1_EEEvE4typeEPT_S4_S4_, .Lfunc_end102-_Z33warp_inclusive_scan_reduce_kernelIfLj64ELj2EENSt9enable_ifIXsr10test_utilsE35device_test_enabled_for_warp_size_vIXT1_EEEvE4typeEPT_S4_S4_
                                        ; -- End function
	.set _Z33warp_inclusive_scan_reduce_kernelIfLj64ELj2EENSt9enable_ifIXsr10test_utilsE35device_test_enabled_for_warp_size_vIXT1_EEEvE4typeEPT_S4_S4_.num_vgpr, 8
	.set _Z33warp_inclusive_scan_reduce_kernelIfLj64ELj2EENSt9enable_ifIXsr10test_utilsE35device_test_enabled_for_warp_size_vIXT1_EEEvE4typeEPT_S4_S4_.num_agpr, 0
	.set _Z33warp_inclusive_scan_reduce_kernelIfLj64ELj2EENSt9enable_ifIXsr10test_utilsE35device_test_enabled_for_warp_size_vIXT1_EEEvE4typeEPT_S4_S4_.numbered_sgpr, 10
	.set _Z33warp_inclusive_scan_reduce_kernelIfLj64ELj2EENSt9enable_ifIXsr10test_utilsE35device_test_enabled_for_warp_size_vIXT1_EEEvE4typeEPT_S4_S4_.num_named_barrier, 0
	.set _Z33warp_inclusive_scan_reduce_kernelIfLj64ELj2EENSt9enable_ifIXsr10test_utilsE35device_test_enabled_for_warp_size_vIXT1_EEEvE4typeEPT_S4_S4_.private_seg_size, 0
	.set _Z33warp_inclusive_scan_reduce_kernelIfLj64ELj2EENSt9enable_ifIXsr10test_utilsE35device_test_enabled_for_warp_size_vIXT1_EEEvE4typeEPT_S4_S4_.uses_vcc, 1
	.set _Z33warp_inclusive_scan_reduce_kernelIfLj64ELj2EENSt9enable_ifIXsr10test_utilsE35device_test_enabled_for_warp_size_vIXT1_EEEvE4typeEPT_S4_S4_.uses_flat_scratch, 0
	.set _Z33warp_inclusive_scan_reduce_kernelIfLj64ELj2EENSt9enable_ifIXsr10test_utilsE35device_test_enabled_for_warp_size_vIXT1_EEEvE4typeEPT_S4_S4_.has_dyn_sized_stack, 0
	.set _Z33warp_inclusive_scan_reduce_kernelIfLj64ELj2EENSt9enable_ifIXsr10test_utilsE35device_test_enabled_for_warp_size_vIXT1_EEEvE4typeEPT_S4_S4_.has_recursion, 0
	.set _Z33warp_inclusive_scan_reduce_kernelIfLj64ELj2EENSt9enable_ifIXsr10test_utilsE35device_test_enabled_for_warp_size_vIXT1_EEEvE4typeEPT_S4_S4_.has_indirect_call, 0
	.section	.AMDGPU.csdata,"",@progbits
; Kernel info:
; codeLenInByte = 272
; TotalNumSgprs: 14
; NumVgprs: 8
; ScratchSize: 0
; MemoryBound: 0
; FloatMode: 240
; IeeeMode: 1
; LDSByteSize: 0 bytes/workgroup (compile time only)
; SGPRBlocks: 1
; VGPRBlocks: 1
; NumSGPRsForWavesPerEU: 14
; NumVGPRsForWavesPerEU: 8
; Occupancy: 10
; WaveLimiterHint : 0
; COMPUTE_PGM_RSRC2:SCRATCH_EN: 0
; COMPUTE_PGM_RSRC2:USER_SGPR: 6
; COMPUTE_PGM_RSRC2:TRAP_HANDLER: 0
; COMPUTE_PGM_RSRC2:TGID_X_EN: 1
; COMPUTE_PGM_RSRC2:TGID_Y_EN: 0
; COMPUTE_PGM_RSRC2:TGID_Z_EN: 0
; COMPUTE_PGM_RSRC2:TIDIG_COMP_CNT: 0
	.section	.text._Z33warp_inclusive_scan_reduce_kernelIiLj256ELj64EENSt9enable_ifIXsr10test_utilsE35device_test_enabled_for_warp_size_vIXT1_EEEvE4typeEPT_S4_S4_,"axG",@progbits,_Z33warp_inclusive_scan_reduce_kernelIiLj256ELj64EENSt9enable_ifIXsr10test_utilsE35device_test_enabled_for_warp_size_vIXT1_EEEvE4typeEPT_S4_S4_,comdat
	.protected	_Z33warp_inclusive_scan_reduce_kernelIiLj256ELj64EENSt9enable_ifIXsr10test_utilsE35device_test_enabled_for_warp_size_vIXT1_EEEvE4typeEPT_S4_S4_ ; -- Begin function _Z33warp_inclusive_scan_reduce_kernelIiLj256ELj64EENSt9enable_ifIXsr10test_utilsE35device_test_enabled_for_warp_size_vIXT1_EEEvE4typeEPT_S4_S4_
	.globl	_Z33warp_inclusive_scan_reduce_kernelIiLj256ELj64EENSt9enable_ifIXsr10test_utilsE35device_test_enabled_for_warp_size_vIXT1_EEEvE4typeEPT_S4_S4_
	.p2align	8
	.type	_Z33warp_inclusive_scan_reduce_kernelIiLj256ELj64EENSt9enable_ifIXsr10test_utilsE35device_test_enabled_for_warp_size_vIXT1_EEEvE4typeEPT_S4_S4_,@function
_Z33warp_inclusive_scan_reduce_kernelIiLj256ELj64EENSt9enable_ifIXsr10test_utilsE35device_test_enabled_for_warp_size_vIXT1_EEEvE4typeEPT_S4_S4_: ; @_Z33warp_inclusive_scan_reduce_kernelIiLj256ELj64EENSt9enable_ifIXsr10test_utilsE35device_test_enabled_for_warp_size_vIXT1_EEEvE4typeEPT_S4_S4_
; %bb.0:
	s_load_dwordx4 s[12:15], s[4:5], 0x0
	s_load_dwordx2 s[16:17], s[4:5], 0x10
	v_lshl_or_b32 v1, s6, 8, v0
	v_mov_b32_e32 v2, 0
	v_lshlrev_b64 v[2:3], 2, v[1:2]
	s_waitcnt lgkmcnt(0)
	v_mov_b32_e32 v5, s13
	v_add_co_u32_e32 v4, vcc, s12, v2
	v_addc_co_u32_e32 v5, vcc, v5, v3, vcc
	global_load_dword v5, v[4:5], off
	v_mbcnt_lo_u32_b32 v4, -1, 0
	v_mbcnt_hi_u32_b32 v4, -1, v4
	v_and_b32_e32 v6, 15, v4
	s_bitcmp1_b32 s6, 0
	v_cmp_eq_u32_e64 s[10:11], 0, v6
	v_cmp_lt_u32_e64 s[8:9], 1, v6
	v_cmp_lt_u32_e64 s[6:7], 3, v6
	;; [unrolled: 1-line block ×3, first 2 shown]
	v_and_b32_e32 v6, 16, v4
	s_cselect_b64 s[12:13], -1, 0
	v_cmp_eq_u32_e64 s[2:3], 0, v6
	v_bfrev_b32_e32 v6, 0.5
	v_cmp_lt_u32_e64 s[0:1], 31, v4
	v_lshl_or_b32 v4, v4, 2, v6
	s_and_b64 vcc, exec, s[12:13]
	s_cbranch_vccz .LBB103_2
; %bb.1:
	s_waitcnt vmcnt(0)
	v_mov_b32_dpp v6, v5 row_shr:1 row_mask:0xf bank_mask:0xf
	v_cndmask_b32_e64 v6, v6, 0, s[10:11]
	v_add_u32_e32 v6, v6, v5
	s_nop 1
	v_mov_b32_dpp v7, v6 row_shr:2 row_mask:0xf bank_mask:0xf
	v_cndmask_b32_e64 v7, 0, v7, s[8:9]
	v_add_u32_e32 v6, v6, v7
	s_nop 1
	;; [unrolled: 4-line block ×4, first 2 shown]
	v_mov_b32_dpp v7, v6 row_bcast:15 row_mask:0xf bank_mask:0xf
	v_cndmask_b32_e64 v7, v7, 0, s[2:3]
	v_add_u32_e32 v6, v6, v7
	s_nop 1
	v_mov_b32_dpp v7, v6 row_bcast:31 row_mask:0xf bank_mask:0xf
	v_cndmask_b32_e64 v7, 0, v7, s[0:1]
	v_add_u32_e32 v7, v6, v7
	ds_bpermute_b32 v6, v4, v7
	s_cbranch_execz .LBB103_3
	s_branch .LBB103_4
.LBB103_2:
                                        ; implicit-def: $vgpr7
                                        ; implicit-def: $vgpr6
.LBB103_3:
	s_waitcnt vmcnt(0) lgkmcnt(0)
	s_nop 0
	v_mov_b32_dpp v6, v5 row_shr:1 row_mask:0xf bank_mask:0xf
	v_cndmask_b32_e64 v6, v6, 0, s[10:11]
	v_add_u32_e32 v5, v6, v5
	s_nop 1
	v_mov_b32_dpp v6, v5 row_shr:2 row_mask:0xf bank_mask:0xf
	v_cndmask_b32_e64 v6, 0, v6, s[8:9]
	v_add_u32_e32 v5, v5, v6
	;; [unrolled: 4-line block ×4, first 2 shown]
	s_nop 1
	v_mov_b32_dpp v6, v5 row_bcast:15 row_mask:0xf bank_mask:0xf
	v_cndmask_b32_e64 v6, v6, 0, s[2:3]
	v_add_u32_e32 v5, v5, v6
	s_nop 1
	v_mov_b32_dpp v6, v5 row_bcast:31 row_mask:0xf bank_mask:0xf
	v_cndmask_b32_e64 v6, 0, v6, s[0:1]
	v_add_u32_e32 v7, v5, v6
	ds_bpermute_b32 v6, v4, v7
.LBB103_4:
	v_mov_b32_e32 v4, s15
	v_add_co_u32_e32 v2, vcc, s14, v2
	v_addc_co_u32_e32 v3, vcc, v4, v3, vcc
	v_and_b32_e32 v0, 63, v0
	v_cmp_eq_u32_e32 vcc, 0, v0
	global_store_dword v[2:3], v7, off
	s_and_saveexec_b64 s[0:1], vcc
	s_cbranch_execz .LBB103_6
; %bb.5:
	v_lshrrev_b32_e32 v0, 4, v1
	s_waitcnt lgkmcnt(0)
	global_store_dword v0, v6, s[16:17]
.LBB103_6:
	s_endpgm
	.section	.rodata,"a",@progbits
	.p2align	6, 0x0
	.amdhsa_kernel _Z33warp_inclusive_scan_reduce_kernelIiLj256ELj64EENSt9enable_ifIXsr10test_utilsE35device_test_enabled_for_warp_size_vIXT1_EEEvE4typeEPT_S4_S4_
		.amdhsa_group_segment_fixed_size 0
		.amdhsa_private_segment_fixed_size 0
		.amdhsa_kernarg_size 24
		.amdhsa_user_sgpr_count 6
		.amdhsa_user_sgpr_private_segment_buffer 1
		.amdhsa_user_sgpr_dispatch_ptr 0
		.amdhsa_user_sgpr_queue_ptr 0
		.amdhsa_user_sgpr_kernarg_segment_ptr 1
		.amdhsa_user_sgpr_dispatch_id 0
		.amdhsa_user_sgpr_flat_scratch_init 0
		.amdhsa_user_sgpr_private_segment_size 0
		.amdhsa_uses_dynamic_stack 0
		.amdhsa_system_sgpr_private_segment_wavefront_offset 0
		.amdhsa_system_sgpr_workgroup_id_x 1
		.amdhsa_system_sgpr_workgroup_id_y 0
		.amdhsa_system_sgpr_workgroup_id_z 0
		.amdhsa_system_sgpr_workgroup_info 0
		.amdhsa_system_vgpr_workitem_id 0
		.amdhsa_next_free_vgpr 8
		.amdhsa_next_free_sgpr 18
		.amdhsa_reserve_vcc 1
		.amdhsa_reserve_flat_scratch 0
		.amdhsa_float_round_mode_32 0
		.amdhsa_float_round_mode_16_64 0
		.amdhsa_float_denorm_mode_32 3
		.amdhsa_float_denorm_mode_16_64 3
		.amdhsa_dx10_clamp 1
		.amdhsa_ieee_mode 1
		.amdhsa_fp16_overflow 0
		.amdhsa_exception_fp_ieee_invalid_op 0
		.amdhsa_exception_fp_denorm_src 0
		.amdhsa_exception_fp_ieee_div_zero 0
		.amdhsa_exception_fp_ieee_overflow 0
		.amdhsa_exception_fp_ieee_underflow 0
		.amdhsa_exception_fp_ieee_inexact 0
		.amdhsa_exception_int_div_zero 0
	.end_amdhsa_kernel
	.section	.text._Z33warp_inclusive_scan_reduce_kernelIiLj256ELj64EENSt9enable_ifIXsr10test_utilsE35device_test_enabled_for_warp_size_vIXT1_EEEvE4typeEPT_S4_S4_,"axG",@progbits,_Z33warp_inclusive_scan_reduce_kernelIiLj256ELj64EENSt9enable_ifIXsr10test_utilsE35device_test_enabled_for_warp_size_vIXT1_EEEvE4typeEPT_S4_S4_,comdat
.Lfunc_end103:
	.size	_Z33warp_inclusive_scan_reduce_kernelIiLj256ELj64EENSt9enable_ifIXsr10test_utilsE35device_test_enabled_for_warp_size_vIXT1_EEEvE4typeEPT_S4_S4_, .Lfunc_end103-_Z33warp_inclusive_scan_reduce_kernelIiLj256ELj64EENSt9enable_ifIXsr10test_utilsE35device_test_enabled_for_warp_size_vIXT1_EEEvE4typeEPT_S4_S4_
                                        ; -- End function
	.set _Z33warp_inclusive_scan_reduce_kernelIiLj256ELj64EENSt9enable_ifIXsr10test_utilsE35device_test_enabled_for_warp_size_vIXT1_EEEvE4typeEPT_S4_S4_.num_vgpr, 8
	.set _Z33warp_inclusive_scan_reduce_kernelIiLj256ELj64EENSt9enable_ifIXsr10test_utilsE35device_test_enabled_for_warp_size_vIXT1_EEEvE4typeEPT_S4_S4_.num_agpr, 0
	.set _Z33warp_inclusive_scan_reduce_kernelIiLj256ELj64EENSt9enable_ifIXsr10test_utilsE35device_test_enabled_for_warp_size_vIXT1_EEEvE4typeEPT_S4_S4_.numbered_sgpr, 18
	.set _Z33warp_inclusive_scan_reduce_kernelIiLj256ELj64EENSt9enable_ifIXsr10test_utilsE35device_test_enabled_for_warp_size_vIXT1_EEEvE4typeEPT_S4_S4_.num_named_barrier, 0
	.set _Z33warp_inclusive_scan_reduce_kernelIiLj256ELj64EENSt9enable_ifIXsr10test_utilsE35device_test_enabled_for_warp_size_vIXT1_EEEvE4typeEPT_S4_S4_.private_seg_size, 0
	.set _Z33warp_inclusive_scan_reduce_kernelIiLj256ELj64EENSt9enable_ifIXsr10test_utilsE35device_test_enabled_for_warp_size_vIXT1_EEEvE4typeEPT_S4_S4_.uses_vcc, 1
	.set _Z33warp_inclusive_scan_reduce_kernelIiLj256ELj64EENSt9enable_ifIXsr10test_utilsE35device_test_enabled_for_warp_size_vIXT1_EEEvE4typeEPT_S4_S4_.uses_flat_scratch, 0
	.set _Z33warp_inclusive_scan_reduce_kernelIiLj256ELj64EENSt9enable_ifIXsr10test_utilsE35device_test_enabled_for_warp_size_vIXT1_EEEvE4typeEPT_S4_S4_.has_dyn_sized_stack, 0
	.set _Z33warp_inclusive_scan_reduce_kernelIiLj256ELj64EENSt9enable_ifIXsr10test_utilsE35device_test_enabled_for_warp_size_vIXT1_EEEvE4typeEPT_S4_S4_.has_recursion, 0
	.set _Z33warp_inclusive_scan_reduce_kernelIiLj256ELj64EENSt9enable_ifIXsr10test_utilsE35device_test_enabled_for_warp_size_vIXT1_EEEvE4typeEPT_S4_S4_.has_indirect_call, 0
	.section	.AMDGPU.csdata,"",@progbits
; Kernel info:
; codeLenInByte = 532
; TotalNumSgprs: 22
; NumVgprs: 8
; ScratchSize: 0
; MemoryBound: 0
; FloatMode: 240
; IeeeMode: 1
; LDSByteSize: 0 bytes/workgroup (compile time only)
; SGPRBlocks: 2
; VGPRBlocks: 1
; NumSGPRsForWavesPerEU: 22
; NumVGPRsForWavesPerEU: 8
; Occupancy: 10
; WaveLimiterHint : 0
; COMPUTE_PGM_RSRC2:SCRATCH_EN: 0
; COMPUTE_PGM_RSRC2:USER_SGPR: 6
; COMPUTE_PGM_RSRC2:TRAP_HANDLER: 0
; COMPUTE_PGM_RSRC2:TGID_X_EN: 1
; COMPUTE_PGM_RSRC2:TGID_Y_EN: 0
; COMPUTE_PGM_RSRC2:TGID_Z_EN: 0
; COMPUTE_PGM_RSRC2:TIDIG_COMP_CNT: 0
	.section	.text._Z33warp_inclusive_scan_reduce_kernelIiLj128ELj32EENSt9enable_ifIXsr10test_utilsE35device_test_enabled_for_warp_size_vIXT1_EEEvE4typeEPT_S4_S4_,"axG",@progbits,_Z33warp_inclusive_scan_reduce_kernelIiLj128ELj32EENSt9enable_ifIXsr10test_utilsE35device_test_enabled_for_warp_size_vIXT1_EEEvE4typeEPT_S4_S4_,comdat
	.protected	_Z33warp_inclusive_scan_reduce_kernelIiLj128ELj32EENSt9enable_ifIXsr10test_utilsE35device_test_enabled_for_warp_size_vIXT1_EEEvE4typeEPT_S4_S4_ ; -- Begin function _Z33warp_inclusive_scan_reduce_kernelIiLj128ELj32EENSt9enable_ifIXsr10test_utilsE35device_test_enabled_for_warp_size_vIXT1_EEEvE4typeEPT_S4_S4_
	.globl	_Z33warp_inclusive_scan_reduce_kernelIiLj128ELj32EENSt9enable_ifIXsr10test_utilsE35device_test_enabled_for_warp_size_vIXT1_EEEvE4typeEPT_S4_S4_
	.p2align	8
	.type	_Z33warp_inclusive_scan_reduce_kernelIiLj128ELj32EENSt9enable_ifIXsr10test_utilsE35device_test_enabled_for_warp_size_vIXT1_EEEvE4typeEPT_S4_S4_,@function
_Z33warp_inclusive_scan_reduce_kernelIiLj128ELj32EENSt9enable_ifIXsr10test_utilsE35device_test_enabled_for_warp_size_vIXT1_EEEvE4typeEPT_S4_S4_: ; @_Z33warp_inclusive_scan_reduce_kernelIiLj128ELj32EENSt9enable_ifIXsr10test_utilsE35device_test_enabled_for_warp_size_vIXT1_EEEvE4typeEPT_S4_S4_
; %bb.0:
	s_load_dwordx4 s[8:11], s[4:5], 0x0
	s_load_dwordx2 s[12:13], s[4:5], 0x10
	v_lshl_or_b32 v1, s6, 7, v0
	v_mov_b32_e32 v2, 0
	v_lshlrev_b64 v[2:3], 2, v[1:2]
	s_waitcnt lgkmcnt(0)
	v_mov_b32_e32 v5, s9
	v_add_co_u32_e32 v4, vcc, s8, v2
	v_addc_co_u32_e32 v5, vcc, v5, v3, vcc
	global_load_dword v4, v[4:5], off
	v_mbcnt_lo_u32_b32 v5, -1, 0
	v_mbcnt_hi_u32_b32 v5, -1, v5
	v_and_b32_e32 v6, 15, v5
	s_bitcmp1_b32 s6, 0
	v_cmp_eq_u32_e64 s[8:9], 0, v6
	v_cmp_lt_u32_e64 s[6:7], 1, v6
	v_cmp_lt_u32_e64 s[4:5], 3, v6
	;; [unrolled: 1-line block ×3, first 2 shown]
	v_and_b32_e32 v6, 16, v5
	s_cselect_b64 s[14:15], -1, 0
	v_cmp_eq_u32_e64 s[0:1], 0, v6
	v_mov_b32_e32 v6, 0x7c
	v_lshl_or_b32 v5, v5, 2, v6
	s_and_b64 vcc, exec, s[14:15]
	s_cbranch_vccz .LBB104_2
; %bb.1:
	s_waitcnt vmcnt(0)
	v_mov_b32_dpp v6, v4 row_shr:1 row_mask:0xf bank_mask:0xf
	v_cndmask_b32_e64 v6, v6, 0, s[8:9]
	v_add_u32_e32 v6, v6, v4
	s_nop 1
	v_mov_b32_dpp v7, v6 row_shr:2 row_mask:0xf bank_mask:0xf
	v_cndmask_b32_e64 v7, 0, v7, s[6:7]
	v_add_u32_e32 v6, v6, v7
	s_nop 1
	;; [unrolled: 4-line block ×4, first 2 shown]
	v_mov_b32_dpp v7, v6 row_bcast:15 row_mask:0xf bank_mask:0xf
	v_cndmask_b32_e64 v7, v7, 0, s[0:1]
	v_add_u32_e32 v7, v6, v7
	ds_bpermute_b32 v6, v5, v7
	s_cbranch_execz .LBB104_3
	s_branch .LBB104_4
.LBB104_2:
                                        ; implicit-def: $vgpr7
                                        ; implicit-def: $vgpr6
.LBB104_3:
	s_waitcnt vmcnt(0) lgkmcnt(0)
	s_nop 0
	v_mov_b32_dpp v6, v4 row_shr:1 row_mask:0xf bank_mask:0xf
	v_cndmask_b32_e64 v6, v6, 0, s[8:9]
	v_add_u32_e32 v4, v6, v4
	s_nop 1
	v_mov_b32_dpp v6, v4 row_shr:2 row_mask:0xf bank_mask:0xf
	v_cndmask_b32_e64 v6, 0, v6, s[6:7]
	v_add_u32_e32 v4, v4, v6
	s_nop 1
	v_mov_b32_dpp v6, v4 row_shr:4 row_mask:0xf bank_mask:0xf
	v_cndmask_b32_e64 v6, 0, v6, s[4:5]
	v_add_u32_e32 v4, v4, v6
	s_nop 1
	v_mov_b32_dpp v6, v4 row_shr:8 row_mask:0xf bank_mask:0xf
	v_cndmask_b32_e64 v6, 0, v6, s[2:3]
	v_add_u32_e32 v4, v4, v6
	s_nop 1
	v_mov_b32_dpp v6, v4 row_bcast:15 row_mask:0xf bank_mask:0xf
	v_cndmask_b32_e64 v6, v6, 0, s[0:1]
	v_add_u32_e32 v7, v4, v6
	ds_bpermute_b32 v6, v5, v7
.LBB104_4:
	s_waitcnt vmcnt(0)
	v_mov_b32_e32 v4, s11
	v_add_co_u32_e32 v2, vcc, s10, v2
	v_addc_co_u32_e32 v3, vcc, v4, v3, vcc
	v_and_b32_e32 v0, 31, v0
	v_cmp_eq_u32_e32 vcc, 0, v0
	global_store_dword v[2:3], v7, off
	s_and_saveexec_b64 s[0:1], vcc
	s_cbranch_execz .LBB104_6
; %bb.5:
	v_lshrrev_b32_e32 v0, 3, v1
	s_waitcnt lgkmcnt(0)
	global_store_dword v0, v6, s[12:13]
.LBB104_6:
	s_endpgm
	.section	.rodata,"a",@progbits
	.p2align	6, 0x0
	.amdhsa_kernel _Z33warp_inclusive_scan_reduce_kernelIiLj128ELj32EENSt9enable_ifIXsr10test_utilsE35device_test_enabled_for_warp_size_vIXT1_EEEvE4typeEPT_S4_S4_
		.amdhsa_group_segment_fixed_size 0
		.amdhsa_private_segment_fixed_size 0
		.amdhsa_kernarg_size 24
		.amdhsa_user_sgpr_count 6
		.amdhsa_user_sgpr_private_segment_buffer 1
		.amdhsa_user_sgpr_dispatch_ptr 0
		.amdhsa_user_sgpr_queue_ptr 0
		.amdhsa_user_sgpr_kernarg_segment_ptr 1
		.amdhsa_user_sgpr_dispatch_id 0
		.amdhsa_user_sgpr_flat_scratch_init 0
		.amdhsa_user_sgpr_private_segment_size 0
		.amdhsa_uses_dynamic_stack 0
		.amdhsa_system_sgpr_private_segment_wavefront_offset 0
		.amdhsa_system_sgpr_workgroup_id_x 1
		.amdhsa_system_sgpr_workgroup_id_y 0
		.amdhsa_system_sgpr_workgroup_id_z 0
		.amdhsa_system_sgpr_workgroup_info 0
		.amdhsa_system_vgpr_workitem_id 0
		.amdhsa_next_free_vgpr 8
		.amdhsa_next_free_sgpr 16
		.amdhsa_reserve_vcc 1
		.amdhsa_reserve_flat_scratch 0
		.amdhsa_float_round_mode_32 0
		.amdhsa_float_round_mode_16_64 0
		.amdhsa_float_denorm_mode_32 3
		.amdhsa_float_denorm_mode_16_64 3
		.amdhsa_dx10_clamp 1
		.amdhsa_ieee_mode 1
		.amdhsa_fp16_overflow 0
		.amdhsa_exception_fp_ieee_invalid_op 0
		.amdhsa_exception_fp_denorm_src 0
		.amdhsa_exception_fp_ieee_div_zero 0
		.amdhsa_exception_fp_ieee_overflow 0
		.amdhsa_exception_fp_ieee_underflow 0
		.amdhsa_exception_fp_ieee_inexact 0
		.amdhsa_exception_int_div_zero 0
	.end_amdhsa_kernel
	.section	.text._Z33warp_inclusive_scan_reduce_kernelIiLj128ELj32EENSt9enable_ifIXsr10test_utilsE35device_test_enabled_for_warp_size_vIXT1_EEEvE4typeEPT_S4_S4_,"axG",@progbits,_Z33warp_inclusive_scan_reduce_kernelIiLj128ELj32EENSt9enable_ifIXsr10test_utilsE35device_test_enabled_for_warp_size_vIXT1_EEEvE4typeEPT_S4_S4_,comdat
.Lfunc_end104:
	.size	_Z33warp_inclusive_scan_reduce_kernelIiLj128ELj32EENSt9enable_ifIXsr10test_utilsE35device_test_enabled_for_warp_size_vIXT1_EEEvE4typeEPT_S4_S4_, .Lfunc_end104-_Z33warp_inclusive_scan_reduce_kernelIiLj128ELj32EENSt9enable_ifIXsr10test_utilsE35device_test_enabled_for_warp_size_vIXT1_EEEvE4typeEPT_S4_S4_
                                        ; -- End function
	.set _Z33warp_inclusive_scan_reduce_kernelIiLj128ELj32EENSt9enable_ifIXsr10test_utilsE35device_test_enabled_for_warp_size_vIXT1_EEEvE4typeEPT_S4_S4_.num_vgpr, 8
	.set _Z33warp_inclusive_scan_reduce_kernelIiLj128ELj32EENSt9enable_ifIXsr10test_utilsE35device_test_enabled_for_warp_size_vIXT1_EEEvE4typeEPT_S4_S4_.num_agpr, 0
	.set _Z33warp_inclusive_scan_reduce_kernelIiLj128ELj32EENSt9enable_ifIXsr10test_utilsE35device_test_enabled_for_warp_size_vIXT1_EEEvE4typeEPT_S4_S4_.numbered_sgpr, 16
	.set _Z33warp_inclusive_scan_reduce_kernelIiLj128ELj32EENSt9enable_ifIXsr10test_utilsE35device_test_enabled_for_warp_size_vIXT1_EEEvE4typeEPT_S4_S4_.num_named_barrier, 0
	.set _Z33warp_inclusive_scan_reduce_kernelIiLj128ELj32EENSt9enable_ifIXsr10test_utilsE35device_test_enabled_for_warp_size_vIXT1_EEEvE4typeEPT_S4_S4_.private_seg_size, 0
	.set _Z33warp_inclusive_scan_reduce_kernelIiLj128ELj32EENSt9enable_ifIXsr10test_utilsE35device_test_enabled_for_warp_size_vIXT1_EEEvE4typeEPT_S4_S4_.uses_vcc, 1
	.set _Z33warp_inclusive_scan_reduce_kernelIiLj128ELj32EENSt9enable_ifIXsr10test_utilsE35device_test_enabled_for_warp_size_vIXT1_EEEvE4typeEPT_S4_S4_.uses_flat_scratch, 0
	.set _Z33warp_inclusive_scan_reduce_kernelIiLj128ELj32EENSt9enable_ifIXsr10test_utilsE35device_test_enabled_for_warp_size_vIXT1_EEEvE4typeEPT_S4_S4_.has_dyn_sized_stack, 0
	.set _Z33warp_inclusive_scan_reduce_kernelIiLj128ELj32EENSt9enable_ifIXsr10test_utilsE35device_test_enabled_for_warp_size_vIXT1_EEEvE4typeEPT_S4_S4_.has_recursion, 0
	.set _Z33warp_inclusive_scan_reduce_kernelIiLj128ELj32EENSt9enable_ifIXsr10test_utilsE35device_test_enabled_for_warp_size_vIXT1_EEEvE4typeEPT_S4_S4_.has_indirect_call, 0
	.section	.AMDGPU.csdata,"",@progbits
; Kernel info:
; codeLenInByte = 484
; TotalNumSgprs: 20
; NumVgprs: 8
; ScratchSize: 0
; MemoryBound: 0
; FloatMode: 240
; IeeeMode: 1
; LDSByteSize: 0 bytes/workgroup (compile time only)
; SGPRBlocks: 2
; VGPRBlocks: 1
; NumSGPRsForWavesPerEU: 20
; NumVGPRsForWavesPerEU: 8
; Occupancy: 10
; WaveLimiterHint : 0
; COMPUTE_PGM_RSRC2:SCRATCH_EN: 0
; COMPUTE_PGM_RSRC2:USER_SGPR: 6
; COMPUTE_PGM_RSRC2:TRAP_HANDLER: 0
; COMPUTE_PGM_RSRC2:TGID_X_EN: 1
; COMPUTE_PGM_RSRC2:TGID_Y_EN: 0
; COMPUTE_PGM_RSRC2:TGID_Z_EN: 0
; COMPUTE_PGM_RSRC2:TIDIG_COMP_CNT: 0
	.section	.text._Z33warp_inclusive_scan_reduce_kernelIiLj64ELj16EENSt9enable_ifIXsr10test_utilsE35device_test_enabled_for_warp_size_vIXT1_EEEvE4typeEPT_S4_S4_,"axG",@progbits,_Z33warp_inclusive_scan_reduce_kernelIiLj64ELj16EENSt9enable_ifIXsr10test_utilsE35device_test_enabled_for_warp_size_vIXT1_EEEvE4typeEPT_S4_S4_,comdat
	.protected	_Z33warp_inclusive_scan_reduce_kernelIiLj64ELj16EENSt9enable_ifIXsr10test_utilsE35device_test_enabled_for_warp_size_vIXT1_EEEvE4typeEPT_S4_S4_ ; -- Begin function _Z33warp_inclusive_scan_reduce_kernelIiLj64ELj16EENSt9enable_ifIXsr10test_utilsE35device_test_enabled_for_warp_size_vIXT1_EEEvE4typeEPT_S4_S4_
	.globl	_Z33warp_inclusive_scan_reduce_kernelIiLj64ELj16EENSt9enable_ifIXsr10test_utilsE35device_test_enabled_for_warp_size_vIXT1_EEEvE4typeEPT_S4_S4_
	.p2align	8
	.type	_Z33warp_inclusive_scan_reduce_kernelIiLj64ELj16EENSt9enable_ifIXsr10test_utilsE35device_test_enabled_for_warp_size_vIXT1_EEEvE4typeEPT_S4_S4_,@function
_Z33warp_inclusive_scan_reduce_kernelIiLj64ELj16EENSt9enable_ifIXsr10test_utilsE35device_test_enabled_for_warp_size_vIXT1_EEEvE4typeEPT_S4_S4_: ; @_Z33warp_inclusive_scan_reduce_kernelIiLj64ELj16EENSt9enable_ifIXsr10test_utilsE35device_test_enabled_for_warp_size_vIXT1_EEEvE4typeEPT_S4_S4_
; %bb.0:
	s_load_dwordx4 s[8:11], s[4:5], 0x0
	s_load_dwordx2 s[12:13], s[4:5], 0x10
	v_lshl_or_b32 v1, s6, 6, v0
	v_mov_b32_e32 v2, 0
	v_lshlrev_b64 v[2:3], 2, v[1:2]
	s_waitcnt lgkmcnt(0)
	v_mov_b32_e32 v5, s9
	v_add_co_u32_e32 v4, vcc, s8, v2
	v_addc_co_u32_e32 v5, vcc, v5, v3, vcc
	global_load_dword v4, v[4:5], off
	v_mbcnt_lo_u32_b32 v5, -1, 0
	s_bitcmp1_b32 s6, 0
	v_mbcnt_hi_u32_b32 v5, -1, v5
	s_cselect_b64 s[8:9], -1, 0
	v_and_b32_e32 v6, 15, v5
	v_cmp_eq_u32_e64 s[6:7], 0, v6
	v_cmp_lt_u32_e64 s[4:5], 1, v6
	v_cmp_lt_u32_e64 s[2:3], 3, v6
	;; [unrolled: 1-line block ×3, first 2 shown]
	v_lshl_or_b32 v5, v5, 2, 60
	s_and_b64 vcc, exec, s[8:9]
	s_cbranch_vccz .LBB105_2
; %bb.1:
	s_waitcnt vmcnt(0)
	v_mov_b32_dpp v6, v4 row_shr:1 row_mask:0xf bank_mask:0xf
	v_cndmask_b32_e64 v6, v6, 0, s[6:7]
	v_add_u32_e32 v6, v6, v4
	s_nop 1
	v_mov_b32_dpp v7, v6 row_shr:2 row_mask:0xf bank_mask:0xf
	v_cndmask_b32_e64 v7, 0, v7, s[4:5]
	v_add_u32_e32 v6, v6, v7
	s_nop 1
	;; [unrolled: 4-line block ×3, first 2 shown]
	v_mov_b32_dpp v7, v6 row_shr:8 row_mask:0xf bank_mask:0xf
	v_cndmask_b32_e64 v7, 0, v7, s[0:1]
	v_add_u32_e32 v7, v6, v7
	ds_bpermute_b32 v6, v5, v7
	s_cbranch_execz .LBB105_3
	s_branch .LBB105_4
.LBB105_2:
                                        ; implicit-def: $vgpr7
                                        ; implicit-def: $vgpr6
.LBB105_3:
	s_waitcnt vmcnt(0) lgkmcnt(0)
	s_nop 0
	v_mov_b32_dpp v6, v4 row_shr:1 row_mask:0xf bank_mask:0xf
	v_cndmask_b32_e64 v6, v6, 0, s[6:7]
	v_add_u32_e32 v4, v6, v4
	s_nop 1
	v_mov_b32_dpp v6, v4 row_shr:2 row_mask:0xf bank_mask:0xf
	v_cndmask_b32_e64 v6, 0, v6, s[4:5]
	v_add_u32_e32 v4, v4, v6
	;; [unrolled: 4-line block ×4, first 2 shown]
	ds_bpermute_b32 v6, v5, v7
.LBB105_4:
	s_waitcnt vmcnt(0)
	v_mov_b32_e32 v4, s11
	v_add_co_u32_e32 v2, vcc, s10, v2
	v_addc_co_u32_e32 v3, vcc, v4, v3, vcc
	v_and_b32_e32 v0, 15, v0
	v_cmp_eq_u32_e32 vcc, 0, v0
	global_store_dword v[2:3], v7, off
	s_and_saveexec_b64 s[0:1], vcc
	s_cbranch_execz .LBB105_6
; %bb.5:
	v_lshrrev_b32_e32 v0, 2, v1
	s_waitcnt lgkmcnt(0)
	global_store_dword v0, v6, s[12:13]
.LBB105_6:
	s_endpgm
	.section	.rodata,"a",@progbits
	.p2align	6, 0x0
	.amdhsa_kernel _Z33warp_inclusive_scan_reduce_kernelIiLj64ELj16EENSt9enable_ifIXsr10test_utilsE35device_test_enabled_for_warp_size_vIXT1_EEEvE4typeEPT_S4_S4_
		.amdhsa_group_segment_fixed_size 0
		.amdhsa_private_segment_fixed_size 0
		.amdhsa_kernarg_size 24
		.amdhsa_user_sgpr_count 6
		.amdhsa_user_sgpr_private_segment_buffer 1
		.amdhsa_user_sgpr_dispatch_ptr 0
		.amdhsa_user_sgpr_queue_ptr 0
		.amdhsa_user_sgpr_kernarg_segment_ptr 1
		.amdhsa_user_sgpr_dispatch_id 0
		.amdhsa_user_sgpr_flat_scratch_init 0
		.amdhsa_user_sgpr_private_segment_size 0
		.amdhsa_uses_dynamic_stack 0
		.amdhsa_system_sgpr_private_segment_wavefront_offset 0
		.amdhsa_system_sgpr_workgroup_id_x 1
		.amdhsa_system_sgpr_workgroup_id_y 0
		.amdhsa_system_sgpr_workgroup_id_z 0
		.amdhsa_system_sgpr_workgroup_info 0
		.amdhsa_system_vgpr_workitem_id 0
		.amdhsa_next_free_vgpr 8
		.amdhsa_next_free_sgpr 14
		.amdhsa_reserve_vcc 1
		.amdhsa_reserve_flat_scratch 0
		.amdhsa_float_round_mode_32 0
		.amdhsa_float_round_mode_16_64 0
		.amdhsa_float_denorm_mode_32 3
		.amdhsa_float_denorm_mode_16_64 3
		.amdhsa_dx10_clamp 1
		.amdhsa_ieee_mode 1
		.amdhsa_fp16_overflow 0
		.amdhsa_exception_fp_ieee_invalid_op 0
		.amdhsa_exception_fp_denorm_src 0
		.amdhsa_exception_fp_ieee_div_zero 0
		.amdhsa_exception_fp_ieee_overflow 0
		.amdhsa_exception_fp_ieee_underflow 0
		.amdhsa_exception_fp_ieee_inexact 0
		.amdhsa_exception_int_div_zero 0
	.end_amdhsa_kernel
	.section	.text._Z33warp_inclusive_scan_reduce_kernelIiLj64ELj16EENSt9enable_ifIXsr10test_utilsE35device_test_enabled_for_warp_size_vIXT1_EEEvE4typeEPT_S4_S4_,"axG",@progbits,_Z33warp_inclusive_scan_reduce_kernelIiLj64ELj16EENSt9enable_ifIXsr10test_utilsE35device_test_enabled_for_warp_size_vIXT1_EEEvE4typeEPT_S4_S4_,comdat
.Lfunc_end105:
	.size	_Z33warp_inclusive_scan_reduce_kernelIiLj64ELj16EENSt9enable_ifIXsr10test_utilsE35device_test_enabled_for_warp_size_vIXT1_EEEvE4typeEPT_S4_S4_, .Lfunc_end105-_Z33warp_inclusive_scan_reduce_kernelIiLj64ELj16EENSt9enable_ifIXsr10test_utilsE35device_test_enabled_for_warp_size_vIXT1_EEEvE4typeEPT_S4_S4_
                                        ; -- End function
	.set _Z33warp_inclusive_scan_reduce_kernelIiLj64ELj16EENSt9enable_ifIXsr10test_utilsE35device_test_enabled_for_warp_size_vIXT1_EEEvE4typeEPT_S4_S4_.num_vgpr, 8
	.set _Z33warp_inclusive_scan_reduce_kernelIiLj64ELj16EENSt9enable_ifIXsr10test_utilsE35device_test_enabled_for_warp_size_vIXT1_EEEvE4typeEPT_S4_S4_.num_agpr, 0
	.set _Z33warp_inclusive_scan_reduce_kernelIiLj64ELj16EENSt9enable_ifIXsr10test_utilsE35device_test_enabled_for_warp_size_vIXT1_EEEvE4typeEPT_S4_S4_.numbered_sgpr, 14
	.set _Z33warp_inclusive_scan_reduce_kernelIiLj64ELj16EENSt9enable_ifIXsr10test_utilsE35device_test_enabled_for_warp_size_vIXT1_EEEvE4typeEPT_S4_S4_.num_named_barrier, 0
	.set _Z33warp_inclusive_scan_reduce_kernelIiLj64ELj16EENSt9enable_ifIXsr10test_utilsE35device_test_enabled_for_warp_size_vIXT1_EEEvE4typeEPT_S4_S4_.private_seg_size, 0
	.set _Z33warp_inclusive_scan_reduce_kernelIiLj64ELj16EENSt9enable_ifIXsr10test_utilsE35device_test_enabled_for_warp_size_vIXT1_EEEvE4typeEPT_S4_S4_.uses_vcc, 1
	.set _Z33warp_inclusive_scan_reduce_kernelIiLj64ELj16EENSt9enable_ifIXsr10test_utilsE35device_test_enabled_for_warp_size_vIXT1_EEEvE4typeEPT_S4_S4_.uses_flat_scratch, 0
	.set _Z33warp_inclusive_scan_reduce_kernelIiLj64ELj16EENSt9enable_ifIXsr10test_utilsE35device_test_enabled_for_warp_size_vIXT1_EEEvE4typeEPT_S4_S4_.has_dyn_sized_stack, 0
	.set _Z33warp_inclusive_scan_reduce_kernelIiLj64ELj16EENSt9enable_ifIXsr10test_utilsE35device_test_enabled_for_warp_size_vIXT1_EEEvE4typeEPT_S4_S4_.has_recursion, 0
	.set _Z33warp_inclusive_scan_reduce_kernelIiLj64ELj16EENSt9enable_ifIXsr10test_utilsE35device_test_enabled_for_warp_size_vIXT1_EEEvE4typeEPT_S4_S4_.has_indirect_call, 0
	.section	.AMDGPU.csdata,"",@progbits
; Kernel info:
; codeLenInByte = 416
; TotalNumSgprs: 18
; NumVgprs: 8
; ScratchSize: 0
; MemoryBound: 0
; FloatMode: 240
; IeeeMode: 1
; LDSByteSize: 0 bytes/workgroup (compile time only)
; SGPRBlocks: 2
; VGPRBlocks: 1
; NumSGPRsForWavesPerEU: 18
; NumVGPRsForWavesPerEU: 8
; Occupancy: 10
; WaveLimiterHint : 0
; COMPUTE_PGM_RSRC2:SCRATCH_EN: 0
; COMPUTE_PGM_RSRC2:USER_SGPR: 6
; COMPUTE_PGM_RSRC2:TRAP_HANDLER: 0
; COMPUTE_PGM_RSRC2:TGID_X_EN: 1
; COMPUTE_PGM_RSRC2:TGID_Y_EN: 0
; COMPUTE_PGM_RSRC2:TGID_Z_EN: 0
; COMPUTE_PGM_RSRC2:TIDIG_COMP_CNT: 0
	.section	.text._Z33warp_inclusive_scan_reduce_kernelIiLj32ELj8EENSt9enable_ifIXsr10test_utilsE35device_test_enabled_for_warp_size_vIXT1_EEEvE4typeEPT_S4_S4_,"axG",@progbits,_Z33warp_inclusive_scan_reduce_kernelIiLj32ELj8EENSt9enable_ifIXsr10test_utilsE35device_test_enabled_for_warp_size_vIXT1_EEEvE4typeEPT_S4_S4_,comdat
	.protected	_Z33warp_inclusive_scan_reduce_kernelIiLj32ELj8EENSt9enable_ifIXsr10test_utilsE35device_test_enabled_for_warp_size_vIXT1_EEEvE4typeEPT_S4_S4_ ; -- Begin function _Z33warp_inclusive_scan_reduce_kernelIiLj32ELj8EENSt9enable_ifIXsr10test_utilsE35device_test_enabled_for_warp_size_vIXT1_EEEvE4typeEPT_S4_S4_
	.globl	_Z33warp_inclusive_scan_reduce_kernelIiLj32ELj8EENSt9enable_ifIXsr10test_utilsE35device_test_enabled_for_warp_size_vIXT1_EEEvE4typeEPT_S4_S4_
	.p2align	8
	.type	_Z33warp_inclusive_scan_reduce_kernelIiLj32ELj8EENSt9enable_ifIXsr10test_utilsE35device_test_enabled_for_warp_size_vIXT1_EEEvE4typeEPT_S4_S4_,@function
_Z33warp_inclusive_scan_reduce_kernelIiLj32ELj8EENSt9enable_ifIXsr10test_utilsE35device_test_enabled_for_warp_size_vIXT1_EEEvE4typeEPT_S4_S4_: ; @_Z33warp_inclusive_scan_reduce_kernelIiLj32ELj8EENSt9enable_ifIXsr10test_utilsE35device_test_enabled_for_warp_size_vIXT1_EEEvE4typeEPT_S4_S4_
; %bb.0:
	s_load_dwordx4 s[8:11], s[4:5], 0x0
	s_load_dwordx2 s[12:13], s[4:5], 0x10
	v_lshl_or_b32 v1, s6, 5, v0
	v_mov_b32_e32 v2, 0
	v_lshlrev_b64 v[2:3], 2, v[1:2]
	s_waitcnt lgkmcnt(0)
	v_mov_b32_e32 v5, s9
	v_add_co_u32_e32 v4, vcc, s8, v2
	v_addc_co_u32_e32 v5, vcc, v5, v3, vcc
	global_load_dword v4, v[4:5], off
	v_mbcnt_lo_u32_b32 v5, -1, 0
	s_bitcmp1_b32 s6, 0
	v_mbcnt_hi_u32_b32 v5, -1, v5
	s_cselect_b64 s[6:7], -1, 0
	v_and_b32_e32 v6, 7, v5
	v_cmp_eq_u32_e64 s[4:5], 0, v6
	v_cmp_lt_u32_e64 s[2:3], 1, v6
	v_cmp_lt_u32_e64 s[0:1], 3, v6
	v_lshl_or_b32 v5, v5, 2, 28
	s_and_b64 vcc, exec, s[6:7]
	s_cbranch_vccz .LBB106_2
; %bb.1:
	s_waitcnt vmcnt(0)
	v_mov_b32_dpp v6, v4 row_shr:1 row_mask:0xf bank_mask:0xf
	v_cndmask_b32_e64 v6, v6, 0, s[4:5]
	v_add_u32_e32 v6, v6, v4
	s_nop 1
	v_mov_b32_dpp v7, v6 row_shr:2 row_mask:0xf bank_mask:0xf
	v_cndmask_b32_e64 v7, 0, v7, s[2:3]
	v_add_u32_e32 v6, v6, v7
	s_nop 1
	v_mov_b32_dpp v7, v6 row_shr:4 row_mask:0xf bank_mask:0xf
	v_cndmask_b32_e64 v7, 0, v7, s[0:1]
	v_add_u32_e32 v7, v6, v7
	ds_bpermute_b32 v6, v5, v7
	s_cbranch_execz .LBB106_3
	s_branch .LBB106_4
.LBB106_2:
                                        ; implicit-def: $vgpr7
                                        ; implicit-def: $vgpr6
.LBB106_3:
	s_waitcnt vmcnt(0) lgkmcnt(0)
	s_nop 0
	v_mov_b32_dpp v6, v4 row_shr:1 row_mask:0xf bank_mask:0xf
	v_cndmask_b32_e64 v6, v6, 0, s[4:5]
	v_add_u32_e32 v4, v6, v4
	s_nop 1
	v_mov_b32_dpp v6, v4 row_shr:2 row_mask:0xf bank_mask:0xf
	v_cndmask_b32_e64 v6, 0, v6, s[2:3]
	v_add_u32_e32 v4, v4, v6
	;; [unrolled: 4-line block ×3, first 2 shown]
	ds_bpermute_b32 v6, v5, v7
.LBB106_4:
	s_waitcnt vmcnt(0)
	v_mov_b32_e32 v4, s11
	v_add_co_u32_e32 v2, vcc, s10, v2
	v_addc_co_u32_e32 v3, vcc, v4, v3, vcc
	v_and_b32_e32 v0, 7, v0
	v_cmp_eq_u32_e32 vcc, 0, v0
	global_store_dword v[2:3], v7, off
	s_and_saveexec_b64 s[0:1], vcc
	s_cbranch_execz .LBB106_6
; %bb.5:
	v_lshrrev_b32_e32 v0, 1, v1
	s_waitcnt lgkmcnt(0)
	global_store_dword v0, v6, s[12:13]
.LBB106_6:
	s_endpgm
	.section	.rodata,"a",@progbits
	.p2align	6, 0x0
	.amdhsa_kernel _Z33warp_inclusive_scan_reduce_kernelIiLj32ELj8EENSt9enable_ifIXsr10test_utilsE35device_test_enabled_for_warp_size_vIXT1_EEEvE4typeEPT_S4_S4_
		.amdhsa_group_segment_fixed_size 0
		.amdhsa_private_segment_fixed_size 0
		.amdhsa_kernarg_size 24
		.amdhsa_user_sgpr_count 6
		.amdhsa_user_sgpr_private_segment_buffer 1
		.amdhsa_user_sgpr_dispatch_ptr 0
		.amdhsa_user_sgpr_queue_ptr 0
		.amdhsa_user_sgpr_kernarg_segment_ptr 1
		.amdhsa_user_sgpr_dispatch_id 0
		.amdhsa_user_sgpr_flat_scratch_init 0
		.amdhsa_user_sgpr_private_segment_size 0
		.amdhsa_uses_dynamic_stack 0
		.amdhsa_system_sgpr_private_segment_wavefront_offset 0
		.amdhsa_system_sgpr_workgroup_id_x 1
		.amdhsa_system_sgpr_workgroup_id_y 0
		.amdhsa_system_sgpr_workgroup_id_z 0
		.amdhsa_system_sgpr_workgroup_info 0
		.amdhsa_system_vgpr_workitem_id 0
		.amdhsa_next_free_vgpr 8
		.amdhsa_next_free_sgpr 14
		.amdhsa_reserve_vcc 1
		.amdhsa_reserve_flat_scratch 0
		.amdhsa_float_round_mode_32 0
		.amdhsa_float_round_mode_16_64 0
		.amdhsa_float_denorm_mode_32 3
		.amdhsa_float_denorm_mode_16_64 3
		.amdhsa_dx10_clamp 1
		.amdhsa_ieee_mode 1
		.amdhsa_fp16_overflow 0
		.amdhsa_exception_fp_ieee_invalid_op 0
		.amdhsa_exception_fp_denorm_src 0
		.amdhsa_exception_fp_ieee_div_zero 0
		.amdhsa_exception_fp_ieee_overflow 0
		.amdhsa_exception_fp_ieee_underflow 0
		.amdhsa_exception_fp_ieee_inexact 0
		.amdhsa_exception_int_div_zero 0
	.end_amdhsa_kernel
	.section	.text._Z33warp_inclusive_scan_reduce_kernelIiLj32ELj8EENSt9enable_ifIXsr10test_utilsE35device_test_enabled_for_warp_size_vIXT1_EEEvE4typeEPT_S4_S4_,"axG",@progbits,_Z33warp_inclusive_scan_reduce_kernelIiLj32ELj8EENSt9enable_ifIXsr10test_utilsE35device_test_enabled_for_warp_size_vIXT1_EEEvE4typeEPT_S4_S4_,comdat
.Lfunc_end106:
	.size	_Z33warp_inclusive_scan_reduce_kernelIiLj32ELj8EENSt9enable_ifIXsr10test_utilsE35device_test_enabled_for_warp_size_vIXT1_EEEvE4typeEPT_S4_S4_, .Lfunc_end106-_Z33warp_inclusive_scan_reduce_kernelIiLj32ELj8EENSt9enable_ifIXsr10test_utilsE35device_test_enabled_for_warp_size_vIXT1_EEEvE4typeEPT_S4_S4_
                                        ; -- End function
	.set _Z33warp_inclusive_scan_reduce_kernelIiLj32ELj8EENSt9enable_ifIXsr10test_utilsE35device_test_enabled_for_warp_size_vIXT1_EEEvE4typeEPT_S4_S4_.num_vgpr, 8
	.set _Z33warp_inclusive_scan_reduce_kernelIiLj32ELj8EENSt9enable_ifIXsr10test_utilsE35device_test_enabled_for_warp_size_vIXT1_EEEvE4typeEPT_S4_S4_.num_agpr, 0
	.set _Z33warp_inclusive_scan_reduce_kernelIiLj32ELj8EENSt9enable_ifIXsr10test_utilsE35device_test_enabled_for_warp_size_vIXT1_EEEvE4typeEPT_S4_S4_.numbered_sgpr, 14
	.set _Z33warp_inclusive_scan_reduce_kernelIiLj32ELj8EENSt9enable_ifIXsr10test_utilsE35device_test_enabled_for_warp_size_vIXT1_EEEvE4typeEPT_S4_S4_.num_named_barrier, 0
	.set _Z33warp_inclusive_scan_reduce_kernelIiLj32ELj8EENSt9enable_ifIXsr10test_utilsE35device_test_enabled_for_warp_size_vIXT1_EEEvE4typeEPT_S4_S4_.private_seg_size, 0
	.set _Z33warp_inclusive_scan_reduce_kernelIiLj32ELj8EENSt9enable_ifIXsr10test_utilsE35device_test_enabled_for_warp_size_vIXT1_EEEvE4typeEPT_S4_S4_.uses_vcc, 1
	.set _Z33warp_inclusive_scan_reduce_kernelIiLj32ELj8EENSt9enable_ifIXsr10test_utilsE35device_test_enabled_for_warp_size_vIXT1_EEEvE4typeEPT_S4_S4_.uses_flat_scratch, 0
	.set _Z33warp_inclusive_scan_reduce_kernelIiLj32ELj8EENSt9enable_ifIXsr10test_utilsE35device_test_enabled_for_warp_size_vIXT1_EEEvE4typeEPT_S4_S4_.has_dyn_sized_stack, 0
	.set _Z33warp_inclusive_scan_reduce_kernelIiLj32ELj8EENSt9enable_ifIXsr10test_utilsE35device_test_enabled_for_warp_size_vIXT1_EEEvE4typeEPT_S4_S4_.has_recursion, 0
	.set _Z33warp_inclusive_scan_reduce_kernelIiLj32ELj8EENSt9enable_ifIXsr10test_utilsE35device_test_enabled_for_warp_size_vIXT1_EEEvE4typeEPT_S4_S4_.has_indirect_call, 0
	.section	.AMDGPU.csdata,"",@progbits
; Kernel info:
; codeLenInByte = 360
; TotalNumSgprs: 18
; NumVgprs: 8
; ScratchSize: 0
; MemoryBound: 0
; FloatMode: 240
; IeeeMode: 1
; LDSByteSize: 0 bytes/workgroup (compile time only)
; SGPRBlocks: 2
; VGPRBlocks: 1
; NumSGPRsForWavesPerEU: 18
; NumVGPRsForWavesPerEU: 8
; Occupancy: 10
; WaveLimiterHint : 0
; COMPUTE_PGM_RSRC2:SCRATCH_EN: 0
; COMPUTE_PGM_RSRC2:USER_SGPR: 6
; COMPUTE_PGM_RSRC2:TRAP_HANDLER: 0
; COMPUTE_PGM_RSRC2:TGID_X_EN: 1
; COMPUTE_PGM_RSRC2:TGID_Y_EN: 0
; COMPUTE_PGM_RSRC2:TGID_Z_EN: 0
; COMPUTE_PGM_RSRC2:TIDIG_COMP_CNT: 0
	.section	.text._Z33warp_inclusive_scan_reduce_kernelIiLj64ELj8EENSt9enable_ifIXsr10test_utilsE35device_test_enabled_for_warp_size_vIXT1_EEEvE4typeEPT_S4_S4_,"axG",@progbits,_Z33warp_inclusive_scan_reduce_kernelIiLj64ELj8EENSt9enable_ifIXsr10test_utilsE35device_test_enabled_for_warp_size_vIXT1_EEEvE4typeEPT_S4_S4_,comdat
	.protected	_Z33warp_inclusive_scan_reduce_kernelIiLj64ELj8EENSt9enable_ifIXsr10test_utilsE35device_test_enabled_for_warp_size_vIXT1_EEEvE4typeEPT_S4_S4_ ; -- Begin function _Z33warp_inclusive_scan_reduce_kernelIiLj64ELj8EENSt9enable_ifIXsr10test_utilsE35device_test_enabled_for_warp_size_vIXT1_EEEvE4typeEPT_S4_S4_
	.globl	_Z33warp_inclusive_scan_reduce_kernelIiLj64ELj8EENSt9enable_ifIXsr10test_utilsE35device_test_enabled_for_warp_size_vIXT1_EEEvE4typeEPT_S4_S4_
	.p2align	8
	.type	_Z33warp_inclusive_scan_reduce_kernelIiLj64ELj8EENSt9enable_ifIXsr10test_utilsE35device_test_enabled_for_warp_size_vIXT1_EEEvE4typeEPT_S4_S4_,@function
_Z33warp_inclusive_scan_reduce_kernelIiLj64ELj8EENSt9enable_ifIXsr10test_utilsE35device_test_enabled_for_warp_size_vIXT1_EEEvE4typeEPT_S4_S4_: ; @_Z33warp_inclusive_scan_reduce_kernelIiLj64ELj8EENSt9enable_ifIXsr10test_utilsE35device_test_enabled_for_warp_size_vIXT1_EEEvE4typeEPT_S4_S4_
; %bb.0:
	s_load_dwordx4 s[8:11], s[4:5], 0x0
	s_load_dwordx2 s[12:13], s[4:5], 0x10
	v_lshl_or_b32 v1, s6, 6, v0
	v_mov_b32_e32 v2, 0
	v_lshlrev_b64 v[2:3], 2, v[1:2]
	s_waitcnt lgkmcnt(0)
	v_mov_b32_e32 v5, s9
	v_add_co_u32_e32 v4, vcc, s8, v2
	v_addc_co_u32_e32 v5, vcc, v5, v3, vcc
	global_load_dword v4, v[4:5], off
	v_mbcnt_lo_u32_b32 v5, -1, 0
	s_bitcmp1_b32 s6, 0
	v_mbcnt_hi_u32_b32 v5, -1, v5
	s_cselect_b64 s[6:7], -1, 0
	v_and_b32_e32 v6, 7, v5
	v_cmp_eq_u32_e64 s[4:5], 0, v6
	v_cmp_lt_u32_e64 s[2:3], 1, v6
	v_cmp_lt_u32_e64 s[0:1], 3, v6
	v_lshl_or_b32 v5, v5, 2, 28
	s_and_b64 vcc, exec, s[6:7]
	s_cbranch_vccz .LBB107_2
; %bb.1:
	s_waitcnt vmcnt(0)
	v_mov_b32_dpp v6, v4 row_shr:1 row_mask:0xf bank_mask:0xf
	v_cndmask_b32_e64 v6, v6, 0, s[4:5]
	v_add_u32_e32 v6, v6, v4
	s_nop 1
	v_mov_b32_dpp v7, v6 row_shr:2 row_mask:0xf bank_mask:0xf
	v_cndmask_b32_e64 v7, 0, v7, s[2:3]
	v_add_u32_e32 v6, v6, v7
	s_nop 1
	v_mov_b32_dpp v7, v6 row_shr:4 row_mask:0xf bank_mask:0xf
	v_cndmask_b32_e64 v7, 0, v7, s[0:1]
	v_add_u32_e32 v7, v6, v7
	ds_bpermute_b32 v6, v5, v7
	s_cbranch_execz .LBB107_3
	s_branch .LBB107_4
.LBB107_2:
                                        ; implicit-def: $vgpr7
                                        ; implicit-def: $vgpr6
.LBB107_3:
	s_waitcnt vmcnt(0) lgkmcnt(0)
	s_nop 0
	v_mov_b32_dpp v6, v4 row_shr:1 row_mask:0xf bank_mask:0xf
	v_cndmask_b32_e64 v6, v6, 0, s[4:5]
	v_add_u32_e32 v4, v6, v4
	s_nop 1
	v_mov_b32_dpp v6, v4 row_shr:2 row_mask:0xf bank_mask:0xf
	v_cndmask_b32_e64 v6, 0, v6, s[2:3]
	v_add_u32_e32 v4, v4, v6
	;; [unrolled: 4-line block ×3, first 2 shown]
	ds_bpermute_b32 v6, v5, v7
.LBB107_4:
	s_waitcnt vmcnt(0)
	v_mov_b32_e32 v4, s11
	v_add_co_u32_e32 v2, vcc, s10, v2
	v_addc_co_u32_e32 v3, vcc, v4, v3, vcc
	v_and_b32_e32 v0, 7, v0
	v_cmp_eq_u32_e32 vcc, 0, v0
	global_store_dword v[2:3], v7, off
	s_and_saveexec_b64 s[0:1], vcc
	s_cbranch_execz .LBB107_6
; %bb.5:
	v_lshrrev_b32_e32 v0, 1, v1
	s_waitcnt lgkmcnt(0)
	global_store_dword v0, v6, s[12:13]
.LBB107_6:
	s_endpgm
	.section	.rodata,"a",@progbits
	.p2align	6, 0x0
	.amdhsa_kernel _Z33warp_inclusive_scan_reduce_kernelIiLj64ELj8EENSt9enable_ifIXsr10test_utilsE35device_test_enabled_for_warp_size_vIXT1_EEEvE4typeEPT_S4_S4_
		.amdhsa_group_segment_fixed_size 0
		.amdhsa_private_segment_fixed_size 0
		.amdhsa_kernarg_size 24
		.amdhsa_user_sgpr_count 6
		.amdhsa_user_sgpr_private_segment_buffer 1
		.amdhsa_user_sgpr_dispatch_ptr 0
		.amdhsa_user_sgpr_queue_ptr 0
		.amdhsa_user_sgpr_kernarg_segment_ptr 1
		.amdhsa_user_sgpr_dispatch_id 0
		.amdhsa_user_sgpr_flat_scratch_init 0
		.amdhsa_user_sgpr_private_segment_size 0
		.amdhsa_uses_dynamic_stack 0
		.amdhsa_system_sgpr_private_segment_wavefront_offset 0
		.amdhsa_system_sgpr_workgroup_id_x 1
		.amdhsa_system_sgpr_workgroup_id_y 0
		.amdhsa_system_sgpr_workgroup_id_z 0
		.amdhsa_system_sgpr_workgroup_info 0
		.amdhsa_system_vgpr_workitem_id 0
		.amdhsa_next_free_vgpr 8
		.amdhsa_next_free_sgpr 14
		.amdhsa_reserve_vcc 1
		.amdhsa_reserve_flat_scratch 0
		.amdhsa_float_round_mode_32 0
		.amdhsa_float_round_mode_16_64 0
		.amdhsa_float_denorm_mode_32 3
		.amdhsa_float_denorm_mode_16_64 3
		.amdhsa_dx10_clamp 1
		.amdhsa_ieee_mode 1
		.amdhsa_fp16_overflow 0
		.amdhsa_exception_fp_ieee_invalid_op 0
		.amdhsa_exception_fp_denorm_src 0
		.amdhsa_exception_fp_ieee_div_zero 0
		.amdhsa_exception_fp_ieee_overflow 0
		.amdhsa_exception_fp_ieee_underflow 0
		.amdhsa_exception_fp_ieee_inexact 0
		.amdhsa_exception_int_div_zero 0
	.end_amdhsa_kernel
	.section	.text._Z33warp_inclusive_scan_reduce_kernelIiLj64ELj8EENSt9enable_ifIXsr10test_utilsE35device_test_enabled_for_warp_size_vIXT1_EEEvE4typeEPT_S4_S4_,"axG",@progbits,_Z33warp_inclusive_scan_reduce_kernelIiLj64ELj8EENSt9enable_ifIXsr10test_utilsE35device_test_enabled_for_warp_size_vIXT1_EEEvE4typeEPT_S4_S4_,comdat
.Lfunc_end107:
	.size	_Z33warp_inclusive_scan_reduce_kernelIiLj64ELj8EENSt9enable_ifIXsr10test_utilsE35device_test_enabled_for_warp_size_vIXT1_EEEvE4typeEPT_S4_S4_, .Lfunc_end107-_Z33warp_inclusive_scan_reduce_kernelIiLj64ELj8EENSt9enable_ifIXsr10test_utilsE35device_test_enabled_for_warp_size_vIXT1_EEEvE4typeEPT_S4_S4_
                                        ; -- End function
	.set _Z33warp_inclusive_scan_reduce_kernelIiLj64ELj8EENSt9enable_ifIXsr10test_utilsE35device_test_enabled_for_warp_size_vIXT1_EEEvE4typeEPT_S4_S4_.num_vgpr, 8
	.set _Z33warp_inclusive_scan_reduce_kernelIiLj64ELj8EENSt9enable_ifIXsr10test_utilsE35device_test_enabled_for_warp_size_vIXT1_EEEvE4typeEPT_S4_S4_.num_agpr, 0
	.set _Z33warp_inclusive_scan_reduce_kernelIiLj64ELj8EENSt9enable_ifIXsr10test_utilsE35device_test_enabled_for_warp_size_vIXT1_EEEvE4typeEPT_S4_S4_.numbered_sgpr, 14
	.set _Z33warp_inclusive_scan_reduce_kernelIiLj64ELj8EENSt9enable_ifIXsr10test_utilsE35device_test_enabled_for_warp_size_vIXT1_EEEvE4typeEPT_S4_S4_.num_named_barrier, 0
	.set _Z33warp_inclusive_scan_reduce_kernelIiLj64ELj8EENSt9enable_ifIXsr10test_utilsE35device_test_enabled_for_warp_size_vIXT1_EEEvE4typeEPT_S4_S4_.private_seg_size, 0
	.set _Z33warp_inclusive_scan_reduce_kernelIiLj64ELj8EENSt9enable_ifIXsr10test_utilsE35device_test_enabled_for_warp_size_vIXT1_EEEvE4typeEPT_S4_S4_.uses_vcc, 1
	.set _Z33warp_inclusive_scan_reduce_kernelIiLj64ELj8EENSt9enable_ifIXsr10test_utilsE35device_test_enabled_for_warp_size_vIXT1_EEEvE4typeEPT_S4_S4_.uses_flat_scratch, 0
	.set _Z33warp_inclusive_scan_reduce_kernelIiLj64ELj8EENSt9enable_ifIXsr10test_utilsE35device_test_enabled_for_warp_size_vIXT1_EEEvE4typeEPT_S4_S4_.has_dyn_sized_stack, 0
	.set _Z33warp_inclusive_scan_reduce_kernelIiLj64ELj8EENSt9enable_ifIXsr10test_utilsE35device_test_enabled_for_warp_size_vIXT1_EEEvE4typeEPT_S4_S4_.has_recursion, 0
	.set _Z33warp_inclusive_scan_reduce_kernelIiLj64ELj8EENSt9enable_ifIXsr10test_utilsE35device_test_enabled_for_warp_size_vIXT1_EEEvE4typeEPT_S4_S4_.has_indirect_call, 0
	.section	.AMDGPU.csdata,"",@progbits
; Kernel info:
; codeLenInByte = 360
; TotalNumSgprs: 18
; NumVgprs: 8
; ScratchSize: 0
; MemoryBound: 0
; FloatMode: 240
; IeeeMode: 1
; LDSByteSize: 0 bytes/workgroup (compile time only)
; SGPRBlocks: 2
; VGPRBlocks: 1
; NumSGPRsForWavesPerEU: 18
; NumVGPRsForWavesPerEU: 8
; Occupancy: 10
; WaveLimiterHint : 0
; COMPUTE_PGM_RSRC2:SCRATCH_EN: 0
; COMPUTE_PGM_RSRC2:USER_SGPR: 6
; COMPUTE_PGM_RSRC2:TRAP_HANDLER: 0
; COMPUTE_PGM_RSRC2:TGID_X_EN: 1
; COMPUTE_PGM_RSRC2:TGID_Y_EN: 0
; COMPUTE_PGM_RSRC2:TGID_Z_EN: 0
; COMPUTE_PGM_RSRC2:TIDIG_COMP_CNT: 0
	.section	.text._Z33warp_inclusive_scan_reduce_kernelIiLj32ELj4EENSt9enable_ifIXsr10test_utilsE35device_test_enabled_for_warp_size_vIXT1_EEEvE4typeEPT_S4_S4_,"axG",@progbits,_Z33warp_inclusive_scan_reduce_kernelIiLj32ELj4EENSt9enable_ifIXsr10test_utilsE35device_test_enabled_for_warp_size_vIXT1_EEEvE4typeEPT_S4_S4_,comdat
	.protected	_Z33warp_inclusive_scan_reduce_kernelIiLj32ELj4EENSt9enable_ifIXsr10test_utilsE35device_test_enabled_for_warp_size_vIXT1_EEEvE4typeEPT_S4_S4_ ; -- Begin function _Z33warp_inclusive_scan_reduce_kernelIiLj32ELj4EENSt9enable_ifIXsr10test_utilsE35device_test_enabled_for_warp_size_vIXT1_EEEvE4typeEPT_S4_S4_
	.globl	_Z33warp_inclusive_scan_reduce_kernelIiLj32ELj4EENSt9enable_ifIXsr10test_utilsE35device_test_enabled_for_warp_size_vIXT1_EEEvE4typeEPT_S4_S4_
	.p2align	8
	.type	_Z33warp_inclusive_scan_reduce_kernelIiLj32ELj4EENSt9enable_ifIXsr10test_utilsE35device_test_enabled_for_warp_size_vIXT1_EEEvE4typeEPT_S4_S4_,@function
_Z33warp_inclusive_scan_reduce_kernelIiLj32ELj4EENSt9enable_ifIXsr10test_utilsE35device_test_enabled_for_warp_size_vIXT1_EEEvE4typeEPT_S4_S4_: ; @_Z33warp_inclusive_scan_reduce_kernelIiLj32ELj4EENSt9enable_ifIXsr10test_utilsE35device_test_enabled_for_warp_size_vIXT1_EEEvE4typeEPT_S4_S4_
; %bb.0:
	s_load_dwordx4 s[8:11], s[4:5], 0x0
	s_load_dwordx2 s[12:13], s[4:5], 0x10
	v_lshl_or_b32 v1, s6, 5, v0
	v_mov_b32_e32 v2, 0
	v_lshlrev_b64 v[2:3], 2, v[1:2]
	s_waitcnt lgkmcnt(0)
	v_mov_b32_e32 v5, s9
	v_add_co_u32_e32 v4, vcc, s8, v2
	v_addc_co_u32_e32 v5, vcc, v5, v3, vcc
	global_load_dword v5, v[4:5], off
	v_mbcnt_lo_u32_b32 v4, -1, 0
	s_bitcmp1_b32 s6, 0
	v_mbcnt_hi_u32_b32 v4, -1, v4
	s_cselect_b64 s[4:5], -1, 0
	v_and_b32_e32 v6, 3, v4
	v_cmp_eq_u32_e64 s[2:3], 0, v6
	v_cmp_lt_u32_e64 s[0:1], 1, v6
	v_lshl_or_b32 v6, v4, 2, 12
	s_and_b64 vcc, exec, s[4:5]
	s_cbranch_vccz .LBB108_2
; %bb.1:
	s_waitcnt vmcnt(0)
	v_mov_b32_dpp v4, v5 row_shr:1 row_mask:0xf bank_mask:0xf
	v_cndmask_b32_e64 v4, v4, 0, s[2:3]
	v_add_u32_e32 v4, v4, v5
	s_nop 1
	v_mov_b32_dpp v7, v4 row_shr:2 row_mask:0xf bank_mask:0xf
	v_cndmask_b32_e64 v7, 0, v7, s[0:1]
	v_add_u32_e32 v7, v4, v7
	ds_bpermute_b32 v4, v6, v7
	s_cbranch_execz .LBB108_3
	s_branch .LBB108_4
.LBB108_2:
                                        ; implicit-def: $vgpr7
                                        ; implicit-def: $vgpr4
.LBB108_3:
	s_waitcnt vmcnt(0) lgkmcnt(0)
	s_nop 0
	v_mov_b32_dpp v4, v5 row_shr:1 row_mask:0xf bank_mask:0xf
	v_cndmask_b32_e64 v4, v4, 0, s[2:3]
	v_add_u32_e32 v4, v4, v5
	s_nop 1
	v_mov_b32_dpp v5, v4 row_shr:2 row_mask:0xf bank_mask:0xf
	v_cndmask_b32_e64 v5, 0, v5, s[0:1]
	v_add_u32_e32 v7, v4, v5
	ds_bpermute_b32 v4, v6, v7
.LBB108_4:
	s_waitcnt vmcnt(0)
	v_mov_b32_e32 v5, s11
	v_add_co_u32_e32 v2, vcc, s10, v2
	v_addc_co_u32_e32 v3, vcc, v5, v3, vcc
	v_and_b32_e32 v0, 3, v0
	v_cmp_eq_u32_e32 vcc, 0, v0
	global_store_dword v[2:3], v7, off
	s_and_saveexec_b64 s[0:1], vcc
	s_cbranch_execz .LBB108_6
; %bb.5:
	v_mov_b32_e32 v2, s13
	v_add_co_u32_e32 v0, vcc, s12, v1
	v_addc_co_u32_e32 v1, vcc, 0, v2, vcc
	s_waitcnt lgkmcnt(0)
	global_store_dword v[0:1], v4, off
.LBB108_6:
	s_endpgm
	.section	.rodata,"a",@progbits
	.p2align	6, 0x0
	.amdhsa_kernel _Z33warp_inclusive_scan_reduce_kernelIiLj32ELj4EENSt9enable_ifIXsr10test_utilsE35device_test_enabled_for_warp_size_vIXT1_EEEvE4typeEPT_S4_S4_
		.amdhsa_group_segment_fixed_size 0
		.amdhsa_private_segment_fixed_size 0
		.amdhsa_kernarg_size 24
		.amdhsa_user_sgpr_count 6
		.amdhsa_user_sgpr_private_segment_buffer 1
		.amdhsa_user_sgpr_dispatch_ptr 0
		.amdhsa_user_sgpr_queue_ptr 0
		.amdhsa_user_sgpr_kernarg_segment_ptr 1
		.amdhsa_user_sgpr_dispatch_id 0
		.amdhsa_user_sgpr_flat_scratch_init 0
		.amdhsa_user_sgpr_private_segment_size 0
		.amdhsa_uses_dynamic_stack 0
		.amdhsa_system_sgpr_private_segment_wavefront_offset 0
		.amdhsa_system_sgpr_workgroup_id_x 1
		.amdhsa_system_sgpr_workgroup_id_y 0
		.amdhsa_system_sgpr_workgroup_id_z 0
		.amdhsa_system_sgpr_workgroup_info 0
		.amdhsa_system_vgpr_workitem_id 0
		.amdhsa_next_free_vgpr 8
		.amdhsa_next_free_sgpr 14
		.amdhsa_reserve_vcc 1
		.amdhsa_reserve_flat_scratch 0
		.amdhsa_float_round_mode_32 0
		.amdhsa_float_round_mode_16_64 0
		.amdhsa_float_denorm_mode_32 3
		.amdhsa_float_denorm_mode_16_64 3
		.amdhsa_dx10_clamp 1
		.amdhsa_ieee_mode 1
		.amdhsa_fp16_overflow 0
		.amdhsa_exception_fp_ieee_invalid_op 0
		.amdhsa_exception_fp_denorm_src 0
		.amdhsa_exception_fp_ieee_div_zero 0
		.amdhsa_exception_fp_ieee_overflow 0
		.amdhsa_exception_fp_ieee_underflow 0
		.amdhsa_exception_fp_ieee_inexact 0
		.amdhsa_exception_int_div_zero 0
	.end_amdhsa_kernel
	.section	.text._Z33warp_inclusive_scan_reduce_kernelIiLj32ELj4EENSt9enable_ifIXsr10test_utilsE35device_test_enabled_for_warp_size_vIXT1_EEEvE4typeEPT_S4_S4_,"axG",@progbits,_Z33warp_inclusive_scan_reduce_kernelIiLj32ELj4EENSt9enable_ifIXsr10test_utilsE35device_test_enabled_for_warp_size_vIXT1_EEEvE4typeEPT_S4_S4_,comdat
.Lfunc_end108:
	.size	_Z33warp_inclusive_scan_reduce_kernelIiLj32ELj4EENSt9enable_ifIXsr10test_utilsE35device_test_enabled_for_warp_size_vIXT1_EEEvE4typeEPT_S4_S4_, .Lfunc_end108-_Z33warp_inclusive_scan_reduce_kernelIiLj32ELj4EENSt9enable_ifIXsr10test_utilsE35device_test_enabled_for_warp_size_vIXT1_EEEvE4typeEPT_S4_S4_
                                        ; -- End function
	.set _Z33warp_inclusive_scan_reduce_kernelIiLj32ELj4EENSt9enable_ifIXsr10test_utilsE35device_test_enabled_for_warp_size_vIXT1_EEEvE4typeEPT_S4_S4_.num_vgpr, 8
	.set _Z33warp_inclusive_scan_reduce_kernelIiLj32ELj4EENSt9enable_ifIXsr10test_utilsE35device_test_enabled_for_warp_size_vIXT1_EEEvE4typeEPT_S4_S4_.num_agpr, 0
	.set _Z33warp_inclusive_scan_reduce_kernelIiLj32ELj4EENSt9enable_ifIXsr10test_utilsE35device_test_enabled_for_warp_size_vIXT1_EEEvE4typeEPT_S4_S4_.numbered_sgpr, 14
	.set _Z33warp_inclusive_scan_reduce_kernelIiLj32ELj4EENSt9enable_ifIXsr10test_utilsE35device_test_enabled_for_warp_size_vIXT1_EEEvE4typeEPT_S4_S4_.num_named_barrier, 0
	.set _Z33warp_inclusive_scan_reduce_kernelIiLj32ELj4EENSt9enable_ifIXsr10test_utilsE35device_test_enabled_for_warp_size_vIXT1_EEEvE4typeEPT_S4_S4_.private_seg_size, 0
	.set _Z33warp_inclusive_scan_reduce_kernelIiLj32ELj4EENSt9enable_ifIXsr10test_utilsE35device_test_enabled_for_warp_size_vIXT1_EEEvE4typeEPT_S4_S4_.uses_vcc, 1
	.set _Z33warp_inclusive_scan_reduce_kernelIiLj32ELj4EENSt9enable_ifIXsr10test_utilsE35device_test_enabled_for_warp_size_vIXT1_EEEvE4typeEPT_S4_S4_.uses_flat_scratch, 0
	.set _Z33warp_inclusive_scan_reduce_kernelIiLj32ELj4EENSt9enable_ifIXsr10test_utilsE35device_test_enabled_for_warp_size_vIXT1_EEEvE4typeEPT_S4_S4_.has_dyn_sized_stack, 0
	.set _Z33warp_inclusive_scan_reduce_kernelIiLj32ELj4EENSt9enable_ifIXsr10test_utilsE35device_test_enabled_for_warp_size_vIXT1_EEEvE4typeEPT_S4_S4_.has_recursion, 0
	.set _Z33warp_inclusive_scan_reduce_kernelIiLj32ELj4EENSt9enable_ifIXsr10test_utilsE35device_test_enabled_for_warp_size_vIXT1_EEEvE4typeEPT_S4_S4_.has_indirect_call, 0
	.section	.AMDGPU.csdata,"",@progbits
; Kernel info:
; codeLenInByte = 312
; TotalNumSgprs: 18
; NumVgprs: 8
; ScratchSize: 0
; MemoryBound: 0
; FloatMode: 240
; IeeeMode: 1
; LDSByteSize: 0 bytes/workgroup (compile time only)
; SGPRBlocks: 2
; VGPRBlocks: 1
; NumSGPRsForWavesPerEU: 18
; NumVGPRsForWavesPerEU: 8
; Occupancy: 10
; WaveLimiterHint : 0
; COMPUTE_PGM_RSRC2:SCRATCH_EN: 0
; COMPUTE_PGM_RSRC2:USER_SGPR: 6
; COMPUTE_PGM_RSRC2:TRAP_HANDLER: 0
; COMPUTE_PGM_RSRC2:TGID_X_EN: 1
; COMPUTE_PGM_RSRC2:TGID_Y_EN: 0
; COMPUTE_PGM_RSRC2:TGID_Z_EN: 0
; COMPUTE_PGM_RSRC2:TIDIG_COMP_CNT: 0
	.section	.text._Z33warp_inclusive_scan_reduce_kernelIiLj64ELj4EENSt9enable_ifIXsr10test_utilsE35device_test_enabled_for_warp_size_vIXT1_EEEvE4typeEPT_S4_S4_,"axG",@progbits,_Z33warp_inclusive_scan_reduce_kernelIiLj64ELj4EENSt9enable_ifIXsr10test_utilsE35device_test_enabled_for_warp_size_vIXT1_EEEvE4typeEPT_S4_S4_,comdat
	.protected	_Z33warp_inclusive_scan_reduce_kernelIiLj64ELj4EENSt9enable_ifIXsr10test_utilsE35device_test_enabled_for_warp_size_vIXT1_EEEvE4typeEPT_S4_S4_ ; -- Begin function _Z33warp_inclusive_scan_reduce_kernelIiLj64ELj4EENSt9enable_ifIXsr10test_utilsE35device_test_enabled_for_warp_size_vIXT1_EEEvE4typeEPT_S4_S4_
	.globl	_Z33warp_inclusive_scan_reduce_kernelIiLj64ELj4EENSt9enable_ifIXsr10test_utilsE35device_test_enabled_for_warp_size_vIXT1_EEEvE4typeEPT_S4_S4_
	.p2align	8
	.type	_Z33warp_inclusive_scan_reduce_kernelIiLj64ELj4EENSt9enable_ifIXsr10test_utilsE35device_test_enabled_for_warp_size_vIXT1_EEEvE4typeEPT_S4_S4_,@function
_Z33warp_inclusive_scan_reduce_kernelIiLj64ELj4EENSt9enable_ifIXsr10test_utilsE35device_test_enabled_for_warp_size_vIXT1_EEEvE4typeEPT_S4_S4_: ; @_Z33warp_inclusive_scan_reduce_kernelIiLj64ELj4EENSt9enable_ifIXsr10test_utilsE35device_test_enabled_for_warp_size_vIXT1_EEEvE4typeEPT_S4_S4_
; %bb.0:
	s_load_dwordx4 s[8:11], s[4:5], 0x0
	s_load_dwordx2 s[12:13], s[4:5], 0x10
	v_lshl_or_b32 v1, s6, 6, v0
	v_mov_b32_e32 v2, 0
	v_lshlrev_b64 v[2:3], 2, v[1:2]
	s_waitcnt lgkmcnt(0)
	v_mov_b32_e32 v5, s9
	v_add_co_u32_e32 v4, vcc, s8, v2
	v_addc_co_u32_e32 v5, vcc, v5, v3, vcc
	global_load_dword v5, v[4:5], off
	v_mbcnt_lo_u32_b32 v4, -1, 0
	s_bitcmp1_b32 s6, 0
	v_mbcnt_hi_u32_b32 v4, -1, v4
	s_cselect_b64 s[4:5], -1, 0
	v_and_b32_e32 v6, 3, v4
	v_cmp_eq_u32_e64 s[2:3], 0, v6
	v_cmp_lt_u32_e64 s[0:1], 1, v6
	v_lshl_or_b32 v6, v4, 2, 12
	s_and_b64 vcc, exec, s[4:5]
	s_cbranch_vccz .LBB109_2
; %bb.1:
	s_waitcnt vmcnt(0)
	v_mov_b32_dpp v4, v5 row_shr:1 row_mask:0xf bank_mask:0xf
	v_cndmask_b32_e64 v4, v4, 0, s[2:3]
	v_add_u32_e32 v4, v4, v5
	s_nop 1
	v_mov_b32_dpp v7, v4 row_shr:2 row_mask:0xf bank_mask:0xf
	v_cndmask_b32_e64 v7, 0, v7, s[0:1]
	v_add_u32_e32 v7, v4, v7
	ds_bpermute_b32 v4, v6, v7
	s_cbranch_execz .LBB109_3
	s_branch .LBB109_4
.LBB109_2:
                                        ; implicit-def: $vgpr7
                                        ; implicit-def: $vgpr4
.LBB109_3:
	s_waitcnt vmcnt(0) lgkmcnt(0)
	s_nop 0
	v_mov_b32_dpp v4, v5 row_shr:1 row_mask:0xf bank_mask:0xf
	v_cndmask_b32_e64 v4, v4, 0, s[2:3]
	v_add_u32_e32 v4, v4, v5
	s_nop 1
	v_mov_b32_dpp v5, v4 row_shr:2 row_mask:0xf bank_mask:0xf
	v_cndmask_b32_e64 v5, 0, v5, s[0:1]
	v_add_u32_e32 v7, v4, v5
	ds_bpermute_b32 v4, v6, v7
.LBB109_4:
	s_waitcnt vmcnt(0)
	v_mov_b32_e32 v5, s11
	v_add_co_u32_e32 v2, vcc, s10, v2
	v_addc_co_u32_e32 v3, vcc, v5, v3, vcc
	v_and_b32_e32 v0, 3, v0
	v_cmp_eq_u32_e32 vcc, 0, v0
	global_store_dword v[2:3], v7, off
	s_and_saveexec_b64 s[0:1], vcc
	s_cbranch_execz .LBB109_6
; %bb.5:
	v_mov_b32_e32 v2, s13
	v_add_co_u32_e32 v0, vcc, s12, v1
	v_addc_co_u32_e32 v1, vcc, 0, v2, vcc
	s_waitcnt lgkmcnt(0)
	global_store_dword v[0:1], v4, off
.LBB109_6:
	s_endpgm
	.section	.rodata,"a",@progbits
	.p2align	6, 0x0
	.amdhsa_kernel _Z33warp_inclusive_scan_reduce_kernelIiLj64ELj4EENSt9enable_ifIXsr10test_utilsE35device_test_enabled_for_warp_size_vIXT1_EEEvE4typeEPT_S4_S4_
		.amdhsa_group_segment_fixed_size 0
		.amdhsa_private_segment_fixed_size 0
		.amdhsa_kernarg_size 24
		.amdhsa_user_sgpr_count 6
		.amdhsa_user_sgpr_private_segment_buffer 1
		.amdhsa_user_sgpr_dispatch_ptr 0
		.amdhsa_user_sgpr_queue_ptr 0
		.amdhsa_user_sgpr_kernarg_segment_ptr 1
		.amdhsa_user_sgpr_dispatch_id 0
		.amdhsa_user_sgpr_flat_scratch_init 0
		.amdhsa_user_sgpr_private_segment_size 0
		.amdhsa_uses_dynamic_stack 0
		.amdhsa_system_sgpr_private_segment_wavefront_offset 0
		.amdhsa_system_sgpr_workgroup_id_x 1
		.amdhsa_system_sgpr_workgroup_id_y 0
		.amdhsa_system_sgpr_workgroup_id_z 0
		.amdhsa_system_sgpr_workgroup_info 0
		.amdhsa_system_vgpr_workitem_id 0
		.amdhsa_next_free_vgpr 8
		.amdhsa_next_free_sgpr 14
		.amdhsa_reserve_vcc 1
		.amdhsa_reserve_flat_scratch 0
		.amdhsa_float_round_mode_32 0
		.amdhsa_float_round_mode_16_64 0
		.amdhsa_float_denorm_mode_32 3
		.amdhsa_float_denorm_mode_16_64 3
		.amdhsa_dx10_clamp 1
		.amdhsa_ieee_mode 1
		.amdhsa_fp16_overflow 0
		.amdhsa_exception_fp_ieee_invalid_op 0
		.amdhsa_exception_fp_denorm_src 0
		.amdhsa_exception_fp_ieee_div_zero 0
		.amdhsa_exception_fp_ieee_overflow 0
		.amdhsa_exception_fp_ieee_underflow 0
		.amdhsa_exception_fp_ieee_inexact 0
		.amdhsa_exception_int_div_zero 0
	.end_amdhsa_kernel
	.section	.text._Z33warp_inclusive_scan_reduce_kernelIiLj64ELj4EENSt9enable_ifIXsr10test_utilsE35device_test_enabled_for_warp_size_vIXT1_EEEvE4typeEPT_S4_S4_,"axG",@progbits,_Z33warp_inclusive_scan_reduce_kernelIiLj64ELj4EENSt9enable_ifIXsr10test_utilsE35device_test_enabled_for_warp_size_vIXT1_EEEvE4typeEPT_S4_S4_,comdat
.Lfunc_end109:
	.size	_Z33warp_inclusive_scan_reduce_kernelIiLj64ELj4EENSt9enable_ifIXsr10test_utilsE35device_test_enabled_for_warp_size_vIXT1_EEEvE4typeEPT_S4_S4_, .Lfunc_end109-_Z33warp_inclusive_scan_reduce_kernelIiLj64ELj4EENSt9enable_ifIXsr10test_utilsE35device_test_enabled_for_warp_size_vIXT1_EEEvE4typeEPT_S4_S4_
                                        ; -- End function
	.set _Z33warp_inclusive_scan_reduce_kernelIiLj64ELj4EENSt9enable_ifIXsr10test_utilsE35device_test_enabled_for_warp_size_vIXT1_EEEvE4typeEPT_S4_S4_.num_vgpr, 8
	.set _Z33warp_inclusive_scan_reduce_kernelIiLj64ELj4EENSt9enable_ifIXsr10test_utilsE35device_test_enabled_for_warp_size_vIXT1_EEEvE4typeEPT_S4_S4_.num_agpr, 0
	.set _Z33warp_inclusive_scan_reduce_kernelIiLj64ELj4EENSt9enable_ifIXsr10test_utilsE35device_test_enabled_for_warp_size_vIXT1_EEEvE4typeEPT_S4_S4_.numbered_sgpr, 14
	.set _Z33warp_inclusive_scan_reduce_kernelIiLj64ELj4EENSt9enable_ifIXsr10test_utilsE35device_test_enabled_for_warp_size_vIXT1_EEEvE4typeEPT_S4_S4_.num_named_barrier, 0
	.set _Z33warp_inclusive_scan_reduce_kernelIiLj64ELj4EENSt9enable_ifIXsr10test_utilsE35device_test_enabled_for_warp_size_vIXT1_EEEvE4typeEPT_S4_S4_.private_seg_size, 0
	.set _Z33warp_inclusive_scan_reduce_kernelIiLj64ELj4EENSt9enable_ifIXsr10test_utilsE35device_test_enabled_for_warp_size_vIXT1_EEEvE4typeEPT_S4_S4_.uses_vcc, 1
	.set _Z33warp_inclusive_scan_reduce_kernelIiLj64ELj4EENSt9enable_ifIXsr10test_utilsE35device_test_enabled_for_warp_size_vIXT1_EEEvE4typeEPT_S4_S4_.uses_flat_scratch, 0
	.set _Z33warp_inclusive_scan_reduce_kernelIiLj64ELj4EENSt9enable_ifIXsr10test_utilsE35device_test_enabled_for_warp_size_vIXT1_EEEvE4typeEPT_S4_S4_.has_dyn_sized_stack, 0
	.set _Z33warp_inclusive_scan_reduce_kernelIiLj64ELj4EENSt9enable_ifIXsr10test_utilsE35device_test_enabled_for_warp_size_vIXT1_EEEvE4typeEPT_S4_S4_.has_recursion, 0
	.set _Z33warp_inclusive_scan_reduce_kernelIiLj64ELj4EENSt9enable_ifIXsr10test_utilsE35device_test_enabled_for_warp_size_vIXT1_EEEvE4typeEPT_S4_S4_.has_indirect_call, 0
	.section	.AMDGPU.csdata,"",@progbits
; Kernel info:
; codeLenInByte = 312
; TotalNumSgprs: 18
; NumVgprs: 8
; ScratchSize: 0
; MemoryBound: 0
; FloatMode: 240
; IeeeMode: 1
; LDSByteSize: 0 bytes/workgroup (compile time only)
; SGPRBlocks: 2
; VGPRBlocks: 1
; NumSGPRsForWavesPerEU: 18
; NumVGPRsForWavesPerEU: 8
; Occupancy: 10
; WaveLimiterHint : 0
; COMPUTE_PGM_RSRC2:SCRATCH_EN: 0
; COMPUTE_PGM_RSRC2:USER_SGPR: 6
; COMPUTE_PGM_RSRC2:TRAP_HANDLER: 0
; COMPUTE_PGM_RSRC2:TGID_X_EN: 1
; COMPUTE_PGM_RSRC2:TGID_Y_EN: 0
; COMPUTE_PGM_RSRC2:TGID_Z_EN: 0
; COMPUTE_PGM_RSRC2:TIDIG_COMP_CNT: 0
	.section	.text._Z33warp_inclusive_scan_reduce_kernelIiLj32ELj2EENSt9enable_ifIXsr10test_utilsE35device_test_enabled_for_warp_size_vIXT1_EEEvE4typeEPT_S4_S4_,"axG",@progbits,_Z33warp_inclusive_scan_reduce_kernelIiLj32ELj2EENSt9enable_ifIXsr10test_utilsE35device_test_enabled_for_warp_size_vIXT1_EEEvE4typeEPT_S4_S4_,comdat
	.protected	_Z33warp_inclusive_scan_reduce_kernelIiLj32ELj2EENSt9enable_ifIXsr10test_utilsE35device_test_enabled_for_warp_size_vIXT1_EEEvE4typeEPT_S4_S4_ ; -- Begin function _Z33warp_inclusive_scan_reduce_kernelIiLj32ELj2EENSt9enable_ifIXsr10test_utilsE35device_test_enabled_for_warp_size_vIXT1_EEEvE4typeEPT_S4_S4_
	.globl	_Z33warp_inclusive_scan_reduce_kernelIiLj32ELj2EENSt9enable_ifIXsr10test_utilsE35device_test_enabled_for_warp_size_vIXT1_EEEvE4typeEPT_S4_S4_
	.p2align	8
	.type	_Z33warp_inclusive_scan_reduce_kernelIiLj32ELj2EENSt9enable_ifIXsr10test_utilsE35device_test_enabled_for_warp_size_vIXT1_EEEvE4typeEPT_S4_S4_,@function
_Z33warp_inclusive_scan_reduce_kernelIiLj32ELj2EENSt9enable_ifIXsr10test_utilsE35device_test_enabled_for_warp_size_vIXT1_EEEvE4typeEPT_S4_S4_: ; @_Z33warp_inclusive_scan_reduce_kernelIiLj32ELj2EENSt9enable_ifIXsr10test_utilsE35device_test_enabled_for_warp_size_vIXT1_EEEvE4typeEPT_S4_S4_
; %bb.0:
	s_load_dwordx4 s[0:3], s[4:5], 0x0
	s_load_dwordx2 s[8:9], s[4:5], 0x10
	v_lshl_or_b32 v1, s6, 5, v0
	v_mov_b32_e32 v2, 0
	v_lshlrev_b64 v[2:3], 2, v[1:2]
	s_waitcnt lgkmcnt(0)
	v_mov_b32_e32 v5, s1
	v_add_co_u32_e32 v4, vcc, s0, v2
	v_addc_co_u32_e32 v5, vcc, v5, v3, vcc
	global_load_dword v5, v[4:5], off
	v_mbcnt_lo_u32_b32 v4, -1, 0
	s_bitcmp1_b32 s6, 0
	v_mbcnt_hi_u32_b32 v4, -1, v4
	s_cselect_b64 s[4:5], -1, 0
	v_and_b32_e32 v6, 1, v4
	v_cmp_eq_u32_e64 s[0:1], 0, v6
	v_lshl_or_b32 v7, v4, 2, 4
	s_and_b64 vcc, exec, s[4:5]
	s_cbranch_vccz .LBB110_2
; %bb.1:
	s_waitcnt vmcnt(0)
	v_mov_b32_dpp v4, v5 row_shr:1 row_mask:0xf bank_mask:0xf
	v_cndmask_b32_e64 v4, v4, 0, s[0:1]
	v_add_u32_e32 v6, v4, v5
	ds_bpermute_b32 v4, v7, v6
	s_cbranch_execz .LBB110_3
	s_branch .LBB110_4
.LBB110_2:
                                        ; implicit-def: $vgpr6
                                        ; implicit-def: $vgpr4
.LBB110_3:
	s_waitcnt vmcnt(0) lgkmcnt(0)
	s_nop 0
	v_mov_b32_dpp v4, v5 row_shr:1 row_mask:0xf bank_mask:0xf
	v_cndmask_b32_e64 v4, v4, 0, s[0:1]
	v_add_u32_e32 v6, v4, v5
	ds_bpermute_b32 v4, v7, v6
.LBB110_4:
	s_waitcnt vmcnt(0)
	v_mov_b32_e32 v5, s3
	v_add_co_u32_e32 v2, vcc, s2, v2
	v_addc_co_u32_e32 v3, vcc, v5, v3, vcc
	v_and_b32_e32 v0, 1, v0
	v_cmp_eq_u32_e32 vcc, 0, v0
	global_store_dword v[2:3], v6, off
	s_and_saveexec_b64 s[0:1], vcc
	s_cbranch_execz .LBB110_6
; %bb.5:
	v_lshrrev_b32_e32 v0, 1, v1
	v_mov_b32_e32 v1, 0
	v_lshlrev_b64 v[0:1], 2, v[0:1]
	v_mov_b32_e32 v2, s9
	v_add_co_u32_e32 v0, vcc, s8, v0
	v_addc_co_u32_e32 v1, vcc, v2, v1, vcc
	s_waitcnt lgkmcnt(0)
	global_store_dword v[0:1], v4, off
.LBB110_6:
	s_endpgm
	.section	.rodata,"a",@progbits
	.p2align	6, 0x0
	.amdhsa_kernel _Z33warp_inclusive_scan_reduce_kernelIiLj32ELj2EENSt9enable_ifIXsr10test_utilsE35device_test_enabled_for_warp_size_vIXT1_EEEvE4typeEPT_S4_S4_
		.amdhsa_group_segment_fixed_size 0
		.amdhsa_private_segment_fixed_size 0
		.amdhsa_kernarg_size 24
		.amdhsa_user_sgpr_count 6
		.amdhsa_user_sgpr_private_segment_buffer 1
		.amdhsa_user_sgpr_dispatch_ptr 0
		.amdhsa_user_sgpr_queue_ptr 0
		.amdhsa_user_sgpr_kernarg_segment_ptr 1
		.amdhsa_user_sgpr_dispatch_id 0
		.amdhsa_user_sgpr_flat_scratch_init 0
		.amdhsa_user_sgpr_private_segment_size 0
		.amdhsa_uses_dynamic_stack 0
		.amdhsa_system_sgpr_private_segment_wavefront_offset 0
		.amdhsa_system_sgpr_workgroup_id_x 1
		.amdhsa_system_sgpr_workgroup_id_y 0
		.amdhsa_system_sgpr_workgroup_id_z 0
		.amdhsa_system_sgpr_workgroup_info 0
		.amdhsa_system_vgpr_workitem_id 0
		.amdhsa_next_free_vgpr 8
		.amdhsa_next_free_sgpr 10
		.amdhsa_reserve_vcc 1
		.amdhsa_reserve_flat_scratch 0
		.amdhsa_float_round_mode_32 0
		.amdhsa_float_round_mode_16_64 0
		.amdhsa_float_denorm_mode_32 3
		.amdhsa_float_denorm_mode_16_64 3
		.amdhsa_dx10_clamp 1
		.amdhsa_ieee_mode 1
		.amdhsa_fp16_overflow 0
		.amdhsa_exception_fp_ieee_invalid_op 0
		.amdhsa_exception_fp_denorm_src 0
		.amdhsa_exception_fp_ieee_div_zero 0
		.amdhsa_exception_fp_ieee_overflow 0
		.amdhsa_exception_fp_ieee_underflow 0
		.amdhsa_exception_fp_ieee_inexact 0
		.amdhsa_exception_int_div_zero 0
	.end_amdhsa_kernel
	.section	.text._Z33warp_inclusive_scan_reduce_kernelIiLj32ELj2EENSt9enable_ifIXsr10test_utilsE35device_test_enabled_for_warp_size_vIXT1_EEEvE4typeEPT_S4_S4_,"axG",@progbits,_Z33warp_inclusive_scan_reduce_kernelIiLj32ELj2EENSt9enable_ifIXsr10test_utilsE35device_test_enabled_for_warp_size_vIXT1_EEEvE4typeEPT_S4_S4_,comdat
.Lfunc_end110:
	.size	_Z33warp_inclusive_scan_reduce_kernelIiLj32ELj2EENSt9enable_ifIXsr10test_utilsE35device_test_enabled_for_warp_size_vIXT1_EEEvE4typeEPT_S4_S4_, .Lfunc_end110-_Z33warp_inclusive_scan_reduce_kernelIiLj32ELj2EENSt9enable_ifIXsr10test_utilsE35device_test_enabled_for_warp_size_vIXT1_EEEvE4typeEPT_S4_S4_
                                        ; -- End function
	.set _Z33warp_inclusive_scan_reduce_kernelIiLj32ELj2EENSt9enable_ifIXsr10test_utilsE35device_test_enabled_for_warp_size_vIXT1_EEEvE4typeEPT_S4_S4_.num_vgpr, 8
	.set _Z33warp_inclusive_scan_reduce_kernelIiLj32ELj2EENSt9enable_ifIXsr10test_utilsE35device_test_enabled_for_warp_size_vIXT1_EEEvE4typeEPT_S4_S4_.num_agpr, 0
	.set _Z33warp_inclusive_scan_reduce_kernelIiLj32ELj2EENSt9enable_ifIXsr10test_utilsE35device_test_enabled_for_warp_size_vIXT1_EEEvE4typeEPT_S4_S4_.numbered_sgpr, 10
	.set _Z33warp_inclusive_scan_reduce_kernelIiLj32ELj2EENSt9enable_ifIXsr10test_utilsE35device_test_enabled_for_warp_size_vIXT1_EEEvE4typeEPT_S4_S4_.num_named_barrier, 0
	.set _Z33warp_inclusive_scan_reduce_kernelIiLj32ELj2EENSt9enable_ifIXsr10test_utilsE35device_test_enabled_for_warp_size_vIXT1_EEEvE4typeEPT_S4_S4_.private_seg_size, 0
	.set _Z33warp_inclusive_scan_reduce_kernelIiLj32ELj2EENSt9enable_ifIXsr10test_utilsE35device_test_enabled_for_warp_size_vIXT1_EEEvE4typeEPT_S4_S4_.uses_vcc, 1
	.set _Z33warp_inclusive_scan_reduce_kernelIiLj32ELj2EENSt9enable_ifIXsr10test_utilsE35device_test_enabled_for_warp_size_vIXT1_EEEvE4typeEPT_S4_S4_.uses_flat_scratch, 0
	.set _Z33warp_inclusive_scan_reduce_kernelIiLj32ELj2EENSt9enable_ifIXsr10test_utilsE35device_test_enabled_for_warp_size_vIXT1_EEEvE4typeEPT_S4_S4_.has_dyn_sized_stack, 0
	.set _Z33warp_inclusive_scan_reduce_kernelIiLj32ELj2EENSt9enable_ifIXsr10test_utilsE35device_test_enabled_for_warp_size_vIXT1_EEEvE4typeEPT_S4_S4_.has_recursion, 0
	.set _Z33warp_inclusive_scan_reduce_kernelIiLj32ELj2EENSt9enable_ifIXsr10test_utilsE35device_test_enabled_for_warp_size_vIXT1_EEEvE4typeEPT_S4_S4_.has_indirect_call, 0
	.section	.AMDGPU.csdata,"",@progbits
; Kernel info:
; codeLenInByte = 272
; TotalNumSgprs: 14
; NumVgprs: 8
; ScratchSize: 0
; MemoryBound: 0
; FloatMode: 240
; IeeeMode: 1
; LDSByteSize: 0 bytes/workgroup (compile time only)
; SGPRBlocks: 1
; VGPRBlocks: 1
; NumSGPRsForWavesPerEU: 14
; NumVGPRsForWavesPerEU: 8
; Occupancy: 10
; WaveLimiterHint : 0
; COMPUTE_PGM_RSRC2:SCRATCH_EN: 0
; COMPUTE_PGM_RSRC2:USER_SGPR: 6
; COMPUTE_PGM_RSRC2:TRAP_HANDLER: 0
; COMPUTE_PGM_RSRC2:TGID_X_EN: 1
; COMPUTE_PGM_RSRC2:TGID_Y_EN: 0
; COMPUTE_PGM_RSRC2:TGID_Z_EN: 0
; COMPUTE_PGM_RSRC2:TIDIG_COMP_CNT: 0
	.section	.text._Z33warp_inclusive_scan_reduce_kernelIiLj64ELj2EENSt9enable_ifIXsr10test_utilsE35device_test_enabled_for_warp_size_vIXT1_EEEvE4typeEPT_S4_S4_,"axG",@progbits,_Z33warp_inclusive_scan_reduce_kernelIiLj64ELj2EENSt9enable_ifIXsr10test_utilsE35device_test_enabled_for_warp_size_vIXT1_EEEvE4typeEPT_S4_S4_,comdat
	.protected	_Z33warp_inclusive_scan_reduce_kernelIiLj64ELj2EENSt9enable_ifIXsr10test_utilsE35device_test_enabled_for_warp_size_vIXT1_EEEvE4typeEPT_S4_S4_ ; -- Begin function _Z33warp_inclusive_scan_reduce_kernelIiLj64ELj2EENSt9enable_ifIXsr10test_utilsE35device_test_enabled_for_warp_size_vIXT1_EEEvE4typeEPT_S4_S4_
	.globl	_Z33warp_inclusive_scan_reduce_kernelIiLj64ELj2EENSt9enable_ifIXsr10test_utilsE35device_test_enabled_for_warp_size_vIXT1_EEEvE4typeEPT_S4_S4_
	.p2align	8
	.type	_Z33warp_inclusive_scan_reduce_kernelIiLj64ELj2EENSt9enable_ifIXsr10test_utilsE35device_test_enabled_for_warp_size_vIXT1_EEEvE4typeEPT_S4_S4_,@function
_Z33warp_inclusive_scan_reduce_kernelIiLj64ELj2EENSt9enable_ifIXsr10test_utilsE35device_test_enabled_for_warp_size_vIXT1_EEEvE4typeEPT_S4_S4_: ; @_Z33warp_inclusive_scan_reduce_kernelIiLj64ELj2EENSt9enable_ifIXsr10test_utilsE35device_test_enabled_for_warp_size_vIXT1_EEEvE4typeEPT_S4_S4_
; %bb.0:
	s_load_dwordx4 s[0:3], s[4:5], 0x0
	s_load_dwordx2 s[8:9], s[4:5], 0x10
	v_lshl_or_b32 v1, s6, 6, v0
	v_mov_b32_e32 v2, 0
	v_lshlrev_b64 v[2:3], 2, v[1:2]
	s_waitcnt lgkmcnt(0)
	v_mov_b32_e32 v5, s1
	v_add_co_u32_e32 v4, vcc, s0, v2
	v_addc_co_u32_e32 v5, vcc, v5, v3, vcc
	global_load_dword v5, v[4:5], off
	v_mbcnt_lo_u32_b32 v4, -1, 0
	s_bitcmp1_b32 s6, 0
	v_mbcnt_hi_u32_b32 v4, -1, v4
	s_cselect_b64 s[4:5], -1, 0
	v_and_b32_e32 v6, 1, v4
	v_cmp_eq_u32_e64 s[0:1], 0, v6
	v_lshl_or_b32 v7, v4, 2, 4
	s_and_b64 vcc, exec, s[4:5]
	s_cbranch_vccz .LBB111_2
; %bb.1:
	s_waitcnt vmcnt(0)
	v_mov_b32_dpp v4, v5 row_shr:1 row_mask:0xf bank_mask:0xf
	v_cndmask_b32_e64 v4, v4, 0, s[0:1]
	v_add_u32_e32 v6, v4, v5
	ds_bpermute_b32 v4, v7, v6
	s_cbranch_execz .LBB111_3
	s_branch .LBB111_4
.LBB111_2:
                                        ; implicit-def: $vgpr6
                                        ; implicit-def: $vgpr4
.LBB111_3:
	s_waitcnt vmcnt(0) lgkmcnt(0)
	s_nop 0
	v_mov_b32_dpp v4, v5 row_shr:1 row_mask:0xf bank_mask:0xf
	v_cndmask_b32_e64 v4, v4, 0, s[0:1]
	v_add_u32_e32 v6, v4, v5
	ds_bpermute_b32 v4, v7, v6
.LBB111_4:
	s_waitcnt vmcnt(0)
	v_mov_b32_e32 v5, s3
	v_add_co_u32_e32 v2, vcc, s2, v2
	v_addc_co_u32_e32 v3, vcc, v5, v3, vcc
	v_and_b32_e32 v0, 1, v0
	v_cmp_eq_u32_e32 vcc, 0, v0
	global_store_dword v[2:3], v6, off
	s_and_saveexec_b64 s[0:1], vcc
	s_cbranch_execz .LBB111_6
; %bb.5:
	v_lshrrev_b32_e32 v0, 1, v1
	v_mov_b32_e32 v1, 0
	v_lshlrev_b64 v[0:1], 2, v[0:1]
	v_mov_b32_e32 v2, s9
	v_add_co_u32_e32 v0, vcc, s8, v0
	v_addc_co_u32_e32 v1, vcc, v2, v1, vcc
	s_waitcnt lgkmcnt(0)
	global_store_dword v[0:1], v4, off
.LBB111_6:
	s_endpgm
	.section	.rodata,"a",@progbits
	.p2align	6, 0x0
	.amdhsa_kernel _Z33warp_inclusive_scan_reduce_kernelIiLj64ELj2EENSt9enable_ifIXsr10test_utilsE35device_test_enabled_for_warp_size_vIXT1_EEEvE4typeEPT_S4_S4_
		.amdhsa_group_segment_fixed_size 0
		.amdhsa_private_segment_fixed_size 0
		.amdhsa_kernarg_size 24
		.amdhsa_user_sgpr_count 6
		.amdhsa_user_sgpr_private_segment_buffer 1
		.amdhsa_user_sgpr_dispatch_ptr 0
		.amdhsa_user_sgpr_queue_ptr 0
		.amdhsa_user_sgpr_kernarg_segment_ptr 1
		.amdhsa_user_sgpr_dispatch_id 0
		.amdhsa_user_sgpr_flat_scratch_init 0
		.amdhsa_user_sgpr_private_segment_size 0
		.amdhsa_uses_dynamic_stack 0
		.amdhsa_system_sgpr_private_segment_wavefront_offset 0
		.amdhsa_system_sgpr_workgroup_id_x 1
		.amdhsa_system_sgpr_workgroup_id_y 0
		.amdhsa_system_sgpr_workgroup_id_z 0
		.amdhsa_system_sgpr_workgroup_info 0
		.amdhsa_system_vgpr_workitem_id 0
		.amdhsa_next_free_vgpr 8
		.amdhsa_next_free_sgpr 10
		.amdhsa_reserve_vcc 1
		.amdhsa_reserve_flat_scratch 0
		.amdhsa_float_round_mode_32 0
		.amdhsa_float_round_mode_16_64 0
		.amdhsa_float_denorm_mode_32 3
		.amdhsa_float_denorm_mode_16_64 3
		.amdhsa_dx10_clamp 1
		.amdhsa_ieee_mode 1
		.amdhsa_fp16_overflow 0
		.amdhsa_exception_fp_ieee_invalid_op 0
		.amdhsa_exception_fp_denorm_src 0
		.amdhsa_exception_fp_ieee_div_zero 0
		.amdhsa_exception_fp_ieee_overflow 0
		.amdhsa_exception_fp_ieee_underflow 0
		.amdhsa_exception_fp_ieee_inexact 0
		.amdhsa_exception_int_div_zero 0
	.end_amdhsa_kernel
	.section	.text._Z33warp_inclusive_scan_reduce_kernelIiLj64ELj2EENSt9enable_ifIXsr10test_utilsE35device_test_enabled_for_warp_size_vIXT1_EEEvE4typeEPT_S4_S4_,"axG",@progbits,_Z33warp_inclusive_scan_reduce_kernelIiLj64ELj2EENSt9enable_ifIXsr10test_utilsE35device_test_enabled_for_warp_size_vIXT1_EEEvE4typeEPT_S4_S4_,comdat
.Lfunc_end111:
	.size	_Z33warp_inclusive_scan_reduce_kernelIiLj64ELj2EENSt9enable_ifIXsr10test_utilsE35device_test_enabled_for_warp_size_vIXT1_EEEvE4typeEPT_S4_S4_, .Lfunc_end111-_Z33warp_inclusive_scan_reduce_kernelIiLj64ELj2EENSt9enable_ifIXsr10test_utilsE35device_test_enabled_for_warp_size_vIXT1_EEEvE4typeEPT_S4_S4_
                                        ; -- End function
	.set _Z33warp_inclusive_scan_reduce_kernelIiLj64ELj2EENSt9enable_ifIXsr10test_utilsE35device_test_enabled_for_warp_size_vIXT1_EEEvE4typeEPT_S4_S4_.num_vgpr, 8
	.set _Z33warp_inclusive_scan_reduce_kernelIiLj64ELj2EENSt9enable_ifIXsr10test_utilsE35device_test_enabled_for_warp_size_vIXT1_EEEvE4typeEPT_S4_S4_.num_agpr, 0
	.set _Z33warp_inclusive_scan_reduce_kernelIiLj64ELj2EENSt9enable_ifIXsr10test_utilsE35device_test_enabled_for_warp_size_vIXT1_EEEvE4typeEPT_S4_S4_.numbered_sgpr, 10
	.set _Z33warp_inclusive_scan_reduce_kernelIiLj64ELj2EENSt9enable_ifIXsr10test_utilsE35device_test_enabled_for_warp_size_vIXT1_EEEvE4typeEPT_S4_S4_.num_named_barrier, 0
	.set _Z33warp_inclusive_scan_reduce_kernelIiLj64ELj2EENSt9enable_ifIXsr10test_utilsE35device_test_enabled_for_warp_size_vIXT1_EEEvE4typeEPT_S4_S4_.private_seg_size, 0
	.set _Z33warp_inclusive_scan_reduce_kernelIiLj64ELj2EENSt9enable_ifIXsr10test_utilsE35device_test_enabled_for_warp_size_vIXT1_EEEvE4typeEPT_S4_S4_.uses_vcc, 1
	.set _Z33warp_inclusive_scan_reduce_kernelIiLj64ELj2EENSt9enable_ifIXsr10test_utilsE35device_test_enabled_for_warp_size_vIXT1_EEEvE4typeEPT_S4_S4_.uses_flat_scratch, 0
	.set _Z33warp_inclusive_scan_reduce_kernelIiLj64ELj2EENSt9enable_ifIXsr10test_utilsE35device_test_enabled_for_warp_size_vIXT1_EEEvE4typeEPT_S4_S4_.has_dyn_sized_stack, 0
	.set _Z33warp_inclusive_scan_reduce_kernelIiLj64ELj2EENSt9enable_ifIXsr10test_utilsE35device_test_enabled_for_warp_size_vIXT1_EEEvE4typeEPT_S4_S4_.has_recursion, 0
	.set _Z33warp_inclusive_scan_reduce_kernelIiLj64ELj2EENSt9enable_ifIXsr10test_utilsE35device_test_enabled_for_warp_size_vIXT1_EEEvE4typeEPT_S4_S4_.has_indirect_call, 0
	.section	.AMDGPU.csdata,"",@progbits
; Kernel info:
; codeLenInByte = 272
; TotalNumSgprs: 14
; NumVgprs: 8
; ScratchSize: 0
; MemoryBound: 0
; FloatMode: 240
; IeeeMode: 1
; LDSByteSize: 0 bytes/workgroup (compile time only)
; SGPRBlocks: 1
; VGPRBlocks: 1
; NumSGPRsForWavesPerEU: 14
; NumVGPRsForWavesPerEU: 8
; Occupancy: 10
; WaveLimiterHint : 0
; COMPUTE_PGM_RSRC2:SCRATCH_EN: 0
; COMPUTE_PGM_RSRC2:USER_SGPR: 6
; COMPUTE_PGM_RSRC2:TRAP_HANDLER: 0
; COMPUTE_PGM_RSRC2:TGID_X_EN: 1
; COMPUTE_PGM_RSRC2:TGID_Y_EN: 0
; COMPUTE_PGM_RSRC2:TGID_Z_EN: 0
; COMPUTE_PGM_RSRC2:TIDIG_COMP_CNT: 0
	.section	.text._Z26warp_exclusive_scan_kernelIfLj1ELj61EENSt9enable_ifIXsr10test_utilsE35device_test_enabled_for_warp_size_vIXT1_EEEvE4typeEPT_S4_S3_,"axG",@progbits,_Z26warp_exclusive_scan_kernelIfLj1ELj61EENSt9enable_ifIXsr10test_utilsE35device_test_enabled_for_warp_size_vIXT1_EEEvE4typeEPT_S4_S3_,comdat
	.protected	_Z26warp_exclusive_scan_kernelIfLj1ELj61EENSt9enable_ifIXsr10test_utilsE35device_test_enabled_for_warp_size_vIXT1_EEEvE4typeEPT_S4_S3_ ; -- Begin function _Z26warp_exclusive_scan_kernelIfLj1ELj61EENSt9enable_ifIXsr10test_utilsE35device_test_enabled_for_warp_size_vIXT1_EEEvE4typeEPT_S4_S3_
	.globl	_Z26warp_exclusive_scan_kernelIfLj1ELj61EENSt9enable_ifIXsr10test_utilsE35device_test_enabled_for_warp_size_vIXT1_EEEvE4typeEPT_S4_S3_
	.p2align	8
	.type	_Z26warp_exclusive_scan_kernelIfLj1ELj61EENSt9enable_ifIXsr10test_utilsE35device_test_enabled_for_warp_size_vIXT1_EEEvE4typeEPT_S4_S3_,@function
_Z26warp_exclusive_scan_kernelIfLj1ELj61EENSt9enable_ifIXsr10test_utilsE35device_test_enabled_for_warp_size_vIXT1_EEEvE4typeEPT_S4_S3_: ; @_Z26warp_exclusive_scan_kernelIfLj1ELj61EENSt9enable_ifIXsr10test_utilsE35device_test_enabled_for_warp_size_vIXT1_EEEvE4typeEPT_S4_S3_
; %bb.0:
	s_load_dword s8, s[4:5], 0x24
	s_load_dwordx4 s[0:3], s[4:5], 0x0
	s_mov_b32 s7, 0
	v_mbcnt_lo_u32_b32 v0, -1, 0
	v_mbcnt_hi_u32_b32 v0, -1, v0
	s_waitcnt lgkmcnt(0)
	s_and_b32 s8, s8, 0xffff
	s_mul_i32 s6, s6, s8
	s_lshl_b64 s[6:7], s[6:7], 2
	s_mov_b32 s8, 0x4325c54
	v_mul_hi_u32 v1, v0, s8
	s_add_u32 s0, s0, s6
	s_addc_u32 s1, s1, s7
	s_load_dword s8, s[0:1], 0x0
	v_mul_u32_u24_e32 v1, 61, v1
	v_sub_u32_e32 v0, v0, v1
	v_lshlrev_b32_e32 v1, 2, v0
	v_cmp_eq_u32_e64 s[0:1], 0, v0
	v_readfirstlane_b32 s10, v0
	s_waitcnt lgkmcnt(0)
	v_mov_b32_e32 v2, s8
	v_cmp_ne_u32_e32 vcc, 0, v0
	s_and_b64 s[0:1], s[0:1], exec
	v_add_u32_e32 v0, -4, v1
	ds_write_b32 v1, v2
	; wave barrier
	s_cbranch_scc1 .LBB112_2
; %bb.1:
	ds_read_b32 v2, v0
	s_waitcnt lgkmcnt(0)
	v_add_f32_e32 v2, s8, v2
	s_branch .LBB112_3
.LBB112_2:
	v_mov_b32_e32 v2, s8
.LBB112_3:
	v_cndmask_b32_e64 v3, 0, 1, vcc
	v_cmp_ne_u32_e64 s[0:1], 1, v3
	s_andn2_b64 vcc, exec, vcc
	; wave barrier
	s_cbranch_vccnz .LBB112_5
; %bb.4:
	ds_write_b32 v1, v2
.LBB112_5:
	s_cmp_gt_u32 s10, 1
	s_cselect_b64 s[8:9], -1, 0
	s_cmp_lt_u32 s10, 2
	; wave barrier
	s_cbranch_scc1 .LBB112_7
; %bb.6:
	v_add_u32_e32 v3, -8, v1
	ds_read_b32 v3, v3
	s_waitcnt lgkmcnt(0)
	v_add_f32_e32 v2, v2, v3
.LBB112_7:
	s_andn2_b64 vcc, exec, s[8:9]
	; wave barrier
	s_cbranch_vccnz .LBB112_9
; %bb.8:
	ds_write_b32 v1, v2
.LBB112_9:
	s_cmp_gt_u32 s10, 3
	s_cselect_b64 s[8:9], -1, 0
	s_cmp_lt_u32 s10, 4
	; wave barrier
	s_cbranch_scc1 .LBB112_11
; %bb.10:
	v_add_u32_e32 v3, -16, v1
	ds_read_b32 v3, v3
	s_waitcnt lgkmcnt(0)
	v_add_f32_e32 v2, v2, v3
.LBB112_11:
	s_andn2_b64 vcc, exec, s[8:9]
	; wave barrier
	s_cbranch_vccnz .LBB112_13
; %bb.12:
	ds_write_b32 v1, v2
.LBB112_13:
	s_cmp_gt_u32 s10, 7
	s_cselect_b64 s[8:9], -1, 0
	s_cmp_lt_u32 s10, 8
	; wave barrier
	s_cbranch_scc1 .LBB112_15
; %bb.14:
	v_subrev_u32_e32 v3, 32, v1
	ds_read_b32 v3, v3
	s_waitcnt lgkmcnt(0)
	v_add_f32_e32 v2, v2, v3
.LBB112_15:
	s_andn2_b64 vcc, exec, s[8:9]
	; wave barrier
	s_cbranch_vccnz .LBB112_17
; %bb.16:
	ds_write_b32 v1, v2
.LBB112_17:
	s_cmp_gt_u32 s10, 15
	s_cselect_b64 s[8:9], -1, 0
	s_cmp_lt_u32 s10, 16
	; wave barrier
	s_cbranch_scc1 .LBB112_19
; %bb.18:
	v_subrev_u32_e32 v3, 64, v1
	ds_read_b32 v3, v3
	s_waitcnt lgkmcnt(0)
	v_add_f32_e32 v2, v2, v3
.LBB112_19:
	s_andn2_b64 vcc, exec, s[8:9]
	; wave barrier
	s_cbranch_vccnz .LBB112_21
; %bb.20:
	ds_write_b32 v1, v2
.LBB112_21:
	s_cmp_gt_u32 s10, 31
	s_cselect_b64 s[8:9], -1, 0
	s_cmp_lt_u32 s10, 32
	; wave barrier
	s_cbranch_scc1 .LBB112_23
; %bb.22:
	v_add_u32_e32 v3, 0xffffff80, v1
	ds_read_b32 v3, v3
	s_waitcnt lgkmcnt(0)
	v_add_f32_e32 v2, v2, v3
.LBB112_23:
	s_andn2_b64 vcc, exec, s[8:9]
	; wave barrier
	s_cbranch_vccnz .LBB112_25
; %bb.24:
	ds_write_b32 v1, v2
.LBB112_25:
	s_load_dword s4, s[4:5], 0x10
	s_and_b64 vcc, exec, s[0:1]
	; wave barrier
	s_cbranch_vccnz .LBB112_27
; %bb.26:
	ds_read_b32 v0, v0
	s_waitcnt lgkmcnt(0)
	v_add_f32_e32 v0, s4, v0
	s_branch .LBB112_28
.LBB112_27:
	s_waitcnt lgkmcnt(0)
	v_mov_b32_e32 v0, s4
.LBB112_28:
	s_add_u32 s0, s2, s6
	s_addc_u32 s1, s3, s7
	v_mov_b32_e32 v1, 0
	global_store_dword v1, v0, s[0:1]
	s_endpgm
	.section	.rodata,"a",@progbits
	.p2align	6, 0x0
	.amdhsa_kernel _Z26warp_exclusive_scan_kernelIfLj1ELj61EENSt9enable_ifIXsr10test_utilsE35device_test_enabled_for_warp_size_vIXT1_EEEvE4typeEPT_S4_S3_
		.amdhsa_group_segment_fixed_size 244
		.amdhsa_private_segment_fixed_size 0
		.amdhsa_kernarg_size 280
		.amdhsa_user_sgpr_count 6
		.amdhsa_user_sgpr_private_segment_buffer 1
		.amdhsa_user_sgpr_dispatch_ptr 0
		.amdhsa_user_sgpr_queue_ptr 0
		.amdhsa_user_sgpr_kernarg_segment_ptr 1
		.amdhsa_user_sgpr_dispatch_id 0
		.amdhsa_user_sgpr_flat_scratch_init 0
		.amdhsa_user_sgpr_private_segment_size 0
		.amdhsa_uses_dynamic_stack 0
		.amdhsa_system_sgpr_private_segment_wavefront_offset 0
		.amdhsa_system_sgpr_workgroup_id_x 1
		.amdhsa_system_sgpr_workgroup_id_y 0
		.amdhsa_system_sgpr_workgroup_id_z 0
		.amdhsa_system_sgpr_workgroup_info 0
		.amdhsa_system_vgpr_workitem_id 0
		.amdhsa_next_free_vgpr 4
		.amdhsa_next_free_sgpr 11
		.amdhsa_reserve_vcc 1
		.amdhsa_reserve_flat_scratch 0
		.amdhsa_float_round_mode_32 0
		.amdhsa_float_round_mode_16_64 0
		.amdhsa_float_denorm_mode_32 3
		.amdhsa_float_denorm_mode_16_64 3
		.amdhsa_dx10_clamp 1
		.amdhsa_ieee_mode 1
		.amdhsa_fp16_overflow 0
		.amdhsa_exception_fp_ieee_invalid_op 0
		.amdhsa_exception_fp_denorm_src 0
		.amdhsa_exception_fp_ieee_div_zero 0
		.amdhsa_exception_fp_ieee_overflow 0
		.amdhsa_exception_fp_ieee_underflow 0
		.amdhsa_exception_fp_ieee_inexact 0
		.amdhsa_exception_int_div_zero 0
	.end_amdhsa_kernel
	.section	.text._Z26warp_exclusive_scan_kernelIfLj1ELj61EENSt9enable_ifIXsr10test_utilsE35device_test_enabled_for_warp_size_vIXT1_EEEvE4typeEPT_S4_S3_,"axG",@progbits,_Z26warp_exclusive_scan_kernelIfLj1ELj61EENSt9enable_ifIXsr10test_utilsE35device_test_enabled_for_warp_size_vIXT1_EEEvE4typeEPT_S4_S3_,comdat
.Lfunc_end112:
	.size	_Z26warp_exclusive_scan_kernelIfLj1ELj61EENSt9enable_ifIXsr10test_utilsE35device_test_enabled_for_warp_size_vIXT1_EEEvE4typeEPT_S4_S3_, .Lfunc_end112-_Z26warp_exclusive_scan_kernelIfLj1ELj61EENSt9enable_ifIXsr10test_utilsE35device_test_enabled_for_warp_size_vIXT1_EEEvE4typeEPT_S4_S3_
                                        ; -- End function
	.set _Z26warp_exclusive_scan_kernelIfLj1ELj61EENSt9enable_ifIXsr10test_utilsE35device_test_enabled_for_warp_size_vIXT1_EEEvE4typeEPT_S4_S3_.num_vgpr, 4
	.set _Z26warp_exclusive_scan_kernelIfLj1ELj61EENSt9enable_ifIXsr10test_utilsE35device_test_enabled_for_warp_size_vIXT1_EEEvE4typeEPT_S4_S3_.num_agpr, 0
	.set _Z26warp_exclusive_scan_kernelIfLj1ELj61EENSt9enable_ifIXsr10test_utilsE35device_test_enabled_for_warp_size_vIXT1_EEEvE4typeEPT_S4_S3_.numbered_sgpr, 11
	.set _Z26warp_exclusive_scan_kernelIfLj1ELj61EENSt9enable_ifIXsr10test_utilsE35device_test_enabled_for_warp_size_vIXT1_EEEvE4typeEPT_S4_S3_.num_named_barrier, 0
	.set _Z26warp_exclusive_scan_kernelIfLj1ELj61EENSt9enable_ifIXsr10test_utilsE35device_test_enabled_for_warp_size_vIXT1_EEEvE4typeEPT_S4_S3_.private_seg_size, 0
	.set _Z26warp_exclusive_scan_kernelIfLj1ELj61EENSt9enable_ifIXsr10test_utilsE35device_test_enabled_for_warp_size_vIXT1_EEEvE4typeEPT_S4_S3_.uses_vcc, 1
	.set _Z26warp_exclusive_scan_kernelIfLj1ELj61EENSt9enable_ifIXsr10test_utilsE35device_test_enabled_for_warp_size_vIXT1_EEEvE4typeEPT_S4_S3_.uses_flat_scratch, 0
	.set _Z26warp_exclusive_scan_kernelIfLj1ELj61EENSt9enable_ifIXsr10test_utilsE35device_test_enabled_for_warp_size_vIXT1_EEEvE4typeEPT_S4_S3_.has_dyn_sized_stack, 0
	.set _Z26warp_exclusive_scan_kernelIfLj1ELj61EENSt9enable_ifIXsr10test_utilsE35device_test_enabled_for_warp_size_vIXT1_EEEvE4typeEPT_S4_S3_.has_recursion, 0
	.set _Z26warp_exclusive_scan_kernelIfLj1ELj61EENSt9enable_ifIXsr10test_utilsE35device_test_enabled_for_warp_size_vIXT1_EEEvE4typeEPT_S4_S3_.has_indirect_call, 0
	.section	.AMDGPU.csdata,"",@progbits
; Kernel info:
; codeLenInByte = 532
; TotalNumSgprs: 15
; NumVgprs: 4
; ScratchSize: 0
; MemoryBound: 0
; FloatMode: 240
; IeeeMode: 1
; LDSByteSize: 244 bytes/workgroup (compile time only)
; SGPRBlocks: 1
; VGPRBlocks: 0
; NumSGPRsForWavesPerEU: 15
; NumVGPRsForWavesPerEU: 4
; Occupancy: 10
; WaveLimiterHint : 0
; COMPUTE_PGM_RSRC2:SCRATCH_EN: 0
; COMPUTE_PGM_RSRC2:USER_SGPR: 6
; COMPUTE_PGM_RSRC2:TRAP_HANDLER: 0
; COMPUTE_PGM_RSRC2:TGID_X_EN: 1
; COMPUTE_PGM_RSRC2:TGID_Y_EN: 0
; COMPUTE_PGM_RSRC2:TGID_Z_EN: 0
; COMPUTE_PGM_RSRC2:TIDIG_COMP_CNT: 0
	.section	.text._Z26warp_exclusive_scan_kernelIfLj61ELj61EENSt9enable_ifIXsr10test_utilsE35device_test_enabled_for_warp_size_vIXT1_EEEvE4typeEPT_S4_S3_,"axG",@progbits,_Z26warp_exclusive_scan_kernelIfLj61ELj61EENSt9enable_ifIXsr10test_utilsE35device_test_enabled_for_warp_size_vIXT1_EEEvE4typeEPT_S4_S3_,comdat
	.protected	_Z26warp_exclusive_scan_kernelIfLj61ELj61EENSt9enable_ifIXsr10test_utilsE35device_test_enabled_for_warp_size_vIXT1_EEEvE4typeEPT_S4_S3_ ; -- Begin function _Z26warp_exclusive_scan_kernelIfLj61ELj61EENSt9enable_ifIXsr10test_utilsE35device_test_enabled_for_warp_size_vIXT1_EEEvE4typeEPT_S4_S3_
	.globl	_Z26warp_exclusive_scan_kernelIfLj61ELj61EENSt9enable_ifIXsr10test_utilsE35device_test_enabled_for_warp_size_vIXT1_EEEvE4typeEPT_S4_S3_
	.p2align	8
	.type	_Z26warp_exclusive_scan_kernelIfLj61ELj61EENSt9enable_ifIXsr10test_utilsE35device_test_enabled_for_warp_size_vIXT1_EEEvE4typeEPT_S4_S3_,@function
_Z26warp_exclusive_scan_kernelIfLj61ELj61EENSt9enable_ifIXsr10test_utilsE35device_test_enabled_for_warp_size_vIXT1_EEEvE4typeEPT_S4_S3_: ; @_Z26warp_exclusive_scan_kernelIfLj61ELj61EENSt9enable_ifIXsr10test_utilsE35device_test_enabled_for_warp_size_vIXT1_EEEvE4typeEPT_S4_S3_
; %bb.0:
	s_load_dword s7, s[4:5], 0x24
	s_load_dwordx4 s[0:3], s[4:5], 0x0
	v_mov_b32_e32 v2, 0
	s_waitcnt lgkmcnt(0)
	s_and_b32 s7, s7, 0xffff
	s_mul_i32 s6, s6, s7
	v_add_u32_e32 v1, s6, v0
	v_lshlrev_b64 v[1:2], 2, v[1:2]
	v_mov_b32_e32 v4, s1
	v_add_co_u32_e32 v3, vcc, s0, v1
	v_addc_co_u32_e32 v4, vcc, v4, v2, vcc
	global_load_dword v3, v[3:4], off
	v_mbcnt_lo_u32_b32 v4, -1, 0
	s_mov_b32 s0, 0x4325c54
	v_mbcnt_hi_u32_b32 v4, -1, v4
	v_mul_hi_u32 v5, v4, s0
	v_mul_u32_u24_e32 v0, 0x433, v0
	s_movk_i32 s0, 0xf4
	v_lshrrev_b32_e32 v0, 16, v0
	v_mul_u32_u24_e32 v5, 61, v5
	v_sub_u32_e32 v5, v4, v5
	v_lshlrev_b32_e32 v4, 2, v5
	v_mad_u32_u24 v4, v0, s0, v4
	v_cmp_ne_u32_e32 vcc, 0, v5
	v_add_u32_e32 v0, -4, v4
	s_waitcnt vmcnt(0)
	ds_write_b32 v4, v3
	; wave barrier
	s_and_saveexec_b64 s[0:1], vcc
	s_cbranch_execz .LBB113_2
; %bb.1:
	ds_read_b32 v6, v0
	s_waitcnt lgkmcnt(0)
	v_add_f32_e32 v3, v3, v6
.LBB113_2:
	s_or_b64 exec, exec, s[0:1]
	; wave barrier
	s_and_saveexec_b64 s[0:1], vcc
; %bb.3:
	ds_write_b32 v4, v3
; %bb.4:
	s_or_b64 exec, exec, s[0:1]
	v_cmp_lt_u32_e64 s[0:1], 1, v5
	; wave barrier
	s_and_saveexec_b64 s[6:7], s[0:1]
	s_cbranch_execz .LBB113_6
; %bb.5:
	v_add_u32_e32 v6, -8, v4
	ds_read_b32 v6, v6
	s_waitcnt lgkmcnt(0)
	v_add_f32_e32 v3, v3, v6
.LBB113_6:
	s_or_b64 exec, exec, s[6:7]
	; wave barrier
	s_and_saveexec_b64 s[6:7], s[0:1]
; %bb.7:
	ds_write_b32 v4, v3
; %bb.8:
	s_or_b64 exec, exec, s[6:7]
	v_cmp_lt_u32_e64 s[0:1], 3, v5
	; wave barrier
	s_and_saveexec_b64 s[6:7], s[0:1]
	s_cbranch_execz .LBB113_10
; %bb.9:
	v_add_u32_e32 v6, -16, v4
	ds_read_b32 v6, v6
	s_waitcnt lgkmcnt(0)
	v_add_f32_e32 v3, v3, v6
.LBB113_10:
	s_or_b64 exec, exec, s[6:7]
	; wave barrier
	s_and_saveexec_b64 s[6:7], s[0:1]
; %bb.11:
	ds_write_b32 v4, v3
; %bb.12:
	s_or_b64 exec, exec, s[6:7]
	v_cmp_lt_u32_e64 s[0:1], 7, v5
	; wave barrier
	s_and_saveexec_b64 s[6:7], s[0:1]
	s_cbranch_execz .LBB113_14
; %bb.13:
	v_subrev_u32_e32 v6, 32, v4
	ds_read_b32 v6, v6
	s_waitcnt lgkmcnt(0)
	v_add_f32_e32 v3, v3, v6
.LBB113_14:
	s_or_b64 exec, exec, s[6:7]
	; wave barrier
	s_and_saveexec_b64 s[6:7], s[0:1]
; %bb.15:
	ds_write_b32 v4, v3
; %bb.16:
	s_or_b64 exec, exec, s[6:7]
	v_cmp_lt_u32_e64 s[0:1], 15, v5
	; wave barrier
	s_and_saveexec_b64 s[6:7], s[0:1]
	s_cbranch_execz .LBB113_18
; %bb.17:
	v_subrev_u32_e32 v6, 64, v4
	ds_read_b32 v6, v6
	s_waitcnt lgkmcnt(0)
	v_add_f32_e32 v3, v3, v6
.LBB113_18:
	s_or_b64 exec, exec, s[6:7]
	; wave barrier
	s_and_saveexec_b64 s[6:7], s[0:1]
; %bb.19:
	ds_write_b32 v4, v3
; %bb.20:
	s_or_b64 exec, exec, s[6:7]
	v_cmp_lt_u32_e64 s[0:1], 31, v5
	; wave barrier
	s_and_saveexec_b64 s[6:7], s[0:1]
	s_cbranch_execz .LBB113_22
; %bb.21:
	v_add_u32_e32 v5, 0xffffff80, v4
	ds_read_b32 v5, v5
	s_waitcnt lgkmcnt(0)
	v_add_f32_e32 v3, v3, v5
.LBB113_22:
	s_or_b64 exec, exec, s[6:7]
	; wave barrier
	s_and_saveexec_b64 s[6:7], s[0:1]
; %bb.23:
	ds_write_b32 v4, v3
; %bb.24:
	s_or_b64 exec, exec, s[6:7]
	s_load_dword s4, s[4:5], 0x10
	; wave barrier
	s_waitcnt lgkmcnt(0)
	v_mov_b32_e32 v3, s4
	s_and_saveexec_b64 s[0:1], vcc
	s_cbranch_execz .LBB113_26
; %bb.25:
	ds_read_b32 v0, v0
	s_waitcnt lgkmcnt(0)
	v_add_f32_e32 v3, s4, v0
.LBB113_26:
	s_or_b64 exec, exec, s[0:1]
	v_mov_b32_e32 v4, s3
	v_add_co_u32_e32 v0, vcc, s2, v1
	v_addc_co_u32_e32 v1, vcc, v4, v2, vcc
	global_store_dword v[0:1], v3, off
	s_endpgm
	.section	.rodata,"a",@progbits
	.p2align	6, 0x0
	.amdhsa_kernel _Z26warp_exclusive_scan_kernelIfLj61ELj61EENSt9enable_ifIXsr10test_utilsE35device_test_enabled_for_warp_size_vIXT1_EEEvE4typeEPT_S4_S3_
		.amdhsa_group_segment_fixed_size 244
		.amdhsa_private_segment_fixed_size 0
		.amdhsa_kernarg_size 280
		.amdhsa_user_sgpr_count 6
		.amdhsa_user_sgpr_private_segment_buffer 1
		.amdhsa_user_sgpr_dispatch_ptr 0
		.amdhsa_user_sgpr_queue_ptr 0
		.amdhsa_user_sgpr_kernarg_segment_ptr 1
		.amdhsa_user_sgpr_dispatch_id 0
		.amdhsa_user_sgpr_flat_scratch_init 0
		.amdhsa_user_sgpr_private_segment_size 0
		.amdhsa_uses_dynamic_stack 0
		.amdhsa_system_sgpr_private_segment_wavefront_offset 0
		.amdhsa_system_sgpr_workgroup_id_x 1
		.amdhsa_system_sgpr_workgroup_id_y 0
		.amdhsa_system_sgpr_workgroup_id_z 0
		.amdhsa_system_sgpr_workgroup_info 0
		.amdhsa_system_vgpr_workitem_id 0
		.amdhsa_next_free_vgpr 7
		.amdhsa_next_free_sgpr 8
		.amdhsa_reserve_vcc 1
		.amdhsa_reserve_flat_scratch 0
		.amdhsa_float_round_mode_32 0
		.amdhsa_float_round_mode_16_64 0
		.amdhsa_float_denorm_mode_32 3
		.amdhsa_float_denorm_mode_16_64 3
		.amdhsa_dx10_clamp 1
		.amdhsa_ieee_mode 1
		.amdhsa_fp16_overflow 0
		.amdhsa_exception_fp_ieee_invalid_op 0
		.amdhsa_exception_fp_denorm_src 0
		.amdhsa_exception_fp_ieee_div_zero 0
		.amdhsa_exception_fp_ieee_overflow 0
		.amdhsa_exception_fp_ieee_underflow 0
		.amdhsa_exception_fp_ieee_inexact 0
		.amdhsa_exception_int_div_zero 0
	.end_amdhsa_kernel
	.section	.text._Z26warp_exclusive_scan_kernelIfLj61ELj61EENSt9enable_ifIXsr10test_utilsE35device_test_enabled_for_warp_size_vIXT1_EEEvE4typeEPT_S4_S3_,"axG",@progbits,_Z26warp_exclusive_scan_kernelIfLj61ELj61EENSt9enable_ifIXsr10test_utilsE35device_test_enabled_for_warp_size_vIXT1_EEEvE4typeEPT_S4_S3_,comdat
.Lfunc_end113:
	.size	_Z26warp_exclusive_scan_kernelIfLj61ELj61EENSt9enable_ifIXsr10test_utilsE35device_test_enabled_for_warp_size_vIXT1_EEEvE4typeEPT_S4_S3_, .Lfunc_end113-_Z26warp_exclusive_scan_kernelIfLj61ELj61EENSt9enable_ifIXsr10test_utilsE35device_test_enabled_for_warp_size_vIXT1_EEEvE4typeEPT_S4_S3_
                                        ; -- End function
	.set _Z26warp_exclusive_scan_kernelIfLj61ELj61EENSt9enable_ifIXsr10test_utilsE35device_test_enabled_for_warp_size_vIXT1_EEEvE4typeEPT_S4_S3_.num_vgpr, 7
	.set _Z26warp_exclusive_scan_kernelIfLj61ELj61EENSt9enable_ifIXsr10test_utilsE35device_test_enabled_for_warp_size_vIXT1_EEEvE4typeEPT_S4_S3_.num_agpr, 0
	.set _Z26warp_exclusive_scan_kernelIfLj61ELj61EENSt9enable_ifIXsr10test_utilsE35device_test_enabled_for_warp_size_vIXT1_EEEvE4typeEPT_S4_S3_.numbered_sgpr, 8
	.set _Z26warp_exclusive_scan_kernelIfLj61ELj61EENSt9enable_ifIXsr10test_utilsE35device_test_enabled_for_warp_size_vIXT1_EEEvE4typeEPT_S4_S3_.num_named_barrier, 0
	.set _Z26warp_exclusive_scan_kernelIfLj61ELj61EENSt9enable_ifIXsr10test_utilsE35device_test_enabled_for_warp_size_vIXT1_EEEvE4typeEPT_S4_S3_.private_seg_size, 0
	.set _Z26warp_exclusive_scan_kernelIfLj61ELj61EENSt9enable_ifIXsr10test_utilsE35device_test_enabled_for_warp_size_vIXT1_EEEvE4typeEPT_S4_S3_.uses_vcc, 1
	.set _Z26warp_exclusive_scan_kernelIfLj61ELj61EENSt9enable_ifIXsr10test_utilsE35device_test_enabled_for_warp_size_vIXT1_EEEvE4typeEPT_S4_S3_.uses_flat_scratch, 0
	.set _Z26warp_exclusive_scan_kernelIfLj61ELj61EENSt9enable_ifIXsr10test_utilsE35device_test_enabled_for_warp_size_vIXT1_EEEvE4typeEPT_S4_S3_.has_dyn_sized_stack, 0
	.set _Z26warp_exclusive_scan_kernelIfLj61ELj61EENSt9enable_ifIXsr10test_utilsE35device_test_enabled_for_warp_size_vIXT1_EEEvE4typeEPT_S4_S3_.has_recursion, 0
	.set _Z26warp_exclusive_scan_kernelIfLj61ELj61EENSt9enable_ifIXsr10test_utilsE35device_test_enabled_for_warp_size_vIXT1_EEEvE4typeEPT_S4_S3_.has_indirect_call, 0
	.section	.AMDGPU.csdata,"",@progbits
; Kernel info:
; codeLenInByte = 552
; TotalNumSgprs: 12
; NumVgprs: 7
; ScratchSize: 0
; MemoryBound: 0
; FloatMode: 240
; IeeeMode: 1
; LDSByteSize: 244 bytes/workgroup (compile time only)
; SGPRBlocks: 1
; VGPRBlocks: 1
; NumSGPRsForWavesPerEU: 12
; NumVGPRsForWavesPerEU: 7
; Occupancy: 10
; WaveLimiterHint : 0
; COMPUTE_PGM_RSRC2:SCRATCH_EN: 0
; COMPUTE_PGM_RSRC2:USER_SGPR: 6
; COMPUTE_PGM_RSRC2:TRAP_HANDLER: 0
; COMPUTE_PGM_RSRC2:TGID_X_EN: 1
; COMPUTE_PGM_RSRC2:TGID_Y_EN: 0
; COMPUTE_PGM_RSRC2:TGID_Z_EN: 0
; COMPUTE_PGM_RSRC2:TIDIG_COMP_CNT: 0
	.section	.text._Z26warp_exclusive_scan_kernelIfLj1ELj37EENSt9enable_ifIXsr10test_utilsE35device_test_enabled_for_warp_size_vIXT1_EEEvE4typeEPT_S4_S3_,"axG",@progbits,_Z26warp_exclusive_scan_kernelIfLj1ELj37EENSt9enable_ifIXsr10test_utilsE35device_test_enabled_for_warp_size_vIXT1_EEEvE4typeEPT_S4_S3_,comdat
	.protected	_Z26warp_exclusive_scan_kernelIfLj1ELj37EENSt9enable_ifIXsr10test_utilsE35device_test_enabled_for_warp_size_vIXT1_EEEvE4typeEPT_S4_S3_ ; -- Begin function _Z26warp_exclusive_scan_kernelIfLj1ELj37EENSt9enable_ifIXsr10test_utilsE35device_test_enabled_for_warp_size_vIXT1_EEEvE4typeEPT_S4_S3_
	.globl	_Z26warp_exclusive_scan_kernelIfLj1ELj37EENSt9enable_ifIXsr10test_utilsE35device_test_enabled_for_warp_size_vIXT1_EEEvE4typeEPT_S4_S3_
	.p2align	8
	.type	_Z26warp_exclusive_scan_kernelIfLj1ELj37EENSt9enable_ifIXsr10test_utilsE35device_test_enabled_for_warp_size_vIXT1_EEEvE4typeEPT_S4_S3_,@function
_Z26warp_exclusive_scan_kernelIfLj1ELj37EENSt9enable_ifIXsr10test_utilsE35device_test_enabled_for_warp_size_vIXT1_EEEvE4typeEPT_S4_S3_: ; @_Z26warp_exclusive_scan_kernelIfLj1ELj37EENSt9enable_ifIXsr10test_utilsE35device_test_enabled_for_warp_size_vIXT1_EEEvE4typeEPT_S4_S3_
; %bb.0:
	s_load_dword s8, s[4:5], 0x24
	s_load_dwordx4 s[0:3], s[4:5], 0x0
	s_mov_b32 s7, 0
	v_mbcnt_lo_u32_b32 v0, -1, 0
	v_mbcnt_hi_u32_b32 v0, -1, v0
	s_waitcnt lgkmcnt(0)
	s_and_b32 s8, s8, 0xffff
	s_mul_i32 s6, s6, s8
	s_lshl_b64 s[6:7], s[6:7], 2
	s_mov_b32 s8, 0x6eb3e46
	v_mul_hi_u32 v1, v0, s8
	s_add_u32 s0, s0, s6
	s_addc_u32 s1, s1, s7
	s_load_dword s8, s[0:1], 0x0
	v_mul_u32_u24_e32 v1, 37, v1
	v_sub_u32_e32 v0, v0, v1
	v_lshlrev_b32_e32 v1, 2, v0
	v_cmp_eq_u32_e64 s[0:1], 0, v0
	v_readfirstlane_b32 s10, v0
	s_waitcnt lgkmcnt(0)
	v_mov_b32_e32 v2, s8
	v_cmp_ne_u32_e32 vcc, 0, v0
	s_and_b64 s[0:1], s[0:1], exec
	v_add_u32_e32 v0, -4, v1
	ds_write_b32 v1, v2
	; wave barrier
	s_cbranch_scc1 .LBB114_2
; %bb.1:
	ds_read_b32 v2, v0
	s_waitcnt lgkmcnt(0)
	v_add_f32_e32 v2, s8, v2
	s_branch .LBB114_3
.LBB114_2:
	v_mov_b32_e32 v2, s8
.LBB114_3:
	v_cndmask_b32_e64 v3, 0, 1, vcc
	v_cmp_ne_u32_e64 s[0:1], 1, v3
	s_andn2_b64 vcc, exec, vcc
	; wave barrier
	s_cbranch_vccnz .LBB114_5
; %bb.4:
	ds_write_b32 v1, v2
.LBB114_5:
	s_cmp_gt_u32 s10, 1
	s_cselect_b64 s[8:9], -1, 0
	s_cmp_lt_u32 s10, 2
	; wave barrier
	s_cbranch_scc1 .LBB114_7
; %bb.6:
	v_add_u32_e32 v3, -8, v1
	ds_read_b32 v3, v3
	s_waitcnt lgkmcnt(0)
	v_add_f32_e32 v2, v2, v3
.LBB114_7:
	s_andn2_b64 vcc, exec, s[8:9]
	; wave barrier
	s_cbranch_vccnz .LBB114_9
; %bb.8:
	ds_write_b32 v1, v2
.LBB114_9:
	s_cmp_gt_u32 s10, 3
	s_cselect_b64 s[8:9], -1, 0
	s_cmp_lt_u32 s10, 4
	; wave barrier
	s_cbranch_scc1 .LBB114_11
; %bb.10:
	v_add_u32_e32 v3, -16, v1
	ds_read_b32 v3, v3
	s_waitcnt lgkmcnt(0)
	v_add_f32_e32 v2, v2, v3
.LBB114_11:
	s_andn2_b64 vcc, exec, s[8:9]
	; wave barrier
	s_cbranch_vccnz .LBB114_13
; %bb.12:
	ds_write_b32 v1, v2
.LBB114_13:
	s_cmp_gt_u32 s10, 7
	s_cselect_b64 s[8:9], -1, 0
	s_cmp_lt_u32 s10, 8
	; wave barrier
	s_cbranch_scc1 .LBB114_15
; %bb.14:
	v_subrev_u32_e32 v3, 32, v1
	ds_read_b32 v3, v3
	s_waitcnt lgkmcnt(0)
	v_add_f32_e32 v2, v2, v3
.LBB114_15:
	s_andn2_b64 vcc, exec, s[8:9]
	; wave barrier
	s_cbranch_vccnz .LBB114_17
; %bb.16:
	ds_write_b32 v1, v2
.LBB114_17:
	s_cmp_gt_u32 s10, 15
	s_cselect_b64 s[8:9], -1, 0
	s_cmp_lt_u32 s10, 16
	; wave barrier
	s_cbranch_scc1 .LBB114_19
; %bb.18:
	v_subrev_u32_e32 v3, 64, v1
	ds_read_b32 v3, v3
	s_waitcnt lgkmcnt(0)
	v_add_f32_e32 v2, v2, v3
.LBB114_19:
	s_andn2_b64 vcc, exec, s[8:9]
	; wave barrier
	s_cbranch_vccnz .LBB114_21
; %bb.20:
	ds_write_b32 v1, v2
.LBB114_21:
	s_cmp_gt_u32 s10, 31
	s_cselect_b64 s[8:9], -1, 0
	s_cmp_lt_u32 s10, 32
	; wave barrier
	s_cbranch_scc1 .LBB114_23
; %bb.22:
	v_add_u32_e32 v3, 0xffffff80, v1
	ds_read_b32 v3, v3
	s_waitcnt lgkmcnt(0)
	v_add_f32_e32 v2, v2, v3
.LBB114_23:
	s_andn2_b64 vcc, exec, s[8:9]
	; wave barrier
	s_cbranch_vccnz .LBB114_25
; %bb.24:
	ds_write_b32 v1, v2
.LBB114_25:
	s_load_dword s4, s[4:5], 0x10
	s_and_b64 vcc, exec, s[0:1]
	; wave barrier
	s_cbranch_vccnz .LBB114_27
; %bb.26:
	ds_read_b32 v0, v0
	s_waitcnt lgkmcnt(0)
	v_add_f32_e32 v0, s4, v0
	s_branch .LBB114_28
.LBB114_27:
	s_waitcnt lgkmcnt(0)
	v_mov_b32_e32 v0, s4
.LBB114_28:
	s_add_u32 s0, s2, s6
	s_addc_u32 s1, s3, s7
	v_mov_b32_e32 v1, 0
	global_store_dword v1, v0, s[0:1]
	s_endpgm
	.section	.rodata,"a",@progbits
	.p2align	6, 0x0
	.amdhsa_kernel _Z26warp_exclusive_scan_kernelIfLj1ELj37EENSt9enable_ifIXsr10test_utilsE35device_test_enabled_for_warp_size_vIXT1_EEEvE4typeEPT_S4_S3_
		.amdhsa_group_segment_fixed_size 148
		.amdhsa_private_segment_fixed_size 0
		.amdhsa_kernarg_size 280
		.amdhsa_user_sgpr_count 6
		.amdhsa_user_sgpr_private_segment_buffer 1
		.amdhsa_user_sgpr_dispatch_ptr 0
		.amdhsa_user_sgpr_queue_ptr 0
		.amdhsa_user_sgpr_kernarg_segment_ptr 1
		.amdhsa_user_sgpr_dispatch_id 0
		.amdhsa_user_sgpr_flat_scratch_init 0
		.amdhsa_user_sgpr_private_segment_size 0
		.amdhsa_uses_dynamic_stack 0
		.amdhsa_system_sgpr_private_segment_wavefront_offset 0
		.amdhsa_system_sgpr_workgroup_id_x 1
		.amdhsa_system_sgpr_workgroup_id_y 0
		.amdhsa_system_sgpr_workgroup_id_z 0
		.amdhsa_system_sgpr_workgroup_info 0
		.amdhsa_system_vgpr_workitem_id 0
		.amdhsa_next_free_vgpr 4
		.amdhsa_next_free_sgpr 11
		.amdhsa_reserve_vcc 1
		.amdhsa_reserve_flat_scratch 0
		.amdhsa_float_round_mode_32 0
		.amdhsa_float_round_mode_16_64 0
		.amdhsa_float_denorm_mode_32 3
		.amdhsa_float_denorm_mode_16_64 3
		.amdhsa_dx10_clamp 1
		.amdhsa_ieee_mode 1
		.amdhsa_fp16_overflow 0
		.amdhsa_exception_fp_ieee_invalid_op 0
		.amdhsa_exception_fp_denorm_src 0
		.amdhsa_exception_fp_ieee_div_zero 0
		.amdhsa_exception_fp_ieee_overflow 0
		.amdhsa_exception_fp_ieee_underflow 0
		.amdhsa_exception_fp_ieee_inexact 0
		.amdhsa_exception_int_div_zero 0
	.end_amdhsa_kernel
	.section	.text._Z26warp_exclusive_scan_kernelIfLj1ELj37EENSt9enable_ifIXsr10test_utilsE35device_test_enabled_for_warp_size_vIXT1_EEEvE4typeEPT_S4_S3_,"axG",@progbits,_Z26warp_exclusive_scan_kernelIfLj1ELj37EENSt9enable_ifIXsr10test_utilsE35device_test_enabled_for_warp_size_vIXT1_EEEvE4typeEPT_S4_S3_,comdat
.Lfunc_end114:
	.size	_Z26warp_exclusive_scan_kernelIfLj1ELj37EENSt9enable_ifIXsr10test_utilsE35device_test_enabled_for_warp_size_vIXT1_EEEvE4typeEPT_S4_S3_, .Lfunc_end114-_Z26warp_exclusive_scan_kernelIfLj1ELj37EENSt9enable_ifIXsr10test_utilsE35device_test_enabled_for_warp_size_vIXT1_EEEvE4typeEPT_S4_S3_
                                        ; -- End function
	.set _Z26warp_exclusive_scan_kernelIfLj1ELj37EENSt9enable_ifIXsr10test_utilsE35device_test_enabled_for_warp_size_vIXT1_EEEvE4typeEPT_S4_S3_.num_vgpr, 4
	.set _Z26warp_exclusive_scan_kernelIfLj1ELj37EENSt9enable_ifIXsr10test_utilsE35device_test_enabled_for_warp_size_vIXT1_EEEvE4typeEPT_S4_S3_.num_agpr, 0
	.set _Z26warp_exclusive_scan_kernelIfLj1ELj37EENSt9enable_ifIXsr10test_utilsE35device_test_enabled_for_warp_size_vIXT1_EEEvE4typeEPT_S4_S3_.numbered_sgpr, 11
	.set _Z26warp_exclusive_scan_kernelIfLj1ELj37EENSt9enable_ifIXsr10test_utilsE35device_test_enabled_for_warp_size_vIXT1_EEEvE4typeEPT_S4_S3_.num_named_barrier, 0
	.set _Z26warp_exclusive_scan_kernelIfLj1ELj37EENSt9enable_ifIXsr10test_utilsE35device_test_enabled_for_warp_size_vIXT1_EEEvE4typeEPT_S4_S3_.private_seg_size, 0
	.set _Z26warp_exclusive_scan_kernelIfLj1ELj37EENSt9enable_ifIXsr10test_utilsE35device_test_enabled_for_warp_size_vIXT1_EEEvE4typeEPT_S4_S3_.uses_vcc, 1
	.set _Z26warp_exclusive_scan_kernelIfLj1ELj37EENSt9enable_ifIXsr10test_utilsE35device_test_enabled_for_warp_size_vIXT1_EEEvE4typeEPT_S4_S3_.uses_flat_scratch, 0
	.set _Z26warp_exclusive_scan_kernelIfLj1ELj37EENSt9enable_ifIXsr10test_utilsE35device_test_enabled_for_warp_size_vIXT1_EEEvE4typeEPT_S4_S3_.has_dyn_sized_stack, 0
	.set _Z26warp_exclusive_scan_kernelIfLj1ELj37EENSt9enable_ifIXsr10test_utilsE35device_test_enabled_for_warp_size_vIXT1_EEEvE4typeEPT_S4_S3_.has_recursion, 0
	.set _Z26warp_exclusive_scan_kernelIfLj1ELj37EENSt9enable_ifIXsr10test_utilsE35device_test_enabled_for_warp_size_vIXT1_EEEvE4typeEPT_S4_S3_.has_indirect_call, 0
	.section	.AMDGPU.csdata,"",@progbits
; Kernel info:
; codeLenInByte = 532
; TotalNumSgprs: 15
; NumVgprs: 4
; ScratchSize: 0
; MemoryBound: 0
; FloatMode: 240
; IeeeMode: 1
; LDSByteSize: 148 bytes/workgroup (compile time only)
; SGPRBlocks: 1
; VGPRBlocks: 0
; NumSGPRsForWavesPerEU: 15
; NumVGPRsForWavesPerEU: 4
; Occupancy: 10
; WaveLimiterHint : 0
; COMPUTE_PGM_RSRC2:SCRATCH_EN: 0
; COMPUTE_PGM_RSRC2:USER_SGPR: 6
; COMPUTE_PGM_RSRC2:TRAP_HANDLER: 0
; COMPUTE_PGM_RSRC2:TGID_X_EN: 1
; COMPUTE_PGM_RSRC2:TGID_Y_EN: 0
; COMPUTE_PGM_RSRC2:TGID_Z_EN: 0
; COMPUTE_PGM_RSRC2:TIDIG_COMP_CNT: 0
	.section	.text._Z26warp_exclusive_scan_kernelIfLj37ELj37EENSt9enable_ifIXsr10test_utilsE35device_test_enabled_for_warp_size_vIXT1_EEEvE4typeEPT_S4_S3_,"axG",@progbits,_Z26warp_exclusive_scan_kernelIfLj37ELj37EENSt9enable_ifIXsr10test_utilsE35device_test_enabled_for_warp_size_vIXT1_EEEvE4typeEPT_S4_S3_,comdat
	.protected	_Z26warp_exclusive_scan_kernelIfLj37ELj37EENSt9enable_ifIXsr10test_utilsE35device_test_enabled_for_warp_size_vIXT1_EEEvE4typeEPT_S4_S3_ ; -- Begin function _Z26warp_exclusive_scan_kernelIfLj37ELj37EENSt9enable_ifIXsr10test_utilsE35device_test_enabled_for_warp_size_vIXT1_EEEvE4typeEPT_S4_S3_
	.globl	_Z26warp_exclusive_scan_kernelIfLj37ELj37EENSt9enable_ifIXsr10test_utilsE35device_test_enabled_for_warp_size_vIXT1_EEEvE4typeEPT_S4_S3_
	.p2align	8
	.type	_Z26warp_exclusive_scan_kernelIfLj37ELj37EENSt9enable_ifIXsr10test_utilsE35device_test_enabled_for_warp_size_vIXT1_EEEvE4typeEPT_S4_S3_,@function
_Z26warp_exclusive_scan_kernelIfLj37ELj37EENSt9enable_ifIXsr10test_utilsE35device_test_enabled_for_warp_size_vIXT1_EEEvE4typeEPT_S4_S3_: ; @_Z26warp_exclusive_scan_kernelIfLj37ELj37EENSt9enable_ifIXsr10test_utilsE35device_test_enabled_for_warp_size_vIXT1_EEEvE4typeEPT_S4_S3_
; %bb.0:
	s_load_dword s7, s[4:5], 0x24
	s_load_dwordx4 s[0:3], s[4:5], 0x0
	v_mov_b32_e32 v2, 0
	s_waitcnt lgkmcnt(0)
	s_and_b32 s7, s7, 0xffff
	s_mul_i32 s6, s6, s7
	v_add_u32_e32 v1, s6, v0
	v_lshlrev_b64 v[1:2], 2, v[1:2]
	v_mov_b32_e32 v4, s1
	v_add_co_u32_e32 v3, vcc, s0, v1
	v_addc_co_u32_e32 v4, vcc, v4, v2, vcc
	global_load_dword v3, v[3:4], off
	v_mbcnt_lo_u32_b32 v4, -1, 0
	s_mov_b32 s0, 0x6eb3e46
	v_mbcnt_hi_u32_b32 v4, -1, v4
	v_mul_hi_u32 v5, v4, s0
	v_mul_u32_u24_e32 v0, 0x6ec, v0
	s_movk_i32 s0, 0x94
	v_lshrrev_b32_e32 v0, 16, v0
	v_mul_u32_u24_e32 v5, 37, v5
	v_sub_u32_e32 v5, v4, v5
	v_lshlrev_b32_e32 v4, 2, v5
	v_mad_u32_u24 v4, v0, s0, v4
	v_cmp_ne_u32_e32 vcc, 0, v5
	v_add_u32_e32 v0, -4, v4
	s_waitcnt vmcnt(0)
	ds_write_b32 v4, v3
	; wave barrier
	s_and_saveexec_b64 s[0:1], vcc
	s_cbranch_execz .LBB115_2
; %bb.1:
	ds_read_b32 v6, v0
	s_waitcnt lgkmcnt(0)
	v_add_f32_e32 v3, v3, v6
.LBB115_2:
	s_or_b64 exec, exec, s[0:1]
	; wave barrier
	s_and_saveexec_b64 s[0:1], vcc
; %bb.3:
	ds_write_b32 v4, v3
; %bb.4:
	s_or_b64 exec, exec, s[0:1]
	v_cmp_lt_u32_e64 s[0:1], 1, v5
	; wave barrier
	s_and_saveexec_b64 s[6:7], s[0:1]
	s_cbranch_execz .LBB115_6
; %bb.5:
	v_add_u32_e32 v6, -8, v4
	ds_read_b32 v6, v6
	s_waitcnt lgkmcnt(0)
	v_add_f32_e32 v3, v3, v6
.LBB115_6:
	s_or_b64 exec, exec, s[6:7]
	; wave barrier
	s_and_saveexec_b64 s[6:7], s[0:1]
; %bb.7:
	ds_write_b32 v4, v3
; %bb.8:
	s_or_b64 exec, exec, s[6:7]
	v_cmp_lt_u32_e64 s[0:1], 3, v5
	; wave barrier
	s_and_saveexec_b64 s[6:7], s[0:1]
	s_cbranch_execz .LBB115_10
; %bb.9:
	v_add_u32_e32 v6, -16, v4
	ds_read_b32 v6, v6
	s_waitcnt lgkmcnt(0)
	v_add_f32_e32 v3, v3, v6
.LBB115_10:
	s_or_b64 exec, exec, s[6:7]
	; wave barrier
	s_and_saveexec_b64 s[6:7], s[0:1]
; %bb.11:
	ds_write_b32 v4, v3
; %bb.12:
	s_or_b64 exec, exec, s[6:7]
	v_cmp_lt_u32_e64 s[0:1], 7, v5
	; wave barrier
	s_and_saveexec_b64 s[6:7], s[0:1]
	s_cbranch_execz .LBB115_14
; %bb.13:
	v_subrev_u32_e32 v6, 32, v4
	ds_read_b32 v6, v6
	s_waitcnt lgkmcnt(0)
	v_add_f32_e32 v3, v3, v6
.LBB115_14:
	s_or_b64 exec, exec, s[6:7]
	; wave barrier
	s_and_saveexec_b64 s[6:7], s[0:1]
; %bb.15:
	ds_write_b32 v4, v3
; %bb.16:
	s_or_b64 exec, exec, s[6:7]
	v_cmp_lt_u32_e64 s[0:1], 15, v5
	; wave barrier
	s_and_saveexec_b64 s[6:7], s[0:1]
	s_cbranch_execz .LBB115_18
; %bb.17:
	v_subrev_u32_e32 v6, 64, v4
	ds_read_b32 v6, v6
	s_waitcnt lgkmcnt(0)
	v_add_f32_e32 v3, v3, v6
.LBB115_18:
	s_or_b64 exec, exec, s[6:7]
	; wave barrier
	s_and_saveexec_b64 s[6:7], s[0:1]
; %bb.19:
	ds_write_b32 v4, v3
; %bb.20:
	s_or_b64 exec, exec, s[6:7]
	v_cmp_lt_u32_e64 s[0:1], 31, v5
	; wave barrier
	s_and_saveexec_b64 s[6:7], s[0:1]
	s_cbranch_execz .LBB115_22
; %bb.21:
	v_add_u32_e32 v5, 0xffffff80, v4
	ds_read_b32 v5, v5
	s_waitcnt lgkmcnt(0)
	v_add_f32_e32 v3, v3, v5
.LBB115_22:
	s_or_b64 exec, exec, s[6:7]
	; wave barrier
	s_and_saveexec_b64 s[6:7], s[0:1]
; %bb.23:
	ds_write_b32 v4, v3
; %bb.24:
	s_or_b64 exec, exec, s[6:7]
	s_load_dword s4, s[4:5], 0x10
	; wave barrier
	s_waitcnt lgkmcnt(0)
	v_mov_b32_e32 v3, s4
	s_and_saveexec_b64 s[0:1], vcc
	s_cbranch_execz .LBB115_26
; %bb.25:
	ds_read_b32 v0, v0
	s_waitcnt lgkmcnt(0)
	v_add_f32_e32 v3, s4, v0
.LBB115_26:
	s_or_b64 exec, exec, s[0:1]
	v_mov_b32_e32 v4, s3
	v_add_co_u32_e32 v0, vcc, s2, v1
	v_addc_co_u32_e32 v1, vcc, v4, v2, vcc
	global_store_dword v[0:1], v3, off
	s_endpgm
	.section	.rodata,"a",@progbits
	.p2align	6, 0x0
	.amdhsa_kernel _Z26warp_exclusive_scan_kernelIfLj37ELj37EENSt9enable_ifIXsr10test_utilsE35device_test_enabled_for_warp_size_vIXT1_EEEvE4typeEPT_S4_S3_
		.amdhsa_group_segment_fixed_size 148
		.amdhsa_private_segment_fixed_size 0
		.amdhsa_kernarg_size 280
		.amdhsa_user_sgpr_count 6
		.amdhsa_user_sgpr_private_segment_buffer 1
		.amdhsa_user_sgpr_dispatch_ptr 0
		.amdhsa_user_sgpr_queue_ptr 0
		.amdhsa_user_sgpr_kernarg_segment_ptr 1
		.amdhsa_user_sgpr_dispatch_id 0
		.amdhsa_user_sgpr_flat_scratch_init 0
		.amdhsa_user_sgpr_private_segment_size 0
		.amdhsa_uses_dynamic_stack 0
		.amdhsa_system_sgpr_private_segment_wavefront_offset 0
		.amdhsa_system_sgpr_workgroup_id_x 1
		.amdhsa_system_sgpr_workgroup_id_y 0
		.amdhsa_system_sgpr_workgroup_id_z 0
		.amdhsa_system_sgpr_workgroup_info 0
		.amdhsa_system_vgpr_workitem_id 0
		.amdhsa_next_free_vgpr 7
		.amdhsa_next_free_sgpr 8
		.amdhsa_reserve_vcc 1
		.amdhsa_reserve_flat_scratch 0
		.amdhsa_float_round_mode_32 0
		.amdhsa_float_round_mode_16_64 0
		.amdhsa_float_denorm_mode_32 3
		.amdhsa_float_denorm_mode_16_64 3
		.amdhsa_dx10_clamp 1
		.amdhsa_ieee_mode 1
		.amdhsa_fp16_overflow 0
		.amdhsa_exception_fp_ieee_invalid_op 0
		.amdhsa_exception_fp_denorm_src 0
		.amdhsa_exception_fp_ieee_div_zero 0
		.amdhsa_exception_fp_ieee_overflow 0
		.amdhsa_exception_fp_ieee_underflow 0
		.amdhsa_exception_fp_ieee_inexact 0
		.amdhsa_exception_int_div_zero 0
	.end_amdhsa_kernel
	.section	.text._Z26warp_exclusive_scan_kernelIfLj37ELj37EENSt9enable_ifIXsr10test_utilsE35device_test_enabled_for_warp_size_vIXT1_EEEvE4typeEPT_S4_S3_,"axG",@progbits,_Z26warp_exclusive_scan_kernelIfLj37ELj37EENSt9enable_ifIXsr10test_utilsE35device_test_enabled_for_warp_size_vIXT1_EEEvE4typeEPT_S4_S3_,comdat
.Lfunc_end115:
	.size	_Z26warp_exclusive_scan_kernelIfLj37ELj37EENSt9enable_ifIXsr10test_utilsE35device_test_enabled_for_warp_size_vIXT1_EEEvE4typeEPT_S4_S3_, .Lfunc_end115-_Z26warp_exclusive_scan_kernelIfLj37ELj37EENSt9enable_ifIXsr10test_utilsE35device_test_enabled_for_warp_size_vIXT1_EEEvE4typeEPT_S4_S3_
                                        ; -- End function
	.set _Z26warp_exclusive_scan_kernelIfLj37ELj37EENSt9enable_ifIXsr10test_utilsE35device_test_enabled_for_warp_size_vIXT1_EEEvE4typeEPT_S4_S3_.num_vgpr, 7
	.set _Z26warp_exclusive_scan_kernelIfLj37ELj37EENSt9enable_ifIXsr10test_utilsE35device_test_enabled_for_warp_size_vIXT1_EEEvE4typeEPT_S4_S3_.num_agpr, 0
	.set _Z26warp_exclusive_scan_kernelIfLj37ELj37EENSt9enable_ifIXsr10test_utilsE35device_test_enabled_for_warp_size_vIXT1_EEEvE4typeEPT_S4_S3_.numbered_sgpr, 8
	.set _Z26warp_exclusive_scan_kernelIfLj37ELj37EENSt9enable_ifIXsr10test_utilsE35device_test_enabled_for_warp_size_vIXT1_EEEvE4typeEPT_S4_S3_.num_named_barrier, 0
	.set _Z26warp_exclusive_scan_kernelIfLj37ELj37EENSt9enable_ifIXsr10test_utilsE35device_test_enabled_for_warp_size_vIXT1_EEEvE4typeEPT_S4_S3_.private_seg_size, 0
	.set _Z26warp_exclusive_scan_kernelIfLj37ELj37EENSt9enable_ifIXsr10test_utilsE35device_test_enabled_for_warp_size_vIXT1_EEEvE4typeEPT_S4_S3_.uses_vcc, 1
	.set _Z26warp_exclusive_scan_kernelIfLj37ELj37EENSt9enable_ifIXsr10test_utilsE35device_test_enabled_for_warp_size_vIXT1_EEEvE4typeEPT_S4_S3_.uses_flat_scratch, 0
	.set _Z26warp_exclusive_scan_kernelIfLj37ELj37EENSt9enable_ifIXsr10test_utilsE35device_test_enabled_for_warp_size_vIXT1_EEEvE4typeEPT_S4_S3_.has_dyn_sized_stack, 0
	.set _Z26warp_exclusive_scan_kernelIfLj37ELj37EENSt9enable_ifIXsr10test_utilsE35device_test_enabled_for_warp_size_vIXT1_EEEvE4typeEPT_S4_S3_.has_recursion, 0
	.set _Z26warp_exclusive_scan_kernelIfLj37ELj37EENSt9enable_ifIXsr10test_utilsE35device_test_enabled_for_warp_size_vIXT1_EEEvE4typeEPT_S4_S3_.has_indirect_call, 0
	.section	.AMDGPU.csdata,"",@progbits
; Kernel info:
; codeLenInByte = 552
; TotalNumSgprs: 12
; NumVgprs: 7
; ScratchSize: 0
; MemoryBound: 0
; FloatMode: 240
; IeeeMode: 1
; LDSByteSize: 148 bytes/workgroup (compile time only)
; SGPRBlocks: 1
; VGPRBlocks: 1
; NumSGPRsForWavesPerEU: 12
; NumVGPRsForWavesPerEU: 7
; Occupancy: 10
; WaveLimiterHint : 0
; COMPUTE_PGM_RSRC2:SCRATCH_EN: 0
; COMPUTE_PGM_RSRC2:USER_SGPR: 6
; COMPUTE_PGM_RSRC2:TRAP_HANDLER: 0
; COMPUTE_PGM_RSRC2:TGID_X_EN: 1
; COMPUTE_PGM_RSRC2:TGID_Y_EN: 0
; COMPUTE_PGM_RSRC2:TGID_Z_EN: 0
; COMPUTE_PGM_RSRC2:TIDIG_COMP_CNT: 0
	.section	.text._Z26warp_exclusive_scan_kernelIfLj30ELj15EENSt9enable_ifIXsr10test_utilsE35device_test_enabled_for_warp_size_vIXT1_EEEvE4typeEPT_S4_S3_,"axG",@progbits,_Z26warp_exclusive_scan_kernelIfLj30ELj15EENSt9enable_ifIXsr10test_utilsE35device_test_enabled_for_warp_size_vIXT1_EEEvE4typeEPT_S4_S3_,comdat
	.protected	_Z26warp_exclusive_scan_kernelIfLj30ELj15EENSt9enable_ifIXsr10test_utilsE35device_test_enabled_for_warp_size_vIXT1_EEEvE4typeEPT_S4_S3_ ; -- Begin function _Z26warp_exclusive_scan_kernelIfLj30ELj15EENSt9enable_ifIXsr10test_utilsE35device_test_enabled_for_warp_size_vIXT1_EEEvE4typeEPT_S4_S3_
	.globl	_Z26warp_exclusive_scan_kernelIfLj30ELj15EENSt9enable_ifIXsr10test_utilsE35device_test_enabled_for_warp_size_vIXT1_EEEvE4typeEPT_S4_S3_
	.p2align	8
	.type	_Z26warp_exclusive_scan_kernelIfLj30ELj15EENSt9enable_ifIXsr10test_utilsE35device_test_enabled_for_warp_size_vIXT1_EEEvE4typeEPT_S4_S3_,@function
_Z26warp_exclusive_scan_kernelIfLj30ELj15EENSt9enable_ifIXsr10test_utilsE35device_test_enabled_for_warp_size_vIXT1_EEEvE4typeEPT_S4_S3_: ; @_Z26warp_exclusive_scan_kernelIfLj30ELj15EENSt9enable_ifIXsr10test_utilsE35device_test_enabled_for_warp_size_vIXT1_EEEvE4typeEPT_S4_S3_
; %bb.0:
	s_load_dword s7, s[4:5], 0x24
	s_load_dwordx4 s[0:3], s[4:5], 0x0
	v_mov_b32_e32 v2, 0
	s_waitcnt lgkmcnt(0)
	s_and_b32 s7, s7, 0xffff
	s_mul_i32 s6, s6, s7
	v_add_u32_e32 v1, s6, v0
	v_lshlrev_b64 v[1:2], 2, v[1:2]
	v_mov_b32_e32 v4, s1
	v_add_co_u32_e32 v3, vcc, s0, v1
	v_addc_co_u32_e32 v4, vcc, v4, v2, vcc
	global_load_dword v3, v[3:4], off
	v_mbcnt_lo_u32_b32 v4, -1, 0
	s_mov_b32 s0, 0x11111112
	v_mbcnt_hi_u32_b32 v4, -1, v4
	v_mul_hi_u32 v5, v4, s0
	v_mul_u32_u24_e32 v0, 0x1112, v0
	v_lshrrev_b32_e32 v0, 16, v0
	v_mul_u32_u24_e32 v5, 15, v5
	v_sub_u32_e32 v5, v4, v5
	v_lshlrev_b32_e32 v4, 2, v5
	v_mad_u32_u24 v4, v0, 60, v4
	v_cmp_ne_u32_e32 vcc, 0, v5
	v_add_u32_e32 v0, -4, v4
	s_waitcnt vmcnt(0)
	ds_write_b32 v4, v3
	; wave barrier
	s_and_saveexec_b64 s[0:1], vcc
	s_cbranch_execz .LBB116_2
; %bb.1:
	ds_read_b32 v6, v0
	s_waitcnt lgkmcnt(0)
	v_add_f32_e32 v3, v3, v6
.LBB116_2:
	s_or_b64 exec, exec, s[0:1]
	; wave barrier
	s_and_saveexec_b64 s[0:1], vcc
; %bb.3:
	ds_write_b32 v4, v3
; %bb.4:
	s_or_b64 exec, exec, s[0:1]
	v_cmp_lt_u32_e64 s[0:1], 1, v5
	; wave barrier
	s_and_saveexec_b64 s[6:7], s[0:1]
	s_cbranch_execz .LBB116_6
; %bb.5:
	v_add_u32_e32 v6, -8, v4
	ds_read_b32 v6, v6
	s_waitcnt lgkmcnt(0)
	v_add_f32_e32 v3, v3, v6
.LBB116_6:
	s_or_b64 exec, exec, s[6:7]
	; wave barrier
	s_and_saveexec_b64 s[6:7], s[0:1]
; %bb.7:
	ds_write_b32 v4, v3
; %bb.8:
	s_or_b64 exec, exec, s[6:7]
	v_cmp_lt_u32_e64 s[0:1], 3, v5
	; wave barrier
	s_and_saveexec_b64 s[6:7], s[0:1]
	s_cbranch_execz .LBB116_10
; %bb.9:
	v_add_u32_e32 v6, -16, v4
	ds_read_b32 v6, v6
	s_waitcnt lgkmcnt(0)
	v_add_f32_e32 v3, v3, v6
.LBB116_10:
	s_or_b64 exec, exec, s[6:7]
	; wave barrier
	s_and_saveexec_b64 s[6:7], s[0:1]
; %bb.11:
	ds_write_b32 v4, v3
; %bb.12:
	s_or_b64 exec, exec, s[6:7]
	v_cmp_lt_u32_e64 s[0:1], 7, v5
	; wave barrier
	s_and_saveexec_b64 s[6:7], s[0:1]
	s_cbranch_execz .LBB116_14
; %bb.13:
	v_subrev_u32_e32 v5, 32, v4
	ds_read_b32 v5, v5
	s_waitcnt lgkmcnt(0)
	v_add_f32_e32 v3, v3, v5
.LBB116_14:
	s_or_b64 exec, exec, s[6:7]
	; wave barrier
	s_and_saveexec_b64 s[6:7], s[0:1]
; %bb.15:
	ds_write_b32 v4, v3
; %bb.16:
	s_or_b64 exec, exec, s[6:7]
	s_load_dword s4, s[4:5], 0x10
	; wave barrier
	s_waitcnt lgkmcnt(0)
	v_mov_b32_e32 v3, s4
	s_and_saveexec_b64 s[0:1], vcc
	s_cbranch_execz .LBB116_18
; %bb.17:
	ds_read_b32 v0, v0
	s_waitcnt lgkmcnt(0)
	v_add_f32_e32 v3, s4, v0
.LBB116_18:
	s_or_b64 exec, exec, s[0:1]
	v_mov_b32_e32 v4, s3
	v_add_co_u32_e32 v0, vcc, s2, v1
	v_addc_co_u32_e32 v1, vcc, v4, v2, vcc
	global_store_dword v[0:1], v3, off
	s_endpgm
	.section	.rodata,"a",@progbits
	.p2align	6, 0x0
	.amdhsa_kernel _Z26warp_exclusive_scan_kernelIfLj30ELj15EENSt9enable_ifIXsr10test_utilsE35device_test_enabled_for_warp_size_vIXT1_EEEvE4typeEPT_S4_S3_
		.amdhsa_group_segment_fixed_size 120
		.amdhsa_private_segment_fixed_size 0
		.amdhsa_kernarg_size 280
		.amdhsa_user_sgpr_count 6
		.amdhsa_user_sgpr_private_segment_buffer 1
		.amdhsa_user_sgpr_dispatch_ptr 0
		.amdhsa_user_sgpr_queue_ptr 0
		.amdhsa_user_sgpr_kernarg_segment_ptr 1
		.amdhsa_user_sgpr_dispatch_id 0
		.amdhsa_user_sgpr_flat_scratch_init 0
		.amdhsa_user_sgpr_private_segment_size 0
		.amdhsa_uses_dynamic_stack 0
		.amdhsa_system_sgpr_private_segment_wavefront_offset 0
		.amdhsa_system_sgpr_workgroup_id_x 1
		.amdhsa_system_sgpr_workgroup_id_y 0
		.amdhsa_system_sgpr_workgroup_id_z 0
		.amdhsa_system_sgpr_workgroup_info 0
		.amdhsa_system_vgpr_workitem_id 0
		.amdhsa_next_free_vgpr 7
		.amdhsa_next_free_sgpr 8
		.amdhsa_reserve_vcc 1
		.amdhsa_reserve_flat_scratch 0
		.amdhsa_float_round_mode_32 0
		.amdhsa_float_round_mode_16_64 0
		.amdhsa_float_denorm_mode_32 3
		.amdhsa_float_denorm_mode_16_64 3
		.amdhsa_dx10_clamp 1
		.amdhsa_ieee_mode 1
		.amdhsa_fp16_overflow 0
		.amdhsa_exception_fp_ieee_invalid_op 0
		.amdhsa_exception_fp_denorm_src 0
		.amdhsa_exception_fp_ieee_div_zero 0
		.amdhsa_exception_fp_ieee_overflow 0
		.amdhsa_exception_fp_ieee_underflow 0
		.amdhsa_exception_fp_ieee_inexact 0
		.amdhsa_exception_int_div_zero 0
	.end_amdhsa_kernel
	.section	.text._Z26warp_exclusive_scan_kernelIfLj30ELj15EENSt9enable_ifIXsr10test_utilsE35device_test_enabled_for_warp_size_vIXT1_EEEvE4typeEPT_S4_S3_,"axG",@progbits,_Z26warp_exclusive_scan_kernelIfLj30ELj15EENSt9enable_ifIXsr10test_utilsE35device_test_enabled_for_warp_size_vIXT1_EEEvE4typeEPT_S4_S3_,comdat
.Lfunc_end116:
	.size	_Z26warp_exclusive_scan_kernelIfLj30ELj15EENSt9enable_ifIXsr10test_utilsE35device_test_enabled_for_warp_size_vIXT1_EEEvE4typeEPT_S4_S3_, .Lfunc_end116-_Z26warp_exclusive_scan_kernelIfLj30ELj15EENSt9enable_ifIXsr10test_utilsE35device_test_enabled_for_warp_size_vIXT1_EEEvE4typeEPT_S4_S3_
                                        ; -- End function
	.set _Z26warp_exclusive_scan_kernelIfLj30ELj15EENSt9enable_ifIXsr10test_utilsE35device_test_enabled_for_warp_size_vIXT1_EEEvE4typeEPT_S4_S3_.num_vgpr, 7
	.set _Z26warp_exclusive_scan_kernelIfLj30ELj15EENSt9enable_ifIXsr10test_utilsE35device_test_enabled_for_warp_size_vIXT1_EEEvE4typeEPT_S4_S3_.num_agpr, 0
	.set _Z26warp_exclusive_scan_kernelIfLj30ELj15EENSt9enable_ifIXsr10test_utilsE35device_test_enabled_for_warp_size_vIXT1_EEEvE4typeEPT_S4_S3_.numbered_sgpr, 8
	.set _Z26warp_exclusive_scan_kernelIfLj30ELj15EENSt9enable_ifIXsr10test_utilsE35device_test_enabled_for_warp_size_vIXT1_EEEvE4typeEPT_S4_S3_.num_named_barrier, 0
	.set _Z26warp_exclusive_scan_kernelIfLj30ELj15EENSt9enable_ifIXsr10test_utilsE35device_test_enabled_for_warp_size_vIXT1_EEEvE4typeEPT_S4_S3_.private_seg_size, 0
	.set _Z26warp_exclusive_scan_kernelIfLj30ELj15EENSt9enable_ifIXsr10test_utilsE35device_test_enabled_for_warp_size_vIXT1_EEEvE4typeEPT_S4_S3_.uses_vcc, 1
	.set _Z26warp_exclusive_scan_kernelIfLj30ELj15EENSt9enable_ifIXsr10test_utilsE35device_test_enabled_for_warp_size_vIXT1_EEEvE4typeEPT_S4_S3_.uses_flat_scratch, 0
	.set _Z26warp_exclusive_scan_kernelIfLj30ELj15EENSt9enable_ifIXsr10test_utilsE35device_test_enabled_for_warp_size_vIXT1_EEEvE4typeEPT_S4_S3_.has_dyn_sized_stack, 0
	.set _Z26warp_exclusive_scan_kernelIfLj30ELj15EENSt9enable_ifIXsr10test_utilsE35device_test_enabled_for_warp_size_vIXT1_EEEvE4typeEPT_S4_S3_.has_recursion, 0
	.set _Z26warp_exclusive_scan_kernelIfLj30ELj15EENSt9enable_ifIXsr10test_utilsE35device_test_enabled_for_warp_size_vIXT1_EEEvE4typeEPT_S4_S3_.has_indirect_call, 0
	.section	.AMDGPU.csdata,"",@progbits
; Kernel info:
; codeLenInByte = 432
; TotalNumSgprs: 12
; NumVgprs: 7
; ScratchSize: 0
; MemoryBound: 0
; FloatMode: 240
; IeeeMode: 1
; LDSByteSize: 120 bytes/workgroup (compile time only)
; SGPRBlocks: 1
; VGPRBlocks: 1
; NumSGPRsForWavesPerEU: 12
; NumVGPRsForWavesPerEU: 7
; Occupancy: 10
; WaveLimiterHint : 0
; COMPUTE_PGM_RSRC2:SCRATCH_EN: 0
; COMPUTE_PGM_RSRC2:USER_SGPR: 6
; COMPUTE_PGM_RSRC2:TRAP_HANDLER: 0
; COMPUTE_PGM_RSRC2:TGID_X_EN: 1
; COMPUTE_PGM_RSRC2:TGID_Y_EN: 0
; COMPUTE_PGM_RSRC2:TGID_Z_EN: 0
; COMPUTE_PGM_RSRC2:TIDIG_COMP_CNT: 0
	.section	.text._Z26warp_exclusive_scan_kernelIfLj60ELj15EENSt9enable_ifIXsr10test_utilsE35device_test_enabled_for_warp_size_vIXT1_EEEvE4typeEPT_S4_S3_,"axG",@progbits,_Z26warp_exclusive_scan_kernelIfLj60ELj15EENSt9enable_ifIXsr10test_utilsE35device_test_enabled_for_warp_size_vIXT1_EEEvE4typeEPT_S4_S3_,comdat
	.protected	_Z26warp_exclusive_scan_kernelIfLj60ELj15EENSt9enable_ifIXsr10test_utilsE35device_test_enabled_for_warp_size_vIXT1_EEEvE4typeEPT_S4_S3_ ; -- Begin function _Z26warp_exclusive_scan_kernelIfLj60ELj15EENSt9enable_ifIXsr10test_utilsE35device_test_enabled_for_warp_size_vIXT1_EEEvE4typeEPT_S4_S3_
	.globl	_Z26warp_exclusive_scan_kernelIfLj60ELj15EENSt9enable_ifIXsr10test_utilsE35device_test_enabled_for_warp_size_vIXT1_EEEvE4typeEPT_S4_S3_
	.p2align	8
	.type	_Z26warp_exclusive_scan_kernelIfLj60ELj15EENSt9enable_ifIXsr10test_utilsE35device_test_enabled_for_warp_size_vIXT1_EEEvE4typeEPT_S4_S3_,@function
_Z26warp_exclusive_scan_kernelIfLj60ELj15EENSt9enable_ifIXsr10test_utilsE35device_test_enabled_for_warp_size_vIXT1_EEEvE4typeEPT_S4_S3_: ; @_Z26warp_exclusive_scan_kernelIfLj60ELj15EENSt9enable_ifIXsr10test_utilsE35device_test_enabled_for_warp_size_vIXT1_EEEvE4typeEPT_S4_S3_
; %bb.0:
	s_load_dword s7, s[4:5], 0x24
	s_load_dwordx4 s[0:3], s[4:5], 0x0
	v_mov_b32_e32 v2, 0
	s_waitcnt lgkmcnt(0)
	s_and_b32 s7, s7, 0xffff
	s_mul_i32 s6, s6, s7
	v_add_u32_e32 v1, s6, v0
	v_lshlrev_b64 v[1:2], 2, v[1:2]
	v_mov_b32_e32 v4, s1
	v_add_co_u32_e32 v3, vcc, s0, v1
	v_addc_co_u32_e32 v4, vcc, v4, v2, vcc
	global_load_dword v3, v[3:4], off
	v_mbcnt_lo_u32_b32 v4, -1, 0
	s_mov_b32 s0, 0x11111112
	v_mbcnt_hi_u32_b32 v4, -1, v4
	v_mul_hi_u32 v5, v4, s0
	v_mul_u32_u24_e32 v0, 0x1112, v0
	v_lshrrev_b32_e32 v0, 16, v0
	v_mul_u32_u24_e32 v5, 15, v5
	v_sub_u32_e32 v5, v4, v5
	v_lshlrev_b32_e32 v4, 2, v5
	v_mad_u32_u24 v4, v0, 60, v4
	v_cmp_ne_u32_e32 vcc, 0, v5
	v_add_u32_e32 v0, -4, v4
	s_waitcnt vmcnt(0)
	ds_write_b32 v4, v3
	; wave barrier
	s_and_saveexec_b64 s[0:1], vcc
	s_cbranch_execz .LBB117_2
; %bb.1:
	ds_read_b32 v6, v0
	s_waitcnt lgkmcnt(0)
	v_add_f32_e32 v3, v3, v6
.LBB117_2:
	s_or_b64 exec, exec, s[0:1]
	; wave barrier
	s_and_saveexec_b64 s[0:1], vcc
; %bb.3:
	ds_write_b32 v4, v3
; %bb.4:
	s_or_b64 exec, exec, s[0:1]
	v_cmp_lt_u32_e64 s[0:1], 1, v5
	; wave barrier
	s_and_saveexec_b64 s[6:7], s[0:1]
	s_cbranch_execz .LBB117_6
; %bb.5:
	v_add_u32_e32 v6, -8, v4
	ds_read_b32 v6, v6
	s_waitcnt lgkmcnt(0)
	v_add_f32_e32 v3, v3, v6
.LBB117_6:
	s_or_b64 exec, exec, s[6:7]
	; wave barrier
	s_and_saveexec_b64 s[6:7], s[0:1]
; %bb.7:
	ds_write_b32 v4, v3
; %bb.8:
	s_or_b64 exec, exec, s[6:7]
	v_cmp_lt_u32_e64 s[0:1], 3, v5
	; wave barrier
	s_and_saveexec_b64 s[6:7], s[0:1]
	s_cbranch_execz .LBB117_10
; %bb.9:
	v_add_u32_e32 v6, -16, v4
	ds_read_b32 v6, v6
	s_waitcnt lgkmcnt(0)
	v_add_f32_e32 v3, v3, v6
.LBB117_10:
	s_or_b64 exec, exec, s[6:7]
	; wave barrier
	s_and_saveexec_b64 s[6:7], s[0:1]
; %bb.11:
	ds_write_b32 v4, v3
; %bb.12:
	s_or_b64 exec, exec, s[6:7]
	v_cmp_lt_u32_e64 s[0:1], 7, v5
	; wave barrier
	s_and_saveexec_b64 s[6:7], s[0:1]
	s_cbranch_execz .LBB117_14
; %bb.13:
	v_subrev_u32_e32 v5, 32, v4
	ds_read_b32 v5, v5
	s_waitcnt lgkmcnt(0)
	v_add_f32_e32 v3, v3, v5
.LBB117_14:
	s_or_b64 exec, exec, s[6:7]
	; wave barrier
	s_and_saveexec_b64 s[6:7], s[0:1]
; %bb.15:
	ds_write_b32 v4, v3
; %bb.16:
	s_or_b64 exec, exec, s[6:7]
	s_load_dword s4, s[4:5], 0x10
	; wave barrier
	s_waitcnt lgkmcnt(0)
	v_mov_b32_e32 v3, s4
	s_and_saveexec_b64 s[0:1], vcc
	s_cbranch_execz .LBB117_18
; %bb.17:
	ds_read_b32 v0, v0
	s_waitcnt lgkmcnt(0)
	v_add_f32_e32 v3, s4, v0
.LBB117_18:
	s_or_b64 exec, exec, s[0:1]
	v_mov_b32_e32 v4, s3
	v_add_co_u32_e32 v0, vcc, s2, v1
	v_addc_co_u32_e32 v1, vcc, v4, v2, vcc
	global_store_dword v[0:1], v3, off
	s_endpgm
	.section	.rodata,"a",@progbits
	.p2align	6, 0x0
	.amdhsa_kernel _Z26warp_exclusive_scan_kernelIfLj60ELj15EENSt9enable_ifIXsr10test_utilsE35device_test_enabled_for_warp_size_vIXT1_EEEvE4typeEPT_S4_S3_
		.amdhsa_group_segment_fixed_size 240
		.amdhsa_private_segment_fixed_size 0
		.amdhsa_kernarg_size 280
		.amdhsa_user_sgpr_count 6
		.amdhsa_user_sgpr_private_segment_buffer 1
		.amdhsa_user_sgpr_dispatch_ptr 0
		.amdhsa_user_sgpr_queue_ptr 0
		.amdhsa_user_sgpr_kernarg_segment_ptr 1
		.amdhsa_user_sgpr_dispatch_id 0
		.amdhsa_user_sgpr_flat_scratch_init 0
		.amdhsa_user_sgpr_private_segment_size 0
		.amdhsa_uses_dynamic_stack 0
		.amdhsa_system_sgpr_private_segment_wavefront_offset 0
		.amdhsa_system_sgpr_workgroup_id_x 1
		.amdhsa_system_sgpr_workgroup_id_y 0
		.amdhsa_system_sgpr_workgroup_id_z 0
		.amdhsa_system_sgpr_workgroup_info 0
		.amdhsa_system_vgpr_workitem_id 0
		.amdhsa_next_free_vgpr 7
		.amdhsa_next_free_sgpr 8
		.amdhsa_reserve_vcc 1
		.amdhsa_reserve_flat_scratch 0
		.amdhsa_float_round_mode_32 0
		.amdhsa_float_round_mode_16_64 0
		.amdhsa_float_denorm_mode_32 3
		.amdhsa_float_denorm_mode_16_64 3
		.amdhsa_dx10_clamp 1
		.amdhsa_ieee_mode 1
		.amdhsa_fp16_overflow 0
		.amdhsa_exception_fp_ieee_invalid_op 0
		.amdhsa_exception_fp_denorm_src 0
		.amdhsa_exception_fp_ieee_div_zero 0
		.amdhsa_exception_fp_ieee_overflow 0
		.amdhsa_exception_fp_ieee_underflow 0
		.amdhsa_exception_fp_ieee_inexact 0
		.amdhsa_exception_int_div_zero 0
	.end_amdhsa_kernel
	.section	.text._Z26warp_exclusive_scan_kernelIfLj60ELj15EENSt9enable_ifIXsr10test_utilsE35device_test_enabled_for_warp_size_vIXT1_EEEvE4typeEPT_S4_S3_,"axG",@progbits,_Z26warp_exclusive_scan_kernelIfLj60ELj15EENSt9enable_ifIXsr10test_utilsE35device_test_enabled_for_warp_size_vIXT1_EEEvE4typeEPT_S4_S3_,comdat
.Lfunc_end117:
	.size	_Z26warp_exclusive_scan_kernelIfLj60ELj15EENSt9enable_ifIXsr10test_utilsE35device_test_enabled_for_warp_size_vIXT1_EEEvE4typeEPT_S4_S3_, .Lfunc_end117-_Z26warp_exclusive_scan_kernelIfLj60ELj15EENSt9enable_ifIXsr10test_utilsE35device_test_enabled_for_warp_size_vIXT1_EEEvE4typeEPT_S4_S3_
                                        ; -- End function
	.set _Z26warp_exclusive_scan_kernelIfLj60ELj15EENSt9enable_ifIXsr10test_utilsE35device_test_enabled_for_warp_size_vIXT1_EEEvE4typeEPT_S4_S3_.num_vgpr, 7
	.set _Z26warp_exclusive_scan_kernelIfLj60ELj15EENSt9enable_ifIXsr10test_utilsE35device_test_enabled_for_warp_size_vIXT1_EEEvE4typeEPT_S4_S3_.num_agpr, 0
	.set _Z26warp_exclusive_scan_kernelIfLj60ELj15EENSt9enable_ifIXsr10test_utilsE35device_test_enabled_for_warp_size_vIXT1_EEEvE4typeEPT_S4_S3_.numbered_sgpr, 8
	.set _Z26warp_exclusive_scan_kernelIfLj60ELj15EENSt9enable_ifIXsr10test_utilsE35device_test_enabled_for_warp_size_vIXT1_EEEvE4typeEPT_S4_S3_.num_named_barrier, 0
	.set _Z26warp_exclusive_scan_kernelIfLj60ELj15EENSt9enable_ifIXsr10test_utilsE35device_test_enabled_for_warp_size_vIXT1_EEEvE4typeEPT_S4_S3_.private_seg_size, 0
	.set _Z26warp_exclusive_scan_kernelIfLj60ELj15EENSt9enable_ifIXsr10test_utilsE35device_test_enabled_for_warp_size_vIXT1_EEEvE4typeEPT_S4_S3_.uses_vcc, 1
	.set _Z26warp_exclusive_scan_kernelIfLj60ELj15EENSt9enable_ifIXsr10test_utilsE35device_test_enabled_for_warp_size_vIXT1_EEEvE4typeEPT_S4_S3_.uses_flat_scratch, 0
	.set _Z26warp_exclusive_scan_kernelIfLj60ELj15EENSt9enable_ifIXsr10test_utilsE35device_test_enabled_for_warp_size_vIXT1_EEEvE4typeEPT_S4_S3_.has_dyn_sized_stack, 0
	.set _Z26warp_exclusive_scan_kernelIfLj60ELj15EENSt9enable_ifIXsr10test_utilsE35device_test_enabled_for_warp_size_vIXT1_EEEvE4typeEPT_S4_S3_.has_recursion, 0
	.set _Z26warp_exclusive_scan_kernelIfLj60ELj15EENSt9enable_ifIXsr10test_utilsE35device_test_enabled_for_warp_size_vIXT1_EEEvE4typeEPT_S4_S3_.has_indirect_call, 0
	.section	.AMDGPU.csdata,"",@progbits
; Kernel info:
; codeLenInByte = 432
; TotalNumSgprs: 12
; NumVgprs: 7
; ScratchSize: 0
; MemoryBound: 0
; FloatMode: 240
; IeeeMode: 1
; LDSByteSize: 240 bytes/workgroup (compile time only)
; SGPRBlocks: 1
; VGPRBlocks: 1
; NumSGPRsForWavesPerEU: 12
; NumVGPRsForWavesPerEU: 7
; Occupancy: 10
; WaveLimiterHint : 0
; COMPUTE_PGM_RSRC2:SCRATCH_EN: 0
; COMPUTE_PGM_RSRC2:USER_SGPR: 6
; COMPUTE_PGM_RSRC2:TRAP_HANDLER: 0
; COMPUTE_PGM_RSRC2:TGID_X_EN: 1
; COMPUTE_PGM_RSRC2:TGID_Y_EN: 0
; COMPUTE_PGM_RSRC2:TGID_Z_EN: 0
; COMPUTE_PGM_RSRC2:TIDIG_COMP_CNT: 0
	.section	.text._Z26warp_exclusive_scan_kernelIfLj28ELj7EENSt9enable_ifIXsr10test_utilsE35device_test_enabled_for_warp_size_vIXT1_EEEvE4typeEPT_S4_S3_,"axG",@progbits,_Z26warp_exclusive_scan_kernelIfLj28ELj7EENSt9enable_ifIXsr10test_utilsE35device_test_enabled_for_warp_size_vIXT1_EEEvE4typeEPT_S4_S3_,comdat
	.protected	_Z26warp_exclusive_scan_kernelIfLj28ELj7EENSt9enable_ifIXsr10test_utilsE35device_test_enabled_for_warp_size_vIXT1_EEEvE4typeEPT_S4_S3_ ; -- Begin function _Z26warp_exclusive_scan_kernelIfLj28ELj7EENSt9enable_ifIXsr10test_utilsE35device_test_enabled_for_warp_size_vIXT1_EEEvE4typeEPT_S4_S3_
	.globl	_Z26warp_exclusive_scan_kernelIfLj28ELj7EENSt9enable_ifIXsr10test_utilsE35device_test_enabled_for_warp_size_vIXT1_EEEvE4typeEPT_S4_S3_
	.p2align	8
	.type	_Z26warp_exclusive_scan_kernelIfLj28ELj7EENSt9enable_ifIXsr10test_utilsE35device_test_enabled_for_warp_size_vIXT1_EEEvE4typeEPT_S4_S3_,@function
_Z26warp_exclusive_scan_kernelIfLj28ELj7EENSt9enable_ifIXsr10test_utilsE35device_test_enabled_for_warp_size_vIXT1_EEEvE4typeEPT_S4_S3_: ; @_Z26warp_exclusive_scan_kernelIfLj28ELj7EENSt9enable_ifIXsr10test_utilsE35device_test_enabled_for_warp_size_vIXT1_EEEvE4typeEPT_S4_S3_
; %bb.0:
	s_load_dword s7, s[4:5], 0x24
	s_load_dwordx4 s[0:3], s[4:5], 0x0
	v_mov_b32_e32 v2, 0
	s_waitcnt lgkmcnt(0)
	s_and_b32 s7, s7, 0xffff
	s_mul_i32 s6, s6, s7
	v_add_u32_e32 v1, s6, v0
	v_lshlrev_b64 v[1:2], 2, v[1:2]
	v_mov_b32_e32 v4, s1
	v_add_co_u32_e32 v3, vcc, s0, v1
	v_addc_co_u32_e32 v4, vcc, v4, v2, vcc
	global_load_dword v3, v[3:4], off
	v_mbcnt_lo_u32_b32 v4, -1, 0
	s_mov_b32 s0, 0x24924925
	v_mbcnt_hi_u32_b32 v4, -1, v4
	v_mul_hi_u32 v5, v4, s0
	v_mul_u32_u24_e32 v0, 0x2493, v0
	v_lshrrev_b32_e32 v0, 16, v0
	v_mul_u32_u24_e32 v5, 7, v5
	v_sub_u32_e32 v5, v4, v5
	v_lshlrev_b32_e32 v4, 2, v5
	v_mad_u32_u24 v4, v0, 28, v4
	v_cmp_ne_u32_e32 vcc, 0, v5
	v_add_u32_e32 v0, -4, v4
	s_waitcnt vmcnt(0)
	ds_write_b32 v4, v3
	; wave barrier
	s_and_saveexec_b64 s[0:1], vcc
	s_cbranch_execz .LBB118_2
; %bb.1:
	ds_read_b32 v6, v0
	s_waitcnt lgkmcnt(0)
	v_add_f32_e32 v3, v3, v6
.LBB118_2:
	s_or_b64 exec, exec, s[0:1]
	; wave barrier
	s_and_saveexec_b64 s[0:1], vcc
; %bb.3:
	ds_write_b32 v4, v3
; %bb.4:
	s_or_b64 exec, exec, s[0:1]
	v_cmp_lt_u32_e64 s[0:1], 1, v5
	; wave barrier
	s_and_saveexec_b64 s[6:7], s[0:1]
	s_cbranch_execz .LBB118_6
; %bb.5:
	v_add_u32_e32 v6, -8, v4
	ds_read_b32 v6, v6
	s_waitcnt lgkmcnt(0)
	v_add_f32_e32 v3, v3, v6
.LBB118_6:
	s_or_b64 exec, exec, s[6:7]
	; wave barrier
	s_and_saveexec_b64 s[6:7], s[0:1]
; %bb.7:
	ds_write_b32 v4, v3
; %bb.8:
	s_or_b64 exec, exec, s[6:7]
	v_cmp_lt_u32_e64 s[0:1], 3, v5
	; wave barrier
	s_and_saveexec_b64 s[6:7], s[0:1]
	s_cbranch_execz .LBB118_10
; %bb.9:
	v_add_u32_e32 v5, -16, v4
	ds_read_b32 v5, v5
	s_waitcnt lgkmcnt(0)
	v_add_f32_e32 v3, v3, v5
.LBB118_10:
	s_or_b64 exec, exec, s[6:7]
	; wave barrier
	s_and_saveexec_b64 s[6:7], s[0:1]
; %bb.11:
	ds_write_b32 v4, v3
; %bb.12:
	s_or_b64 exec, exec, s[6:7]
	s_load_dword s4, s[4:5], 0x10
	; wave barrier
	s_waitcnt lgkmcnt(0)
	v_mov_b32_e32 v3, s4
	s_and_saveexec_b64 s[0:1], vcc
	s_cbranch_execz .LBB118_14
; %bb.13:
	ds_read_b32 v0, v0
	s_waitcnt lgkmcnt(0)
	v_add_f32_e32 v3, s4, v0
.LBB118_14:
	s_or_b64 exec, exec, s[0:1]
	v_mov_b32_e32 v4, s3
	v_add_co_u32_e32 v0, vcc, s2, v1
	v_addc_co_u32_e32 v1, vcc, v4, v2, vcc
	global_store_dword v[0:1], v3, off
	s_endpgm
	.section	.rodata,"a",@progbits
	.p2align	6, 0x0
	.amdhsa_kernel _Z26warp_exclusive_scan_kernelIfLj28ELj7EENSt9enable_ifIXsr10test_utilsE35device_test_enabled_for_warp_size_vIXT1_EEEvE4typeEPT_S4_S3_
		.amdhsa_group_segment_fixed_size 112
		.amdhsa_private_segment_fixed_size 0
		.amdhsa_kernarg_size 280
		.amdhsa_user_sgpr_count 6
		.amdhsa_user_sgpr_private_segment_buffer 1
		.amdhsa_user_sgpr_dispatch_ptr 0
		.amdhsa_user_sgpr_queue_ptr 0
		.amdhsa_user_sgpr_kernarg_segment_ptr 1
		.amdhsa_user_sgpr_dispatch_id 0
		.amdhsa_user_sgpr_flat_scratch_init 0
		.amdhsa_user_sgpr_private_segment_size 0
		.amdhsa_uses_dynamic_stack 0
		.amdhsa_system_sgpr_private_segment_wavefront_offset 0
		.amdhsa_system_sgpr_workgroup_id_x 1
		.amdhsa_system_sgpr_workgroup_id_y 0
		.amdhsa_system_sgpr_workgroup_id_z 0
		.amdhsa_system_sgpr_workgroup_info 0
		.amdhsa_system_vgpr_workitem_id 0
		.amdhsa_next_free_vgpr 7
		.amdhsa_next_free_sgpr 8
		.amdhsa_reserve_vcc 1
		.amdhsa_reserve_flat_scratch 0
		.amdhsa_float_round_mode_32 0
		.amdhsa_float_round_mode_16_64 0
		.amdhsa_float_denorm_mode_32 3
		.amdhsa_float_denorm_mode_16_64 3
		.amdhsa_dx10_clamp 1
		.amdhsa_ieee_mode 1
		.amdhsa_fp16_overflow 0
		.amdhsa_exception_fp_ieee_invalid_op 0
		.amdhsa_exception_fp_denorm_src 0
		.amdhsa_exception_fp_ieee_div_zero 0
		.amdhsa_exception_fp_ieee_overflow 0
		.amdhsa_exception_fp_ieee_underflow 0
		.amdhsa_exception_fp_ieee_inexact 0
		.amdhsa_exception_int_div_zero 0
	.end_amdhsa_kernel
	.section	.text._Z26warp_exclusive_scan_kernelIfLj28ELj7EENSt9enable_ifIXsr10test_utilsE35device_test_enabled_for_warp_size_vIXT1_EEEvE4typeEPT_S4_S3_,"axG",@progbits,_Z26warp_exclusive_scan_kernelIfLj28ELj7EENSt9enable_ifIXsr10test_utilsE35device_test_enabled_for_warp_size_vIXT1_EEEvE4typeEPT_S4_S3_,comdat
.Lfunc_end118:
	.size	_Z26warp_exclusive_scan_kernelIfLj28ELj7EENSt9enable_ifIXsr10test_utilsE35device_test_enabled_for_warp_size_vIXT1_EEEvE4typeEPT_S4_S3_, .Lfunc_end118-_Z26warp_exclusive_scan_kernelIfLj28ELj7EENSt9enable_ifIXsr10test_utilsE35device_test_enabled_for_warp_size_vIXT1_EEEvE4typeEPT_S4_S3_
                                        ; -- End function
	.set _Z26warp_exclusive_scan_kernelIfLj28ELj7EENSt9enable_ifIXsr10test_utilsE35device_test_enabled_for_warp_size_vIXT1_EEEvE4typeEPT_S4_S3_.num_vgpr, 7
	.set _Z26warp_exclusive_scan_kernelIfLj28ELj7EENSt9enable_ifIXsr10test_utilsE35device_test_enabled_for_warp_size_vIXT1_EEEvE4typeEPT_S4_S3_.num_agpr, 0
	.set _Z26warp_exclusive_scan_kernelIfLj28ELj7EENSt9enable_ifIXsr10test_utilsE35device_test_enabled_for_warp_size_vIXT1_EEEvE4typeEPT_S4_S3_.numbered_sgpr, 8
	.set _Z26warp_exclusive_scan_kernelIfLj28ELj7EENSt9enable_ifIXsr10test_utilsE35device_test_enabled_for_warp_size_vIXT1_EEEvE4typeEPT_S4_S3_.num_named_barrier, 0
	.set _Z26warp_exclusive_scan_kernelIfLj28ELj7EENSt9enable_ifIXsr10test_utilsE35device_test_enabled_for_warp_size_vIXT1_EEEvE4typeEPT_S4_S3_.private_seg_size, 0
	.set _Z26warp_exclusive_scan_kernelIfLj28ELj7EENSt9enable_ifIXsr10test_utilsE35device_test_enabled_for_warp_size_vIXT1_EEEvE4typeEPT_S4_S3_.uses_vcc, 1
	.set _Z26warp_exclusive_scan_kernelIfLj28ELj7EENSt9enable_ifIXsr10test_utilsE35device_test_enabled_for_warp_size_vIXT1_EEEvE4typeEPT_S4_S3_.uses_flat_scratch, 0
	.set _Z26warp_exclusive_scan_kernelIfLj28ELj7EENSt9enable_ifIXsr10test_utilsE35device_test_enabled_for_warp_size_vIXT1_EEEvE4typeEPT_S4_S3_.has_dyn_sized_stack, 0
	.set _Z26warp_exclusive_scan_kernelIfLj28ELj7EENSt9enable_ifIXsr10test_utilsE35device_test_enabled_for_warp_size_vIXT1_EEEvE4typeEPT_S4_S3_.has_recursion, 0
	.set _Z26warp_exclusive_scan_kernelIfLj28ELj7EENSt9enable_ifIXsr10test_utilsE35device_test_enabled_for_warp_size_vIXT1_EEEvE4typeEPT_S4_S3_.has_indirect_call, 0
	.section	.AMDGPU.csdata,"",@progbits
; Kernel info:
; codeLenInByte = 376
; TotalNumSgprs: 12
; NumVgprs: 7
; ScratchSize: 0
; MemoryBound: 0
; FloatMode: 240
; IeeeMode: 1
; LDSByteSize: 112 bytes/workgroup (compile time only)
; SGPRBlocks: 1
; VGPRBlocks: 1
; NumSGPRsForWavesPerEU: 12
; NumVGPRsForWavesPerEU: 7
; Occupancy: 10
; WaveLimiterHint : 0
; COMPUTE_PGM_RSRC2:SCRATCH_EN: 0
; COMPUTE_PGM_RSRC2:USER_SGPR: 6
; COMPUTE_PGM_RSRC2:TRAP_HANDLER: 0
; COMPUTE_PGM_RSRC2:TGID_X_EN: 1
; COMPUTE_PGM_RSRC2:TGID_Y_EN: 0
; COMPUTE_PGM_RSRC2:TGID_Z_EN: 0
; COMPUTE_PGM_RSRC2:TIDIG_COMP_CNT: 0
	.section	.text._Z26warp_exclusive_scan_kernelIfLj63ELj7EENSt9enable_ifIXsr10test_utilsE35device_test_enabled_for_warp_size_vIXT1_EEEvE4typeEPT_S4_S3_,"axG",@progbits,_Z26warp_exclusive_scan_kernelIfLj63ELj7EENSt9enable_ifIXsr10test_utilsE35device_test_enabled_for_warp_size_vIXT1_EEEvE4typeEPT_S4_S3_,comdat
	.protected	_Z26warp_exclusive_scan_kernelIfLj63ELj7EENSt9enable_ifIXsr10test_utilsE35device_test_enabled_for_warp_size_vIXT1_EEEvE4typeEPT_S4_S3_ ; -- Begin function _Z26warp_exclusive_scan_kernelIfLj63ELj7EENSt9enable_ifIXsr10test_utilsE35device_test_enabled_for_warp_size_vIXT1_EEEvE4typeEPT_S4_S3_
	.globl	_Z26warp_exclusive_scan_kernelIfLj63ELj7EENSt9enable_ifIXsr10test_utilsE35device_test_enabled_for_warp_size_vIXT1_EEEvE4typeEPT_S4_S3_
	.p2align	8
	.type	_Z26warp_exclusive_scan_kernelIfLj63ELj7EENSt9enable_ifIXsr10test_utilsE35device_test_enabled_for_warp_size_vIXT1_EEEvE4typeEPT_S4_S3_,@function
_Z26warp_exclusive_scan_kernelIfLj63ELj7EENSt9enable_ifIXsr10test_utilsE35device_test_enabled_for_warp_size_vIXT1_EEEvE4typeEPT_S4_S3_: ; @_Z26warp_exclusive_scan_kernelIfLj63ELj7EENSt9enable_ifIXsr10test_utilsE35device_test_enabled_for_warp_size_vIXT1_EEEvE4typeEPT_S4_S3_
; %bb.0:
	s_load_dword s7, s[4:5], 0x24
	s_load_dwordx4 s[0:3], s[4:5], 0x0
	v_mov_b32_e32 v2, 0
	s_waitcnt lgkmcnt(0)
	s_and_b32 s7, s7, 0xffff
	s_mul_i32 s6, s6, s7
	v_add_u32_e32 v1, s6, v0
	v_lshlrev_b64 v[1:2], 2, v[1:2]
	v_mov_b32_e32 v4, s1
	v_add_co_u32_e32 v3, vcc, s0, v1
	v_addc_co_u32_e32 v4, vcc, v4, v2, vcc
	global_load_dword v3, v[3:4], off
	v_mbcnt_lo_u32_b32 v4, -1, 0
	s_mov_b32 s0, 0x24924925
	v_mbcnt_hi_u32_b32 v4, -1, v4
	v_mul_hi_u32 v5, v4, s0
	v_mul_u32_u24_e32 v0, 0x2493, v0
	v_lshrrev_b32_e32 v0, 16, v0
	v_mul_u32_u24_e32 v5, 7, v5
	v_sub_u32_e32 v5, v4, v5
	v_lshlrev_b32_e32 v4, 2, v5
	v_mad_u32_u24 v4, v0, 28, v4
	v_cmp_ne_u32_e32 vcc, 0, v5
	v_add_u32_e32 v0, -4, v4
	s_waitcnt vmcnt(0)
	ds_write_b32 v4, v3
	; wave barrier
	s_and_saveexec_b64 s[0:1], vcc
	s_cbranch_execz .LBB119_2
; %bb.1:
	ds_read_b32 v6, v0
	s_waitcnt lgkmcnt(0)
	v_add_f32_e32 v3, v3, v6
.LBB119_2:
	s_or_b64 exec, exec, s[0:1]
	; wave barrier
	s_and_saveexec_b64 s[0:1], vcc
; %bb.3:
	ds_write_b32 v4, v3
; %bb.4:
	s_or_b64 exec, exec, s[0:1]
	v_cmp_lt_u32_e64 s[0:1], 1, v5
	; wave barrier
	s_and_saveexec_b64 s[6:7], s[0:1]
	s_cbranch_execz .LBB119_6
; %bb.5:
	v_add_u32_e32 v6, -8, v4
	ds_read_b32 v6, v6
	s_waitcnt lgkmcnt(0)
	v_add_f32_e32 v3, v3, v6
.LBB119_6:
	s_or_b64 exec, exec, s[6:7]
	; wave barrier
	s_and_saveexec_b64 s[6:7], s[0:1]
; %bb.7:
	ds_write_b32 v4, v3
; %bb.8:
	s_or_b64 exec, exec, s[6:7]
	v_cmp_lt_u32_e64 s[0:1], 3, v5
	; wave barrier
	s_and_saveexec_b64 s[6:7], s[0:1]
	s_cbranch_execz .LBB119_10
; %bb.9:
	v_add_u32_e32 v5, -16, v4
	ds_read_b32 v5, v5
	s_waitcnt lgkmcnt(0)
	v_add_f32_e32 v3, v3, v5
.LBB119_10:
	s_or_b64 exec, exec, s[6:7]
	; wave barrier
	s_and_saveexec_b64 s[6:7], s[0:1]
; %bb.11:
	ds_write_b32 v4, v3
; %bb.12:
	s_or_b64 exec, exec, s[6:7]
	s_load_dword s4, s[4:5], 0x10
	; wave barrier
	s_waitcnt lgkmcnt(0)
	v_mov_b32_e32 v3, s4
	s_and_saveexec_b64 s[0:1], vcc
	s_cbranch_execz .LBB119_14
; %bb.13:
	ds_read_b32 v0, v0
	s_waitcnt lgkmcnt(0)
	v_add_f32_e32 v3, s4, v0
.LBB119_14:
	s_or_b64 exec, exec, s[0:1]
	v_mov_b32_e32 v4, s3
	v_add_co_u32_e32 v0, vcc, s2, v1
	v_addc_co_u32_e32 v1, vcc, v4, v2, vcc
	global_store_dword v[0:1], v3, off
	s_endpgm
	.section	.rodata,"a",@progbits
	.p2align	6, 0x0
	.amdhsa_kernel _Z26warp_exclusive_scan_kernelIfLj63ELj7EENSt9enable_ifIXsr10test_utilsE35device_test_enabled_for_warp_size_vIXT1_EEEvE4typeEPT_S4_S3_
		.amdhsa_group_segment_fixed_size 252
		.amdhsa_private_segment_fixed_size 0
		.amdhsa_kernarg_size 280
		.amdhsa_user_sgpr_count 6
		.amdhsa_user_sgpr_private_segment_buffer 1
		.amdhsa_user_sgpr_dispatch_ptr 0
		.amdhsa_user_sgpr_queue_ptr 0
		.amdhsa_user_sgpr_kernarg_segment_ptr 1
		.amdhsa_user_sgpr_dispatch_id 0
		.amdhsa_user_sgpr_flat_scratch_init 0
		.amdhsa_user_sgpr_private_segment_size 0
		.amdhsa_uses_dynamic_stack 0
		.amdhsa_system_sgpr_private_segment_wavefront_offset 0
		.amdhsa_system_sgpr_workgroup_id_x 1
		.amdhsa_system_sgpr_workgroup_id_y 0
		.amdhsa_system_sgpr_workgroup_id_z 0
		.amdhsa_system_sgpr_workgroup_info 0
		.amdhsa_system_vgpr_workitem_id 0
		.amdhsa_next_free_vgpr 7
		.amdhsa_next_free_sgpr 8
		.amdhsa_reserve_vcc 1
		.amdhsa_reserve_flat_scratch 0
		.amdhsa_float_round_mode_32 0
		.amdhsa_float_round_mode_16_64 0
		.amdhsa_float_denorm_mode_32 3
		.amdhsa_float_denorm_mode_16_64 3
		.amdhsa_dx10_clamp 1
		.amdhsa_ieee_mode 1
		.amdhsa_fp16_overflow 0
		.amdhsa_exception_fp_ieee_invalid_op 0
		.amdhsa_exception_fp_denorm_src 0
		.amdhsa_exception_fp_ieee_div_zero 0
		.amdhsa_exception_fp_ieee_overflow 0
		.amdhsa_exception_fp_ieee_underflow 0
		.amdhsa_exception_fp_ieee_inexact 0
		.amdhsa_exception_int_div_zero 0
	.end_amdhsa_kernel
	.section	.text._Z26warp_exclusive_scan_kernelIfLj63ELj7EENSt9enable_ifIXsr10test_utilsE35device_test_enabled_for_warp_size_vIXT1_EEEvE4typeEPT_S4_S3_,"axG",@progbits,_Z26warp_exclusive_scan_kernelIfLj63ELj7EENSt9enable_ifIXsr10test_utilsE35device_test_enabled_for_warp_size_vIXT1_EEEvE4typeEPT_S4_S3_,comdat
.Lfunc_end119:
	.size	_Z26warp_exclusive_scan_kernelIfLj63ELj7EENSt9enable_ifIXsr10test_utilsE35device_test_enabled_for_warp_size_vIXT1_EEEvE4typeEPT_S4_S3_, .Lfunc_end119-_Z26warp_exclusive_scan_kernelIfLj63ELj7EENSt9enable_ifIXsr10test_utilsE35device_test_enabled_for_warp_size_vIXT1_EEEvE4typeEPT_S4_S3_
                                        ; -- End function
	.set _Z26warp_exclusive_scan_kernelIfLj63ELj7EENSt9enable_ifIXsr10test_utilsE35device_test_enabled_for_warp_size_vIXT1_EEEvE4typeEPT_S4_S3_.num_vgpr, 7
	.set _Z26warp_exclusive_scan_kernelIfLj63ELj7EENSt9enable_ifIXsr10test_utilsE35device_test_enabled_for_warp_size_vIXT1_EEEvE4typeEPT_S4_S3_.num_agpr, 0
	.set _Z26warp_exclusive_scan_kernelIfLj63ELj7EENSt9enable_ifIXsr10test_utilsE35device_test_enabled_for_warp_size_vIXT1_EEEvE4typeEPT_S4_S3_.numbered_sgpr, 8
	.set _Z26warp_exclusive_scan_kernelIfLj63ELj7EENSt9enable_ifIXsr10test_utilsE35device_test_enabled_for_warp_size_vIXT1_EEEvE4typeEPT_S4_S3_.num_named_barrier, 0
	.set _Z26warp_exclusive_scan_kernelIfLj63ELj7EENSt9enable_ifIXsr10test_utilsE35device_test_enabled_for_warp_size_vIXT1_EEEvE4typeEPT_S4_S3_.private_seg_size, 0
	.set _Z26warp_exclusive_scan_kernelIfLj63ELj7EENSt9enable_ifIXsr10test_utilsE35device_test_enabled_for_warp_size_vIXT1_EEEvE4typeEPT_S4_S3_.uses_vcc, 1
	.set _Z26warp_exclusive_scan_kernelIfLj63ELj7EENSt9enable_ifIXsr10test_utilsE35device_test_enabled_for_warp_size_vIXT1_EEEvE4typeEPT_S4_S3_.uses_flat_scratch, 0
	.set _Z26warp_exclusive_scan_kernelIfLj63ELj7EENSt9enable_ifIXsr10test_utilsE35device_test_enabled_for_warp_size_vIXT1_EEEvE4typeEPT_S4_S3_.has_dyn_sized_stack, 0
	.set _Z26warp_exclusive_scan_kernelIfLj63ELj7EENSt9enable_ifIXsr10test_utilsE35device_test_enabled_for_warp_size_vIXT1_EEEvE4typeEPT_S4_S3_.has_recursion, 0
	.set _Z26warp_exclusive_scan_kernelIfLj63ELj7EENSt9enable_ifIXsr10test_utilsE35device_test_enabled_for_warp_size_vIXT1_EEEvE4typeEPT_S4_S3_.has_indirect_call, 0
	.section	.AMDGPU.csdata,"",@progbits
; Kernel info:
; codeLenInByte = 376
; TotalNumSgprs: 12
; NumVgprs: 7
; ScratchSize: 0
; MemoryBound: 0
; FloatMode: 240
; IeeeMode: 1
; LDSByteSize: 252 bytes/workgroup (compile time only)
; SGPRBlocks: 1
; VGPRBlocks: 1
; NumSGPRsForWavesPerEU: 12
; NumVGPRsForWavesPerEU: 7
; Occupancy: 10
; WaveLimiterHint : 0
; COMPUTE_PGM_RSRC2:SCRATCH_EN: 0
; COMPUTE_PGM_RSRC2:USER_SGPR: 6
; COMPUTE_PGM_RSRC2:TRAP_HANDLER: 0
; COMPUTE_PGM_RSRC2:TGID_X_EN: 1
; COMPUTE_PGM_RSRC2:TGID_Y_EN: 0
; COMPUTE_PGM_RSRC2:TGID_Z_EN: 0
; COMPUTE_PGM_RSRC2:TIDIG_COMP_CNT: 0
	.section	.text._Z26warp_exclusive_scan_kernelIfLj30ELj3EENSt9enable_ifIXsr10test_utilsE35device_test_enabled_for_warp_size_vIXT1_EEEvE4typeEPT_S4_S3_,"axG",@progbits,_Z26warp_exclusive_scan_kernelIfLj30ELj3EENSt9enable_ifIXsr10test_utilsE35device_test_enabled_for_warp_size_vIXT1_EEEvE4typeEPT_S4_S3_,comdat
	.protected	_Z26warp_exclusive_scan_kernelIfLj30ELj3EENSt9enable_ifIXsr10test_utilsE35device_test_enabled_for_warp_size_vIXT1_EEEvE4typeEPT_S4_S3_ ; -- Begin function _Z26warp_exclusive_scan_kernelIfLj30ELj3EENSt9enable_ifIXsr10test_utilsE35device_test_enabled_for_warp_size_vIXT1_EEEvE4typeEPT_S4_S3_
	.globl	_Z26warp_exclusive_scan_kernelIfLj30ELj3EENSt9enable_ifIXsr10test_utilsE35device_test_enabled_for_warp_size_vIXT1_EEEvE4typeEPT_S4_S3_
	.p2align	8
	.type	_Z26warp_exclusive_scan_kernelIfLj30ELj3EENSt9enable_ifIXsr10test_utilsE35device_test_enabled_for_warp_size_vIXT1_EEEvE4typeEPT_S4_S3_,@function
_Z26warp_exclusive_scan_kernelIfLj30ELj3EENSt9enable_ifIXsr10test_utilsE35device_test_enabled_for_warp_size_vIXT1_EEEvE4typeEPT_S4_S3_: ; @_Z26warp_exclusive_scan_kernelIfLj30ELj3EENSt9enable_ifIXsr10test_utilsE35device_test_enabled_for_warp_size_vIXT1_EEEvE4typeEPT_S4_S3_
; %bb.0:
	s_load_dword s7, s[4:5], 0x24
	s_load_dwordx4 s[0:3], s[4:5], 0x0
	v_mov_b32_e32 v2, 0
	s_waitcnt lgkmcnt(0)
	s_and_b32 s7, s7, 0xffff
	s_mul_i32 s6, s6, s7
	v_add_u32_e32 v1, s6, v0
	v_lshlrev_b64 v[1:2], 2, v[1:2]
	v_mov_b32_e32 v4, s1
	v_add_co_u32_e32 v3, vcc, s0, v1
	v_addc_co_u32_e32 v4, vcc, v4, v2, vcc
	global_load_dword v3, v[3:4], off
	v_mbcnt_lo_u32_b32 v4, -1, 0
	s_mov_b32 s0, 0x55555556
	v_mbcnt_hi_u32_b32 v4, -1, v4
	v_mul_hi_u32 v5, v4, s0
	v_mul_u32_u24_e32 v0, 0x5556, v0
	v_lshrrev_b32_e32 v6, 16, v0
	v_mul_u32_u24_e32 v0, 3, v5
	v_sub_u32_e32 v5, v4, v0
	v_lshlrev_b32_e32 v0, 2, v5
	v_mad_u32_u24 v4, v6, 12, v0
	v_cmp_ne_u32_e32 vcc, 0, v5
	v_add_u32_e32 v0, -4, v4
	s_waitcnt vmcnt(0)
	ds_write_b32 v4, v3
	; wave barrier
	s_and_saveexec_b64 s[0:1], vcc
	s_cbranch_execz .LBB120_2
; %bb.1:
	ds_read_b32 v7, v0
	s_waitcnt lgkmcnt(0)
	v_add_f32_e32 v3, v3, v7
.LBB120_2:
	s_or_b64 exec, exec, s[0:1]
	v_mul_u32_u24_e32 v6, 12, v6
	; wave barrier
	s_and_saveexec_b64 s[0:1], vcc
; %bb.3:
	ds_write_b32 v4, v3
; %bb.4:
	s_or_b64 exec, exec, s[0:1]
	; wave barrier
	ds_read_b32 v6, v6
	v_cmp_lt_u32_e64 s[0:1], 1, v5
	; wave barrier
	s_and_saveexec_b64 s[6:7], s[0:1]
	s_cbranch_execz .LBB120_6
; %bb.5:
	s_waitcnt lgkmcnt(0)
	v_add_f32_e32 v3, v3, v6
	ds_write_b32 v4, v3
.LBB120_6:
	s_or_b64 exec, exec, s[6:7]
	s_load_dword s4, s[4:5], 0x10
	; wave barrier
	s_waitcnt lgkmcnt(0)
	v_mov_b32_e32 v3, s4
	s_and_saveexec_b64 s[0:1], vcc
	s_cbranch_execz .LBB120_8
; %bb.7:
	ds_read_b32 v0, v0
	s_waitcnt lgkmcnt(0)
	v_add_f32_e32 v3, s4, v0
.LBB120_8:
	s_or_b64 exec, exec, s[0:1]
	v_mov_b32_e32 v4, s3
	v_add_co_u32_e32 v0, vcc, s2, v1
	v_addc_co_u32_e32 v1, vcc, v4, v2, vcc
	global_store_dword v[0:1], v3, off
	s_endpgm
	.section	.rodata,"a",@progbits
	.p2align	6, 0x0
	.amdhsa_kernel _Z26warp_exclusive_scan_kernelIfLj30ELj3EENSt9enable_ifIXsr10test_utilsE35device_test_enabled_for_warp_size_vIXT1_EEEvE4typeEPT_S4_S3_
		.amdhsa_group_segment_fixed_size 120
		.amdhsa_private_segment_fixed_size 0
		.amdhsa_kernarg_size 280
		.amdhsa_user_sgpr_count 6
		.amdhsa_user_sgpr_private_segment_buffer 1
		.amdhsa_user_sgpr_dispatch_ptr 0
		.amdhsa_user_sgpr_queue_ptr 0
		.amdhsa_user_sgpr_kernarg_segment_ptr 1
		.amdhsa_user_sgpr_dispatch_id 0
		.amdhsa_user_sgpr_flat_scratch_init 0
		.amdhsa_user_sgpr_private_segment_size 0
		.amdhsa_uses_dynamic_stack 0
		.amdhsa_system_sgpr_private_segment_wavefront_offset 0
		.amdhsa_system_sgpr_workgroup_id_x 1
		.amdhsa_system_sgpr_workgroup_id_y 0
		.amdhsa_system_sgpr_workgroup_id_z 0
		.amdhsa_system_sgpr_workgroup_info 0
		.amdhsa_system_vgpr_workitem_id 0
		.amdhsa_next_free_vgpr 8
		.amdhsa_next_free_sgpr 8
		.amdhsa_reserve_vcc 1
		.amdhsa_reserve_flat_scratch 0
		.amdhsa_float_round_mode_32 0
		.amdhsa_float_round_mode_16_64 0
		.amdhsa_float_denorm_mode_32 3
		.amdhsa_float_denorm_mode_16_64 3
		.amdhsa_dx10_clamp 1
		.amdhsa_ieee_mode 1
		.amdhsa_fp16_overflow 0
		.amdhsa_exception_fp_ieee_invalid_op 0
		.amdhsa_exception_fp_denorm_src 0
		.amdhsa_exception_fp_ieee_div_zero 0
		.amdhsa_exception_fp_ieee_overflow 0
		.amdhsa_exception_fp_ieee_underflow 0
		.amdhsa_exception_fp_ieee_inexact 0
		.amdhsa_exception_int_div_zero 0
	.end_amdhsa_kernel
	.section	.text._Z26warp_exclusive_scan_kernelIfLj30ELj3EENSt9enable_ifIXsr10test_utilsE35device_test_enabled_for_warp_size_vIXT1_EEEvE4typeEPT_S4_S3_,"axG",@progbits,_Z26warp_exclusive_scan_kernelIfLj30ELj3EENSt9enable_ifIXsr10test_utilsE35device_test_enabled_for_warp_size_vIXT1_EEEvE4typeEPT_S4_S3_,comdat
.Lfunc_end120:
	.size	_Z26warp_exclusive_scan_kernelIfLj30ELj3EENSt9enable_ifIXsr10test_utilsE35device_test_enabled_for_warp_size_vIXT1_EEEvE4typeEPT_S4_S3_, .Lfunc_end120-_Z26warp_exclusive_scan_kernelIfLj30ELj3EENSt9enable_ifIXsr10test_utilsE35device_test_enabled_for_warp_size_vIXT1_EEEvE4typeEPT_S4_S3_
                                        ; -- End function
	.set _Z26warp_exclusive_scan_kernelIfLj30ELj3EENSt9enable_ifIXsr10test_utilsE35device_test_enabled_for_warp_size_vIXT1_EEEvE4typeEPT_S4_S3_.num_vgpr, 8
	.set _Z26warp_exclusive_scan_kernelIfLj30ELj3EENSt9enable_ifIXsr10test_utilsE35device_test_enabled_for_warp_size_vIXT1_EEEvE4typeEPT_S4_S3_.num_agpr, 0
	.set _Z26warp_exclusive_scan_kernelIfLj30ELj3EENSt9enable_ifIXsr10test_utilsE35device_test_enabled_for_warp_size_vIXT1_EEEvE4typeEPT_S4_S3_.numbered_sgpr, 8
	.set _Z26warp_exclusive_scan_kernelIfLj30ELj3EENSt9enable_ifIXsr10test_utilsE35device_test_enabled_for_warp_size_vIXT1_EEEvE4typeEPT_S4_S3_.num_named_barrier, 0
	.set _Z26warp_exclusive_scan_kernelIfLj30ELj3EENSt9enable_ifIXsr10test_utilsE35device_test_enabled_for_warp_size_vIXT1_EEEvE4typeEPT_S4_S3_.private_seg_size, 0
	.set _Z26warp_exclusive_scan_kernelIfLj30ELj3EENSt9enable_ifIXsr10test_utilsE35device_test_enabled_for_warp_size_vIXT1_EEEvE4typeEPT_S4_S3_.uses_vcc, 1
	.set _Z26warp_exclusive_scan_kernelIfLj30ELj3EENSt9enable_ifIXsr10test_utilsE35device_test_enabled_for_warp_size_vIXT1_EEEvE4typeEPT_S4_S3_.uses_flat_scratch, 0
	.set _Z26warp_exclusive_scan_kernelIfLj30ELj3EENSt9enable_ifIXsr10test_utilsE35device_test_enabled_for_warp_size_vIXT1_EEEvE4typeEPT_S4_S3_.has_dyn_sized_stack, 0
	.set _Z26warp_exclusive_scan_kernelIfLj30ELj3EENSt9enable_ifIXsr10test_utilsE35device_test_enabled_for_warp_size_vIXT1_EEEvE4typeEPT_S4_S3_.has_recursion, 0
	.set _Z26warp_exclusive_scan_kernelIfLj30ELj3EENSt9enable_ifIXsr10test_utilsE35device_test_enabled_for_warp_size_vIXT1_EEEvE4typeEPT_S4_S3_.has_indirect_call, 0
	.section	.AMDGPU.csdata,"",@progbits
; Kernel info:
; codeLenInByte = 312
; TotalNumSgprs: 12
; NumVgprs: 8
; ScratchSize: 0
; MemoryBound: 0
; FloatMode: 240
; IeeeMode: 1
; LDSByteSize: 120 bytes/workgroup (compile time only)
; SGPRBlocks: 1
; VGPRBlocks: 1
; NumSGPRsForWavesPerEU: 12
; NumVGPRsForWavesPerEU: 8
; Occupancy: 10
; WaveLimiterHint : 0
; COMPUTE_PGM_RSRC2:SCRATCH_EN: 0
; COMPUTE_PGM_RSRC2:USER_SGPR: 6
; COMPUTE_PGM_RSRC2:TRAP_HANDLER: 0
; COMPUTE_PGM_RSRC2:TGID_X_EN: 1
; COMPUTE_PGM_RSRC2:TGID_Y_EN: 0
; COMPUTE_PGM_RSRC2:TGID_Z_EN: 0
; COMPUTE_PGM_RSRC2:TIDIG_COMP_CNT: 0
	.section	.text._Z26warp_exclusive_scan_kernelIfLj63ELj3EENSt9enable_ifIXsr10test_utilsE35device_test_enabled_for_warp_size_vIXT1_EEEvE4typeEPT_S4_S3_,"axG",@progbits,_Z26warp_exclusive_scan_kernelIfLj63ELj3EENSt9enable_ifIXsr10test_utilsE35device_test_enabled_for_warp_size_vIXT1_EEEvE4typeEPT_S4_S3_,comdat
	.protected	_Z26warp_exclusive_scan_kernelIfLj63ELj3EENSt9enable_ifIXsr10test_utilsE35device_test_enabled_for_warp_size_vIXT1_EEEvE4typeEPT_S4_S3_ ; -- Begin function _Z26warp_exclusive_scan_kernelIfLj63ELj3EENSt9enable_ifIXsr10test_utilsE35device_test_enabled_for_warp_size_vIXT1_EEEvE4typeEPT_S4_S3_
	.globl	_Z26warp_exclusive_scan_kernelIfLj63ELj3EENSt9enable_ifIXsr10test_utilsE35device_test_enabled_for_warp_size_vIXT1_EEEvE4typeEPT_S4_S3_
	.p2align	8
	.type	_Z26warp_exclusive_scan_kernelIfLj63ELj3EENSt9enable_ifIXsr10test_utilsE35device_test_enabled_for_warp_size_vIXT1_EEEvE4typeEPT_S4_S3_,@function
_Z26warp_exclusive_scan_kernelIfLj63ELj3EENSt9enable_ifIXsr10test_utilsE35device_test_enabled_for_warp_size_vIXT1_EEEvE4typeEPT_S4_S3_: ; @_Z26warp_exclusive_scan_kernelIfLj63ELj3EENSt9enable_ifIXsr10test_utilsE35device_test_enabled_for_warp_size_vIXT1_EEEvE4typeEPT_S4_S3_
; %bb.0:
	s_load_dword s7, s[4:5], 0x24
	s_load_dwordx4 s[0:3], s[4:5], 0x0
	v_mov_b32_e32 v2, 0
	s_waitcnt lgkmcnt(0)
	s_and_b32 s7, s7, 0xffff
	s_mul_i32 s6, s6, s7
	v_add_u32_e32 v1, s6, v0
	v_lshlrev_b64 v[1:2], 2, v[1:2]
	v_mov_b32_e32 v4, s1
	v_add_co_u32_e32 v3, vcc, s0, v1
	v_addc_co_u32_e32 v4, vcc, v4, v2, vcc
	global_load_dword v3, v[3:4], off
	v_mbcnt_lo_u32_b32 v4, -1, 0
	s_mov_b32 s0, 0x55555556
	v_mbcnt_hi_u32_b32 v4, -1, v4
	v_mul_hi_u32 v5, v4, s0
	v_mul_u32_u24_e32 v0, 0x5556, v0
	v_lshrrev_b32_e32 v6, 16, v0
	v_mul_u32_u24_e32 v0, 3, v5
	v_sub_u32_e32 v5, v4, v0
	v_lshlrev_b32_e32 v0, 2, v5
	v_mad_u32_u24 v4, v6, 12, v0
	v_cmp_ne_u32_e32 vcc, 0, v5
	v_add_u32_e32 v0, -4, v4
	s_waitcnt vmcnt(0)
	ds_write_b32 v4, v3
	; wave barrier
	s_and_saveexec_b64 s[0:1], vcc
	s_cbranch_execz .LBB121_2
; %bb.1:
	ds_read_b32 v7, v0
	s_waitcnt lgkmcnt(0)
	v_add_f32_e32 v3, v3, v7
.LBB121_2:
	s_or_b64 exec, exec, s[0:1]
	v_mul_u32_u24_e32 v6, 12, v6
	; wave barrier
	s_and_saveexec_b64 s[0:1], vcc
; %bb.3:
	ds_write_b32 v4, v3
; %bb.4:
	s_or_b64 exec, exec, s[0:1]
	; wave barrier
	ds_read_b32 v6, v6
	v_cmp_lt_u32_e64 s[0:1], 1, v5
	; wave barrier
	s_and_saveexec_b64 s[6:7], s[0:1]
	s_cbranch_execz .LBB121_6
; %bb.5:
	s_waitcnt lgkmcnt(0)
	v_add_f32_e32 v3, v3, v6
	ds_write_b32 v4, v3
.LBB121_6:
	s_or_b64 exec, exec, s[6:7]
	s_load_dword s4, s[4:5], 0x10
	; wave barrier
	s_waitcnt lgkmcnt(0)
	v_mov_b32_e32 v3, s4
	s_and_saveexec_b64 s[0:1], vcc
	s_cbranch_execz .LBB121_8
; %bb.7:
	ds_read_b32 v0, v0
	s_waitcnt lgkmcnt(0)
	v_add_f32_e32 v3, s4, v0
.LBB121_8:
	s_or_b64 exec, exec, s[0:1]
	v_mov_b32_e32 v4, s3
	v_add_co_u32_e32 v0, vcc, s2, v1
	v_addc_co_u32_e32 v1, vcc, v4, v2, vcc
	global_store_dword v[0:1], v3, off
	s_endpgm
	.section	.rodata,"a",@progbits
	.p2align	6, 0x0
	.amdhsa_kernel _Z26warp_exclusive_scan_kernelIfLj63ELj3EENSt9enable_ifIXsr10test_utilsE35device_test_enabled_for_warp_size_vIXT1_EEEvE4typeEPT_S4_S3_
		.amdhsa_group_segment_fixed_size 252
		.amdhsa_private_segment_fixed_size 0
		.amdhsa_kernarg_size 280
		.amdhsa_user_sgpr_count 6
		.amdhsa_user_sgpr_private_segment_buffer 1
		.amdhsa_user_sgpr_dispatch_ptr 0
		.amdhsa_user_sgpr_queue_ptr 0
		.amdhsa_user_sgpr_kernarg_segment_ptr 1
		.amdhsa_user_sgpr_dispatch_id 0
		.amdhsa_user_sgpr_flat_scratch_init 0
		.amdhsa_user_sgpr_private_segment_size 0
		.amdhsa_uses_dynamic_stack 0
		.amdhsa_system_sgpr_private_segment_wavefront_offset 0
		.amdhsa_system_sgpr_workgroup_id_x 1
		.amdhsa_system_sgpr_workgroup_id_y 0
		.amdhsa_system_sgpr_workgroup_id_z 0
		.amdhsa_system_sgpr_workgroup_info 0
		.amdhsa_system_vgpr_workitem_id 0
		.amdhsa_next_free_vgpr 8
		.amdhsa_next_free_sgpr 8
		.amdhsa_reserve_vcc 1
		.amdhsa_reserve_flat_scratch 0
		.amdhsa_float_round_mode_32 0
		.amdhsa_float_round_mode_16_64 0
		.amdhsa_float_denorm_mode_32 3
		.amdhsa_float_denorm_mode_16_64 3
		.amdhsa_dx10_clamp 1
		.amdhsa_ieee_mode 1
		.amdhsa_fp16_overflow 0
		.amdhsa_exception_fp_ieee_invalid_op 0
		.amdhsa_exception_fp_denorm_src 0
		.amdhsa_exception_fp_ieee_div_zero 0
		.amdhsa_exception_fp_ieee_overflow 0
		.amdhsa_exception_fp_ieee_underflow 0
		.amdhsa_exception_fp_ieee_inexact 0
		.amdhsa_exception_int_div_zero 0
	.end_amdhsa_kernel
	.section	.text._Z26warp_exclusive_scan_kernelIfLj63ELj3EENSt9enable_ifIXsr10test_utilsE35device_test_enabled_for_warp_size_vIXT1_EEEvE4typeEPT_S4_S3_,"axG",@progbits,_Z26warp_exclusive_scan_kernelIfLj63ELj3EENSt9enable_ifIXsr10test_utilsE35device_test_enabled_for_warp_size_vIXT1_EEEvE4typeEPT_S4_S3_,comdat
.Lfunc_end121:
	.size	_Z26warp_exclusive_scan_kernelIfLj63ELj3EENSt9enable_ifIXsr10test_utilsE35device_test_enabled_for_warp_size_vIXT1_EEEvE4typeEPT_S4_S3_, .Lfunc_end121-_Z26warp_exclusive_scan_kernelIfLj63ELj3EENSt9enable_ifIXsr10test_utilsE35device_test_enabled_for_warp_size_vIXT1_EEEvE4typeEPT_S4_S3_
                                        ; -- End function
	.set _Z26warp_exclusive_scan_kernelIfLj63ELj3EENSt9enable_ifIXsr10test_utilsE35device_test_enabled_for_warp_size_vIXT1_EEEvE4typeEPT_S4_S3_.num_vgpr, 8
	.set _Z26warp_exclusive_scan_kernelIfLj63ELj3EENSt9enable_ifIXsr10test_utilsE35device_test_enabled_for_warp_size_vIXT1_EEEvE4typeEPT_S4_S3_.num_agpr, 0
	.set _Z26warp_exclusive_scan_kernelIfLj63ELj3EENSt9enable_ifIXsr10test_utilsE35device_test_enabled_for_warp_size_vIXT1_EEEvE4typeEPT_S4_S3_.numbered_sgpr, 8
	.set _Z26warp_exclusive_scan_kernelIfLj63ELj3EENSt9enable_ifIXsr10test_utilsE35device_test_enabled_for_warp_size_vIXT1_EEEvE4typeEPT_S4_S3_.num_named_barrier, 0
	.set _Z26warp_exclusive_scan_kernelIfLj63ELj3EENSt9enable_ifIXsr10test_utilsE35device_test_enabled_for_warp_size_vIXT1_EEEvE4typeEPT_S4_S3_.private_seg_size, 0
	.set _Z26warp_exclusive_scan_kernelIfLj63ELj3EENSt9enable_ifIXsr10test_utilsE35device_test_enabled_for_warp_size_vIXT1_EEEvE4typeEPT_S4_S3_.uses_vcc, 1
	.set _Z26warp_exclusive_scan_kernelIfLj63ELj3EENSt9enable_ifIXsr10test_utilsE35device_test_enabled_for_warp_size_vIXT1_EEEvE4typeEPT_S4_S3_.uses_flat_scratch, 0
	.set _Z26warp_exclusive_scan_kernelIfLj63ELj3EENSt9enable_ifIXsr10test_utilsE35device_test_enabled_for_warp_size_vIXT1_EEEvE4typeEPT_S4_S3_.has_dyn_sized_stack, 0
	.set _Z26warp_exclusive_scan_kernelIfLj63ELj3EENSt9enable_ifIXsr10test_utilsE35device_test_enabled_for_warp_size_vIXT1_EEEvE4typeEPT_S4_S3_.has_recursion, 0
	.set _Z26warp_exclusive_scan_kernelIfLj63ELj3EENSt9enable_ifIXsr10test_utilsE35device_test_enabled_for_warp_size_vIXT1_EEEvE4typeEPT_S4_S3_.has_indirect_call, 0
	.section	.AMDGPU.csdata,"",@progbits
; Kernel info:
; codeLenInByte = 312
; TotalNumSgprs: 12
; NumVgprs: 8
; ScratchSize: 0
; MemoryBound: 0
; FloatMode: 240
; IeeeMode: 1
; LDSByteSize: 252 bytes/workgroup (compile time only)
; SGPRBlocks: 1
; VGPRBlocks: 1
; NumSGPRsForWavesPerEU: 12
; NumVGPRsForWavesPerEU: 8
; Occupancy: 10
; WaveLimiterHint : 0
; COMPUTE_PGM_RSRC2:SCRATCH_EN: 0
; COMPUTE_PGM_RSRC2:USER_SGPR: 6
; COMPUTE_PGM_RSRC2:TRAP_HANDLER: 0
; COMPUTE_PGM_RSRC2:TGID_X_EN: 1
; COMPUTE_PGM_RSRC2:TGID_Y_EN: 0
; COMPUTE_PGM_RSRC2:TGID_Z_EN: 0
; COMPUTE_PGM_RSRC2:TIDIG_COMP_CNT: 0
	.section	.text._Z26warp_exclusive_scan_kernelIiLj1ELj61EENSt9enable_ifIXsr10test_utilsE35device_test_enabled_for_warp_size_vIXT1_EEEvE4typeEPT_S4_S3_,"axG",@progbits,_Z26warp_exclusive_scan_kernelIiLj1ELj61EENSt9enable_ifIXsr10test_utilsE35device_test_enabled_for_warp_size_vIXT1_EEEvE4typeEPT_S4_S3_,comdat
	.protected	_Z26warp_exclusive_scan_kernelIiLj1ELj61EENSt9enable_ifIXsr10test_utilsE35device_test_enabled_for_warp_size_vIXT1_EEEvE4typeEPT_S4_S3_ ; -- Begin function _Z26warp_exclusive_scan_kernelIiLj1ELj61EENSt9enable_ifIXsr10test_utilsE35device_test_enabled_for_warp_size_vIXT1_EEEvE4typeEPT_S4_S3_
	.globl	_Z26warp_exclusive_scan_kernelIiLj1ELj61EENSt9enable_ifIXsr10test_utilsE35device_test_enabled_for_warp_size_vIXT1_EEEvE4typeEPT_S4_S3_
	.p2align	8
	.type	_Z26warp_exclusive_scan_kernelIiLj1ELj61EENSt9enable_ifIXsr10test_utilsE35device_test_enabled_for_warp_size_vIXT1_EEEvE4typeEPT_S4_S3_,@function
_Z26warp_exclusive_scan_kernelIiLj1ELj61EENSt9enable_ifIXsr10test_utilsE35device_test_enabled_for_warp_size_vIXT1_EEEvE4typeEPT_S4_S3_: ; @_Z26warp_exclusive_scan_kernelIiLj1ELj61EENSt9enable_ifIXsr10test_utilsE35device_test_enabled_for_warp_size_vIXT1_EEEvE4typeEPT_S4_S3_
; %bb.0:
	s_load_dword s8, s[4:5], 0x24
	s_load_dwordx4 s[0:3], s[4:5], 0x0
	s_mov_b32 s7, 0
	v_mbcnt_lo_u32_b32 v0, -1, 0
	v_mbcnt_hi_u32_b32 v0, -1, v0
	s_waitcnt lgkmcnt(0)
	s_and_b32 s8, s8, 0xffff
	s_mul_i32 s6, s6, s8
	s_lshl_b64 s[6:7], s[6:7], 2
	s_mov_b32 s8, 0x4325c54
	v_mul_hi_u32 v1, v0, s8
	s_add_u32 s0, s0, s6
	s_addc_u32 s1, s1, s7
	s_load_dword s8, s[0:1], 0x0
	v_mul_u32_u24_e32 v1, 61, v1
	v_sub_u32_e32 v0, v0, v1
	v_lshlrev_b32_e32 v1, 2, v0
	v_cmp_eq_u32_e64 s[0:1], 0, v0
	v_readfirstlane_b32 s10, v0
	s_waitcnt lgkmcnt(0)
	v_mov_b32_e32 v2, s8
	v_cmp_ne_u32_e32 vcc, 0, v0
	s_and_b64 s[0:1], s[0:1], exec
	v_add_u32_e32 v0, -4, v1
	ds_write_b32 v1, v2
	; wave barrier
	s_cbranch_scc1 .LBB122_2
; %bb.1:
	ds_read_b32 v2, v0
	s_waitcnt lgkmcnt(0)
	v_add_u32_e32 v2, s8, v2
	s_branch .LBB122_3
.LBB122_2:
	v_mov_b32_e32 v2, s8
.LBB122_3:
	v_cndmask_b32_e64 v3, 0, 1, vcc
	v_cmp_ne_u32_e64 s[0:1], 1, v3
	s_andn2_b64 vcc, exec, vcc
	; wave barrier
	s_cbranch_vccnz .LBB122_5
; %bb.4:
	ds_write_b32 v1, v2
.LBB122_5:
	s_cmp_gt_u32 s10, 1
	s_cselect_b64 s[8:9], -1, 0
	s_cmp_lt_u32 s10, 2
	; wave barrier
	s_cbranch_scc1 .LBB122_7
; %bb.6:
	v_add_u32_e32 v3, -8, v1
	ds_read_b32 v3, v3
	s_waitcnt lgkmcnt(0)
	v_add_u32_e32 v2, v3, v2
.LBB122_7:
	s_andn2_b64 vcc, exec, s[8:9]
	; wave barrier
	s_cbranch_vccnz .LBB122_9
; %bb.8:
	ds_write_b32 v1, v2
.LBB122_9:
	s_cmp_gt_u32 s10, 3
	s_cselect_b64 s[8:9], -1, 0
	s_cmp_lt_u32 s10, 4
	; wave barrier
	s_cbranch_scc1 .LBB122_11
; %bb.10:
	v_add_u32_e32 v3, -16, v1
	ds_read_b32 v3, v3
	s_waitcnt lgkmcnt(0)
	v_add_u32_e32 v2, v3, v2
.LBB122_11:
	s_andn2_b64 vcc, exec, s[8:9]
	; wave barrier
	s_cbranch_vccnz .LBB122_13
; %bb.12:
	ds_write_b32 v1, v2
.LBB122_13:
	s_cmp_gt_u32 s10, 7
	s_cselect_b64 s[8:9], -1, 0
	s_cmp_lt_u32 s10, 8
	; wave barrier
	s_cbranch_scc1 .LBB122_15
; %bb.14:
	v_subrev_u32_e32 v3, 32, v1
	ds_read_b32 v3, v3
	s_waitcnt lgkmcnt(0)
	v_add_u32_e32 v2, v3, v2
.LBB122_15:
	s_andn2_b64 vcc, exec, s[8:9]
	; wave barrier
	s_cbranch_vccnz .LBB122_17
; %bb.16:
	ds_write_b32 v1, v2
.LBB122_17:
	s_cmp_gt_u32 s10, 15
	s_cselect_b64 s[8:9], -1, 0
	s_cmp_lt_u32 s10, 16
	; wave barrier
	s_cbranch_scc1 .LBB122_19
; %bb.18:
	v_subrev_u32_e32 v3, 64, v1
	ds_read_b32 v3, v3
	s_waitcnt lgkmcnt(0)
	v_add_u32_e32 v2, v3, v2
.LBB122_19:
	s_andn2_b64 vcc, exec, s[8:9]
	; wave barrier
	s_cbranch_vccnz .LBB122_21
; %bb.20:
	ds_write_b32 v1, v2
.LBB122_21:
	s_cmp_gt_u32 s10, 31
	s_cselect_b64 s[8:9], -1, 0
	s_cmp_lt_u32 s10, 32
	; wave barrier
	s_cbranch_scc1 .LBB122_23
; %bb.22:
	v_add_u32_e32 v3, 0xffffff80, v1
	ds_read_b32 v3, v3
	s_waitcnt lgkmcnt(0)
	v_add_u32_e32 v2, v3, v2
.LBB122_23:
	s_andn2_b64 vcc, exec, s[8:9]
	; wave barrier
	s_cbranch_vccnz .LBB122_25
; %bb.24:
	ds_write_b32 v1, v2
.LBB122_25:
	s_load_dword s4, s[4:5], 0x10
	s_and_b64 vcc, exec, s[0:1]
	; wave barrier
	s_cbranch_vccnz .LBB122_27
; %bb.26:
	ds_read_b32 v0, v0
	s_waitcnt lgkmcnt(0)
	v_add_u32_e32 v0, s4, v0
	s_branch .LBB122_28
.LBB122_27:
	s_waitcnt lgkmcnt(0)
	v_mov_b32_e32 v0, s4
.LBB122_28:
	s_add_u32 s0, s2, s6
	s_addc_u32 s1, s3, s7
	v_mov_b32_e32 v1, 0
	global_store_dword v1, v0, s[0:1]
	s_endpgm
	.section	.rodata,"a",@progbits
	.p2align	6, 0x0
	.amdhsa_kernel _Z26warp_exclusive_scan_kernelIiLj1ELj61EENSt9enable_ifIXsr10test_utilsE35device_test_enabled_for_warp_size_vIXT1_EEEvE4typeEPT_S4_S3_
		.amdhsa_group_segment_fixed_size 244
		.amdhsa_private_segment_fixed_size 0
		.amdhsa_kernarg_size 280
		.amdhsa_user_sgpr_count 6
		.amdhsa_user_sgpr_private_segment_buffer 1
		.amdhsa_user_sgpr_dispatch_ptr 0
		.amdhsa_user_sgpr_queue_ptr 0
		.amdhsa_user_sgpr_kernarg_segment_ptr 1
		.amdhsa_user_sgpr_dispatch_id 0
		.amdhsa_user_sgpr_flat_scratch_init 0
		.amdhsa_user_sgpr_private_segment_size 0
		.amdhsa_uses_dynamic_stack 0
		.amdhsa_system_sgpr_private_segment_wavefront_offset 0
		.amdhsa_system_sgpr_workgroup_id_x 1
		.amdhsa_system_sgpr_workgroup_id_y 0
		.amdhsa_system_sgpr_workgroup_id_z 0
		.amdhsa_system_sgpr_workgroup_info 0
		.amdhsa_system_vgpr_workitem_id 0
		.amdhsa_next_free_vgpr 4
		.amdhsa_next_free_sgpr 11
		.amdhsa_reserve_vcc 1
		.amdhsa_reserve_flat_scratch 0
		.amdhsa_float_round_mode_32 0
		.amdhsa_float_round_mode_16_64 0
		.amdhsa_float_denorm_mode_32 3
		.amdhsa_float_denorm_mode_16_64 3
		.amdhsa_dx10_clamp 1
		.amdhsa_ieee_mode 1
		.amdhsa_fp16_overflow 0
		.amdhsa_exception_fp_ieee_invalid_op 0
		.amdhsa_exception_fp_denorm_src 0
		.amdhsa_exception_fp_ieee_div_zero 0
		.amdhsa_exception_fp_ieee_overflow 0
		.amdhsa_exception_fp_ieee_underflow 0
		.amdhsa_exception_fp_ieee_inexact 0
		.amdhsa_exception_int_div_zero 0
	.end_amdhsa_kernel
	.section	.text._Z26warp_exclusive_scan_kernelIiLj1ELj61EENSt9enable_ifIXsr10test_utilsE35device_test_enabled_for_warp_size_vIXT1_EEEvE4typeEPT_S4_S3_,"axG",@progbits,_Z26warp_exclusive_scan_kernelIiLj1ELj61EENSt9enable_ifIXsr10test_utilsE35device_test_enabled_for_warp_size_vIXT1_EEEvE4typeEPT_S4_S3_,comdat
.Lfunc_end122:
	.size	_Z26warp_exclusive_scan_kernelIiLj1ELj61EENSt9enable_ifIXsr10test_utilsE35device_test_enabled_for_warp_size_vIXT1_EEEvE4typeEPT_S4_S3_, .Lfunc_end122-_Z26warp_exclusive_scan_kernelIiLj1ELj61EENSt9enable_ifIXsr10test_utilsE35device_test_enabled_for_warp_size_vIXT1_EEEvE4typeEPT_S4_S3_
                                        ; -- End function
	.set _Z26warp_exclusive_scan_kernelIiLj1ELj61EENSt9enable_ifIXsr10test_utilsE35device_test_enabled_for_warp_size_vIXT1_EEEvE4typeEPT_S4_S3_.num_vgpr, 4
	.set _Z26warp_exclusive_scan_kernelIiLj1ELj61EENSt9enable_ifIXsr10test_utilsE35device_test_enabled_for_warp_size_vIXT1_EEEvE4typeEPT_S4_S3_.num_agpr, 0
	.set _Z26warp_exclusive_scan_kernelIiLj1ELj61EENSt9enable_ifIXsr10test_utilsE35device_test_enabled_for_warp_size_vIXT1_EEEvE4typeEPT_S4_S3_.numbered_sgpr, 11
	.set _Z26warp_exclusive_scan_kernelIiLj1ELj61EENSt9enable_ifIXsr10test_utilsE35device_test_enabled_for_warp_size_vIXT1_EEEvE4typeEPT_S4_S3_.num_named_barrier, 0
	.set _Z26warp_exclusive_scan_kernelIiLj1ELj61EENSt9enable_ifIXsr10test_utilsE35device_test_enabled_for_warp_size_vIXT1_EEEvE4typeEPT_S4_S3_.private_seg_size, 0
	.set _Z26warp_exclusive_scan_kernelIiLj1ELj61EENSt9enable_ifIXsr10test_utilsE35device_test_enabled_for_warp_size_vIXT1_EEEvE4typeEPT_S4_S3_.uses_vcc, 1
	.set _Z26warp_exclusive_scan_kernelIiLj1ELj61EENSt9enable_ifIXsr10test_utilsE35device_test_enabled_for_warp_size_vIXT1_EEEvE4typeEPT_S4_S3_.uses_flat_scratch, 0
	.set _Z26warp_exclusive_scan_kernelIiLj1ELj61EENSt9enable_ifIXsr10test_utilsE35device_test_enabled_for_warp_size_vIXT1_EEEvE4typeEPT_S4_S3_.has_dyn_sized_stack, 0
	.set _Z26warp_exclusive_scan_kernelIiLj1ELj61EENSt9enable_ifIXsr10test_utilsE35device_test_enabled_for_warp_size_vIXT1_EEEvE4typeEPT_S4_S3_.has_recursion, 0
	.set _Z26warp_exclusive_scan_kernelIiLj1ELj61EENSt9enable_ifIXsr10test_utilsE35device_test_enabled_for_warp_size_vIXT1_EEEvE4typeEPT_S4_S3_.has_indirect_call, 0
	.section	.AMDGPU.csdata,"",@progbits
; Kernel info:
; codeLenInByte = 532
; TotalNumSgprs: 15
; NumVgprs: 4
; ScratchSize: 0
; MemoryBound: 0
; FloatMode: 240
; IeeeMode: 1
; LDSByteSize: 244 bytes/workgroup (compile time only)
; SGPRBlocks: 1
; VGPRBlocks: 0
; NumSGPRsForWavesPerEU: 15
; NumVGPRsForWavesPerEU: 4
; Occupancy: 10
; WaveLimiterHint : 0
; COMPUTE_PGM_RSRC2:SCRATCH_EN: 0
; COMPUTE_PGM_RSRC2:USER_SGPR: 6
; COMPUTE_PGM_RSRC2:TRAP_HANDLER: 0
; COMPUTE_PGM_RSRC2:TGID_X_EN: 1
; COMPUTE_PGM_RSRC2:TGID_Y_EN: 0
; COMPUTE_PGM_RSRC2:TGID_Z_EN: 0
; COMPUTE_PGM_RSRC2:TIDIG_COMP_CNT: 0
	.section	.text._Z26warp_exclusive_scan_kernelIiLj61ELj61EENSt9enable_ifIXsr10test_utilsE35device_test_enabled_for_warp_size_vIXT1_EEEvE4typeEPT_S4_S3_,"axG",@progbits,_Z26warp_exclusive_scan_kernelIiLj61ELj61EENSt9enable_ifIXsr10test_utilsE35device_test_enabled_for_warp_size_vIXT1_EEEvE4typeEPT_S4_S3_,comdat
	.protected	_Z26warp_exclusive_scan_kernelIiLj61ELj61EENSt9enable_ifIXsr10test_utilsE35device_test_enabled_for_warp_size_vIXT1_EEEvE4typeEPT_S4_S3_ ; -- Begin function _Z26warp_exclusive_scan_kernelIiLj61ELj61EENSt9enable_ifIXsr10test_utilsE35device_test_enabled_for_warp_size_vIXT1_EEEvE4typeEPT_S4_S3_
	.globl	_Z26warp_exclusive_scan_kernelIiLj61ELj61EENSt9enable_ifIXsr10test_utilsE35device_test_enabled_for_warp_size_vIXT1_EEEvE4typeEPT_S4_S3_
	.p2align	8
	.type	_Z26warp_exclusive_scan_kernelIiLj61ELj61EENSt9enable_ifIXsr10test_utilsE35device_test_enabled_for_warp_size_vIXT1_EEEvE4typeEPT_S4_S3_,@function
_Z26warp_exclusive_scan_kernelIiLj61ELj61EENSt9enable_ifIXsr10test_utilsE35device_test_enabled_for_warp_size_vIXT1_EEEvE4typeEPT_S4_S3_: ; @_Z26warp_exclusive_scan_kernelIiLj61ELj61EENSt9enable_ifIXsr10test_utilsE35device_test_enabled_for_warp_size_vIXT1_EEEvE4typeEPT_S4_S3_
; %bb.0:
	s_load_dword s7, s[4:5], 0x24
	s_load_dwordx4 s[0:3], s[4:5], 0x0
	v_mov_b32_e32 v2, 0
	s_waitcnt lgkmcnt(0)
	s_and_b32 s7, s7, 0xffff
	s_mul_i32 s6, s6, s7
	v_add_u32_e32 v1, s6, v0
	v_lshlrev_b64 v[1:2], 2, v[1:2]
	v_mov_b32_e32 v4, s1
	v_add_co_u32_e32 v3, vcc, s0, v1
	v_addc_co_u32_e32 v4, vcc, v4, v2, vcc
	global_load_dword v3, v[3:4], off
	v_mbcnt_lo_u32_b32 v4, -1, 0
	s_mov_b32 s0, 0x4325c54
	v_mbcnt_hi_u32_b32 v4, -1, v4
	v_mul_hi_u32 v5, v4, s0
	v_mul_u32_u24_e32 v0, 0x433, v0
	s_movk_i32 s0, 0xf4
	v_lshrrev_b32_e32 v0, 16, v0
	v_mul_u32_u24_e32 v5, 61, v5
	v_sub_u32_e32 v5, v4, v5
	v_lshlrev_b32_e32 v4, 2, v5
	v_mad_u32_u24 v4, v0, s0, v4
	v_cmp_ne_u32_e32 vcc, 0, v5
	v_add_u32_e32 v0, -4, v4
	s_waitcnt vmcnt(0)
	ds_write_b32 v4, v3
	; wave barrier
	s_and_saveexec_b64 s[0:1], vcc
	s_cbranch_execz .LBB123_2
; %bb.1:
	ds_read_b32 v6, v0
	s_waitcnt lgkmcnt(0)
	v_add_u32_e32 v3, v6, v3
.LBB123_2:
	s_or_b64 exec, exec, s[0:1]
	; wave barrier
	s_and_saveexec_b64 s[0:1], vcc
; %bb.3:
	ds_write_b32 v4, v3
; %bb.4:
	s_or_b64 exec, exec, s[0:1]
	v_cmp_lt_u32_e64 s[0:1], 1, v5
	; wave barrier
	s_and_saveexec_b64 s[6:7], s[0:1]
	s_cbranch_execz .LBB123_6
; %bb.5:
	v_add_u32_e32 v6, -8, v4
	ds_read_b32 v6, v6
	s_waitcnt lgkmcnt(0)
	v_add_u32_e32 v3, v6, v3
.LBB123_6:
	s_or_b64 exec, exec, s[6:7]
	; wave barrier
	s_and_saveexec_b64 s[6:7], s[0:1]
; %bb.7:
	ds_write_b32 v4, v3
; %bb.8:
	s_or_b64 exec, exec, s[6:7]
	v_cmp_lt_u32_e64 s[0:1], 3, v5
	; wave barrier
	s_and_saveexec_b64 s[6:7], s[0:1]
	s_cbranch_execz .LBB123_10
; %bb.9:
	v_add_u32_e32 v6, -16, v4
	ds_read_b32 v6, v6
	s_waitcnt lgkmcnt(0)
	v_add_u32_e32 v3, v6, v3
.LBB123_10:
	s_or_b64 exec, exec, s[6:7]
	; wave barrier
	s_and_saveexec_b64 s[6:7], s[0:1]
; %bb.11:
	ds_write_b32 v4, v3
; %bb.12:
	s_or_b64 exec, exec, s[6:7]
	v_cmp_lt_u32_e64 s[0:1], 7, v5
	; wave barrier
	s_and_saveexec_b64 s[6:7], s[0:1]
	s_cbranch_execz .LBB123_14
; %bb.13:
	v_subrev_u32_e32 v6, 32, v4
	ds_read_b32 v6, v6
	s_waitcnt lgkmcnt(0)
	v_add_u32_e32 v3, v6, v3
.LBB123_14:
	s_or_b64 exec, exec, s[6:7]
	; wave barrier
	s_and_saveexec_b64 s[6:7], s[0:1]
; %bb.15:
	ds_write_b32 v4, v3
; %bb.16:
	s_or_b64 exec, exec, s[6:7]
	v_cmp_lt_u32_e64 s[0:1], 15, v5
	; wave barrier
	s_and_saveexec_b64 s[6:7], s[0:1]
	s_cbranch_execz .LBB123_18
; %bb.17:
	v_subrev_u32_e32 v6, 64, v4
	ds_read_b32 v6, v6
	s_waitcnt lgkmcnt(0)
	v_add_u32_e32 v3, v6, v3
.LBB123_18:
	s_or_b64 exec, exec, s[6:7]
	; wave barrier
	s_and_saveexec_b64 s[6:7], s[0:1]
; %bb.19:
	ds_write_b32 v4, v3
; %bb.20:
	s_or_b64 exec, exec, s[6:7]
	v_cmp_lt_u32_e64 s[0:1], 31, v5
	; wave barrier
	s_and_saveexec_b64 s[6:7], s[0:1]
	s_cbranch_execz .LBB123_22
; %bb.21:
	v_add_u32_e32 v5, 0xffffff80, v4
	ds_read_b32 v5, v5
	s_waitcnt lgkmcnt(0)
	v_add_u32_e32 v3, v5, v3
.LBB123_22:
	s_or_b64 exec, exec, s[6:7]
	; wave barrier
	s_and_saveexec_b64 s[6:7], s[0:1]
; %bb.23:
	ds_write_b32 v4, v3
; %bb.24:
	s_or_b64 exec, exec, s[6:7]
	s_load_dword s4, s[4:5], 0x10
	; wave barrier
	s_waitcnt lgkmcnt(0)
	v_mov_b32_e32 v3, s4
	s_and_saveexec_b64 s[0:1], vcc
	s_cbranch_execz .LBB123_26
; %bb.25:
	ds_read_b32 v0, v0
	s_waitcnt lgkmcnt(0)
	v_add_u32_e32 v3, s4, v0
.LBB123_26:
	s_or_b64 exec, exec, s[0:1]
	v_mov_b32_e32 v4, s3
	v_add_co_u32_e32 v0, vcc, s2, v1
	v_addc_co_u32_e32 v1, vcc, v4, v2, vcc
	global_store_dword v[0:1], v3, off
	s_endpgm
	.section	.rodata,"a",@progbits
	.p2align	6, 0x0
	.amdhsa_kernel _Z26warp_exclusive_scan_kernelIiLj61ELj61EENSt9enable_ifIXsr10test_utilsE35device_test_enabled_for_warp_size_vIXT1_EEEvE4typeEPT_S4_S3_
		.amdhsa_group_segment_fixed_size 244
		.amdhsa_private_segment_fixed_size 0
		.amdhsa_kernarg_size 280
		.amdhsa_user_sgpr_count 6
		.amdhsa_user_sgpr_private_segment_buffer 1
		.amdhsa_user_sgpr_dispatch_ptr 0
		.amdhsa_user_sgpr_queue_ptr 0
		.amdhsa_user_sgpr_kernarg_segment_ptr 1
		.amdhsa_user_sgpr_dispatch_id 0
		.amdhsa_user_sgpr_flat_scratch_init 0
		.amdhsa_user_sgpr_private_segment_size 0
		.amdhsa_uses_dynamic_stack 0
		.amdhsa_system_sgpr_private_segment_wavefront_offset 0
		.amdhsa_system_sgpr_workgroup_id_x 1
		.amdhsa_system_sgpr_workgroup_id_y 0
		.amdhsa_system_sgpr_workgroup_id_z 0
		.amdhsa_system_sgpr_workgroup_info 0
		.amdhsa_system_vgpr_workitem_id 0
		.amdhsa_next_free_vgpr 7
		.amdhsa_next_free_sgpr 8
		.amdhsa_reserve_vcc 1
		.amdhsa_reserve_flat_scratch 0
		.amdhsa_float_round_mode_32 0
		.amdhsa_float_round_mode_16_64 0
		.amdhsa_float_denorm_mode_32 3
		.amdhsa_float_denorm_mode_16_64 3
		.amdhsa_dx10_clamp 1
		.amdhsa_ieee_mode 1
		.amdhsa_fp16_overflow 0
		.amdhsa_exception_fp_ieee_invalid_op 0
		.amdhsa_exception_fp_denorm_src 0
		.amdhsa_exception_fp_ieee_div_zero 0
		.amdhsa_exception_fp_ieee_overflow 0
		.amdhsa_exception_fp_ieee_underflow 0
		.amdhsa_exception_fp_ieee_inexact 0
		.amdhsa_exception_int_div_zero 0
	.end_amdhsa_kernel
	.section	.text._Z26warp_exclusive_scan_kernelIiLj61ELj61EENSt9enable_ifIXsr10test_utilsE35device_test_enabled_for_warp_size_vIXT1_EEEvE4typeEPT_S4_S3_,"axG",@progbits,_Z26warp_exclusive_scan_kernelIiLj61ELj61EENSt9enable_ifIXsr10test_utilsE35device_test_enabled_for_warp_size_vIXT1_EEEvE4typeEPT_S4_S3_,comdat
.Lfunc_end123:
	.size	_Z26warp_exclusive_scan_kernelIiLj61ELj61EENSt9enable_ifIXsr10test_utilsE35device_test_enabled_for_warp_size_vIXT1_EEEvE4typeEPT_S4_S3_, .Lfunc_end123-_Z26warp_exclusive_scan_kernelIiLj61ELj61EENSt9enable_ifIXsr10test_utilsE35device_test_enabled_for_warp_size_vIXT1_EEEvE4typeEPT_S4_S3_
                                        ; -- End function
	.set _Z26warp_exclusive_scan_kernelIiLj61ELj61EENSt9enable_ifIXsr10test_utilsE35device_test_enabled_for_warp_size_vIXT1_EEEvE4typeEPT_S4_S3_.num_vgpr, 7
	.set _Z26warp_exclusive_scan_kernelIiLj61ELj61EENSt9enable_ifIXsr10test_utilsE35device_test_enabled_for_warp_size_vIXT1_EEEvE4typeEPT_S4_S3_.num_agpr, 0
	.set _Z26warp_exclusive_scan_kernelIiLj61ELj61EENSt9enable_ifIXsr10test_utilsE35device_test_enabled_for_warp_size_vIXT1_EEEvE4typeEPT_S4_S3_.numbered_sgpr, 8
	.set _Z26warp_exclusive_scan_kernelIiLj61ELj61EENSt9enable_ifIXsr10test_utilsE35device_test_enabled_for_warp_size_vIXT1_EEEvE4typeEPT_S4_S3_.num_named_barrier, 0
	.set _Z26warp_exclusive_scan_kernelIiLj61ELj61EENSt9enable_ifIXsr10test_utilsE35device_test_enabled_for_warp_size_vIXT1_EEEvE4typeEPT_S4_S3_.private_seg_size, 0
	.set _Z26warp_exclusive_scan_kernelIiLj61ELj61EENSt9enable_ifIXsr10test_utilsE35device_test_enabled_for_warp_size_vIXT1_EEEvE4typeEPT_S4_S3_.uses_vcc, 1
	.set _Z26warp_exclusive_scan_kernelIiLj61ELj61EENSt9enable_ifIXsr10test_utilsE35device_test_enabled_for_warp_size_vIXT1_EEEvE4typeEPT_S4_S3_.uses_flat_scratch, 0
	.set _Z26warp_exclusive_scan_kernelIiLj61ELj61EENSt9enable_ifIXsr10test_utilsE35device_test_enabled_for_warp_size_vIXT1_EEEvE4typeEPT_S4_S3_.has_dyn_sized_stack, 0
	.set _Z26warp_exclusive_scan_kernelIiLj61ELj61EENSt9enable_ifIXsr10test_utilsE35device_test_enabled_for_warp_size_vIXT1_EEEvE4typeEPT_S4_S3_.has_recursion, 0
	.set _Z26warp_exclusive_scan_kernelIiLj61ELj61EENSt9enable_ifIXsr10test_utilsE35device_test_enabled_for_warp_size_vIXT1_EEEvE4typeEPT_S4_S3_.has_indirect_call, 0
	.section	.AMDGPU.csdata,"",@progbits
; Kernel info:
; codeLenInByte = 552
; TotalNumSgprs: 12
; NumVgprs: 7
; ScratchSize: 0
; MemoryBound: 0
; FloatMode: 240
; IeeeMode: 1
; LDSByteSize: 244 bytes/workgroup (compile time only)
; SGPRBlocks: 1
; VGPRBlocks: 1
; NumSGPRsForWavesPerEU: 12
; NumVGPRsForWavesPerEU: 7
; Occupancy: 10
; WaveLimiterHint : 0
; COMPUTE_PGM_RSRC2:SCRATCH_EN: 0
; COMPUTE_PGM_RSRC2:USER_SGPR: 6
; COMPUTE_PGM_RSRC2:TRAP_HANDLER: 0
; COMPUTE_PGM_RSRC2:TGID_X_EN: 1
; COMPUTE_PGM_RSRC2:TGID_Y_EN: 0
; COMPUTE_PGM_RSRC2:TGID_Z_EN: 0
; COMPUTE_PGM_RSRC2:TIDIG_COMP_CNT: 0
	.section	.text._Z26warp_exclusive_scan_kernelIiLj1ELj37EENSt9enable_ifIXsr10test_utilsE35device_test_enabled_for_warp_size_vIXT1_EEEvE4typeEPT_S4_S3_,"axG",@progbits,_Z26warp_exclusive_scan_kernelIiLj1ELj37EENSt9enable_ifIXsr10test_utilsE35device_test_enabled_for_warp_size_vIXT1_EEEvE4typeEPT_S4_S3_,comdat
	.protected	_Z26warp_exclusive_scan_kernelIiLj1ELj37EENSt9enable_ifIXsr10test_utilsE35device_test_enabled_for_warp_size_vIXT1_EEEvE4typeEPT_S4_S3_ ; -- Begin function _Z26warp_exclusive_scan_kernelIiLj1ELj37EENSt9enable_ifIXsr10test_utilsE35device_test_enabled_for_warp_size_vIXT1_EEEvE4typeEPT_S4_S3_
	.globl	_Z26warp_exclusive_scan_kernelIiLj1ELj37EENSt9enable_ifIXsr10test_utilsE35device_test_enabled_for_warp_size_vIXT1_EEEvE4typeEPT_S4_S3_
	.p2align	8
	.type	_Z26warp_exclusive_scan_kernelIiLj1ELj37EENSt9enable_ifIXsr10test_utilsE35device_test_enabled_for_warp_size_vIXT1_EEEvE4typeEPT_S4_S3_,@function
_Z26warp_exclusive_scan_kernelIiLj1ELj37EENSt9enable_ifIXsr10test_utilsE35device_test_enabled_for_warp_size_vIXT1_EEEvE4typeEPT_S4_S3_: ; @_Z26warp_exclusive_scan_kernelIiLj1ELj37EENSt9enable_ifIXsr10test_utilsE35device_test_enabled_for_warp_size_vIXT1_EEEvE4typeEPT_S4_S3_
; %bb.0:
	s_load_dword s8, s[4:5], 0x24
	s_load_dwordx4 s[0:3], s[4:5], 0x0
	s_mov_b32 s7, 0
	v_mbcnt_lo_u32_b32 v0, -1, 0
	v_mbcnt_hi_u32_b32 v0, -1, v0
	s_waitcnt lgkmcnt(0)
	s_and_b32 s8, s8, 0xffff
	s_mul_i32 s6, s6, s8
	s_lshl_b64 s[6:7], s[6:7], 2
	s_mov_b32 s8, 0x6eb3e46
	v_mul_hi_u32 v1, v0, s8
	s_add_u32 s0, s0, s6
	s_addc_u32 s1, s1, s7
	s_load_dword s8, s[0:1], 0x0
	v_mul_u32_u24_e32 v1, 37, v1
	v_sub_u32_e32 v0, v0, v1
	v_lshlrev_b32_e32 v1, 2, v0
	v_cmp_eq_u32_e64 s[0:1], 0, v0
	v_readfirstlane_b32 s10, v0
	s_waitcnt lgkmcnt(0)
	v_mov_b32_e32 v2, s8
	v_cmp_ne_u32_e32 vcc, 0, v0
	s_and_b64 s[0:1], s[0:1], exec
	v_add_u32_e32 v0, -4, v1
	ds_write_b32 v1, v2
	; wave barrier
	s_cbranch_scc1 .LBB124_2
; %bb.1:
	ds_read_b32 v2, v0
	s_waitcnt lgkmcnt(0)
	v_add_u32_e32 v2, s8, v2
	s_branch .LBB124_3
.LBB124_2:
	v_mov_b32_e32 v2, s8
.LBB124_3:
	v_cndmask_b32_e64 v3, 0, 1, vcc
	v_cmp_ne_u32_e64 s[0:1], 1, v3
	s_andn2_b64 vcc, exec, vcc
	; wave barrier
	s_cbranch_vccnz .LBB124_5
; %bb.4:
	ds_write_b32 v1, v2
.LBB124_5:
	s_cmp_gt_u32 s10, 1
	s_cselect_b64 s[8:9], -1, 0
	s_cmp_lt_u32 s10, 2
	; wave barrier
	s_cbranch_scc1 .LBB124_7
; %bb.6:
	v_add_u32_e32 v3, -8, v1
	ds_read_b32 v3, v3
	s_waitcnt lgkmcnt(0)
	v_add_u32_e32 v2, v3, v2
.LBB124_7:
	s_andn2_b64 vcc, exec, s[8:9]
	; wave barrier
	s_cbranch_vccnz .LBB124_9
; %bb.8:
	ds_write_b32 v1, v2
.LBB124_9:
	s_cmp_gt_u32 s10, 3
	s_cselect_b64 s[8:9], -1, 0
	s_cmp_lt_u32 s10, 4
	; wave barrier
	s_cbranch_scc1 .LBB124_11
; %bb.10:
	v_add_u32_e32 v3, -16, v1
	ds_read_b32 v3, v3
	s_waitcnt lgkmcnt(0)
	v_add_u32_e32 v2, v3, v2
.LBB124_11:
	s_andn2_b64 vcc, exec, s[8:9]
	; wave barrier
	s_cbranch_vccnz .LBB124_13
; %bb.12:
	ds_write_b32 v1, v2
.LBB124_13:
	s_cmp_gt_u32 s10, 7
	s_cselect_b64 s[8:9], -1, 0
	s_cmp_lt_u32 s10, 8
	; wave barrier
	s_cbranch_scc1 .LBB124_15
; %bb.14:
	v_subrev_u32_e32 v3, 32, v1
	ds_read_b32 v3, v3
	s_waitcnt lgkmcnt(0)
	v_add_u32_e32 v2, v3, v2
.LBB124_15:
	s_andn2_b64 vcc, exec, s[8:9]
	; wave barrier
	s_cbranch_vccnz .LBB124_17
; %bb.16:
	ds_write_b32 v1, v2
.LBB124_17:
	s_cmp_gt_u32 s10, 15
	s_cselect_b64 s[8:9], -1, 0
	s_cmp_lt_u32 s10, 16
	; wave barrier
	s_cbranch_scc1 .LBB124_19
; %bb.18:
	v_subrev_u32_e32 v3, 64, v1
	ds_read_b32 v3, v3
	s_waitcnt lgkmcnt(0)
	v_add_u32_e32 v2, v3, v2
.LBB124_19:
	s_andn2_b64 vcc, exec, s[8:9]
	; wave barrier
	s_cbranch_vccnz .LBB124_21
; %bb.20:
	ds_write_b32 v1, v2
.LBB124_21:
	s_cmp_gt_u32 s10, 31
	s_cselect_b64 s[8:9], -1, 0
	s_cmp_lt_u32 s10, 32
	; wave barrier
	s_cbranch_scc1 .LBB124_23
; %bb.22:
	v_add_u32_e32 v3, 0xffffff80, v1
	ds_read_b32 v3, v3
	s_waitcnt lgkmcnt(0)
	v_add_u32_e32 v2, v3, v2
.LBB124_23:
	s_andn2_b64 vcc, exec, s[8:9]
	; wave barrier
	s_cbranch_vccnz .LBB124_25
; %bb.24:
	ds_write_b32 v1, v2
.LBB124_25:
	s_load_dword s4, s[4:5], 0x10
	s_and_b64 vcc, exec, s[0:1]
	; wave barrier
	s_cbranch_vccnz .LBB124_27
; %bb.26:
	ds_read_b32 v0, v0
	s_waitcnt lgkmcnt(0)
	v_add_u32_e32 v0, s4, v0
	s_branch .LBB124_28
.LBB124_27:
	s_waitcnt lgkmcnt(0)
	v_mov_b32_e32 v0, s4
.LBB124_28:
	s_add_u32 s0, s2, s6
	s_addc_u32 s1, s3, s7
	v_mov_b32_e32 v1, 0
	global_store_dword v1, v0, s[0:1]
	s_endpgm
	.section	.rodata,"a",@progbits
	.p2align	6, 0x0
	.amdhsa_kernel _Z26warp_exclusive_scan_kernelIiLj1ELj37EENSt9enable_ifIXsr10test_utilsE35device_test_enabled_for_warp_size_vIXT1_EEEvE4typeEPT_S4_S3_
		.amdhsa_group_segment_fixed_size 148
		.amdhsa_private_segment_fixed_size 0
		.amdhsa_kernarg_size 280
		.amdhsa_user_sgpr_count 6
		.amdhsa_user_sgpr_private_segment_buffer 1
		.amdhsa_user_sgpr_dispatch_ptr 0
		.amdhsa_user_sgpr_queue_ptr 0
		.amdhsa_user_sgpr_kernarg_segment_ptr 1
		.amdhsa_user_sgpr_dispatch_id 0
		.amdhsa_user_sgpr_flat_scratch_init 0
		.amdhsa_user_sgpr_private_segment_size 0
		.amdhsa_uses_dynamic_stack 0
		.amdhsa_system_sgpr_private_segment_wavefront_offset 0
		.amdhsa_system_sgpr_workgroup_id_x 1
		.amdhsa_system_sgpr_workgroup_id_y 0
		.amdhsa_system_sgpr_workgroup_id_z 0
		.amdhsa_system_sgpr_workgroup_info 0
		.amdhsa_system_vgpr_workitem_id 0
		.amdhsa_next_free_vgpr 4
		.amdhsa_next_free_sgpr 11
		.amdhsa_reserve_vcc 1
		.amdhsa_reserve_flat_scratch 0
		.amdhsa_float_round_mode_32 0
		.amdhsa_float_round_mode_16_64 0
		.amdhsa_float_denorm_mode_32 3
		.amdhsa_float_denorm_mode_16_64 3
		.amdhsa_dx10_clamp 1
		.amdhsa_ieee_mode 1
		.amdhsa_fp16_overflow 0
		.amdhsa_exception_fp_ieee_invalid_op 0
		.amdhsa_exception_fp_denorm_src 0
		.amdhsa_exception_fp_ieee_div_zero 0
		.amdhsa_exception_fp_ieee_overflow 0
		.amdhsa_exception_fp_ieee_underflow 0
		.amdhsa_exception_fp_ieee_inexact 0
		.amdhsa_exception_int_div_zero 0
	.end_amdhsa_kernel
	.section	.text._Z26warp_exclusive_scan_kernelIiLj1ELj37EENSt9enable_ifIXsr10test_utilsE35device_test_enabled_for_warp_size_vIXT1_EEEvE4typeEPT_S4_S3_,"axG",@progbits,_Z26warp_exclusive_scan_kernelIiLj1ELj37EENSt9enable_ifIXsr10test_utilsE35device_test_enabled_for_warp_size_vIXT1_EEEvE4typeEPT_S4_S3_,comdat
.Lfunc_end124:
	.size	_Z26warp_exclusive_scan_kernelIiLj1ELj37EENSt9enable_ifIXsr10test_utilsE35device_test_enabled_for_warp_size_vIXT1_EEEvE4typeEPT_S4_S3_, .Lfunc_end124-_Z26warp_exclusive_scan_kernelIiLj1ELj37EENSt9enable_ifIXsr10test_utilsE35device_test_enabled_for_warp_size_vIXT1_EEEvE4typeEPT_S4_S3_
                                        ; -- End function
	.set _Z26warp_exclusive_scan_kernelIiLj1ELj37EENSt9enable_ifIXsr10test_utilsE35device_test_enabled_for_warp_size_vIXT1_EEEvE4typeEPT_S4_S3_.num_vgpr, 4
	.set _Z26warp_exclusive_scan_kernelIiLj1ELj37EENSt9enable_ifIXsr10test_utilsE35device_test_enabled_for_warp_size_vIXT1_EEEvE4typeEPT_S4_S3_.num_agpr, 0
	.set _Z26warp_exclusive_scan_kernelIiLj1ELj37EENSt9enable_ifIXsr10test_utilsE35device_test_enabled_for_warp_size_vIXT1_EEEvE4typeEPT_S4_S3_.numbered_sgpr, 11
	.set _Z26warp_exclusive_scan_kernelIiLj1ELj37EENSt9enable_ifIXsr10test_utilsE35device_test_enabled_for_warp_size_vIXT1_EEEvE4typeEPT_S4_S3_.num_named_barrier, 0
	.set _Z26warp_exclusive_scan_kernelIiLj1ELj37EENSt9enable_ifIXsr10test_utilsE35device_test_enabled_for_warp_size_vIXT1_EEEvE4typeEPT_S4_S3_.private_seg_size, 0
	.set _Z26warp_exclusive_scan_kernelIiLj1ELj37EENSt9enable_ifIXsr10test_utilsE35device_test_enabled_for_warp_size_vIXT1_EEEvE4typeEPT_S4_S3_.uses_vcc, 1
	.set _Z26warp_exclusive_scan_kernelIiLj1ELj37EENSt9enable_ifIXsr10test_utilsE35device_test_enabled_for_warp_size_vIXT1_EEEvE4typeEPT_S4_S3_.uses_flat_scratch, 0
	.set _Z26warp_exclusive_scan_kernelIiLj1ELj37EENSt9enable_ifIXsr10test_utilsE35device_test_enabled_for_warp_size_vIXT1_EEEvE4typeEPT_S4_S3_.has_dyn_sized_stack, 0
	.set _Z26warp_exclusive_scan_kernelIiLj1ELj37EENSt9enable_ifIXsr10test_utilsE35device_test_enabled_for_warp_size_vIXT1_EEEvE4typeEPT_S4_S3_.has_recursion, 0
	.set _Z26warp_exclusive_scan_kernelIiLj1ELj37EENSt9enable_ifIXsr10test_utilsE35device_test_enabled_for_warp_size_vIXT1_EEEvE4typeEPT_S4_S3_.has_indirect_call, 0
	.section	.AMDGPU.csdata,"",@progbits
; Kernel info:
; codeLenInByte = 532
; TotalNumSgprs: 15
; NumVgprs: 4
; ScratchSize: 0
; MemoryBound: 0
; FloatMode: 240
; IeeeMode: 1
; LDSByteSize: 148 bytes/workgroup (compile time only)
; SGPRBlocks: 1
; VGPRBlocks: 0
; NumSGPRsForWavesPerEU: 15
; NumVGPRsForWavesPerEU: 4
; Occupancy: 10
; WaveLimiterHint : 0
; COMPUTE_PGM_RSRC2:SCRATCH_EN: 0
; COMPUTE_PGM_RSRC2:USER_SGPR: 6
; COMPUTE_PGM_RSRC2:TRAP_HANDLER: 0
; COMPUTE_PGM_RSRC2:TGID_X_EN: 1
; COMPUTE_PGM_RSRC2:TGID_Y_EN: 0
; COMPUTE_PGM_RSRC2:TGID_Z_EN: 0
; COMPUTE_PGM_RSRC2:TIDIG_COMP_CNT: 0
	.section	.text._Z26warp_exclusive_scan_kernelIiLj37ELj37EENSt9enable_ifIXsr10test_utilsE35device_test_enabled_for_warp_size_vIXT1_EEEvE4typeEPT_S4_S3_,"axG",@progbits,_Z26warp_exclusive_scan_kernelIiLj37ELj37EENSt9enable_ifIXsr10test_utilsE35device_test_enabled_for_warp_size_vIXT1_EEEvE4typeEPT_S4_S3_,comdat
	.protected	_Z26warp_exclusive_scan_kernelIiLj37ELj37EENSt9enable_ifIXsr10test_utilsE35device_test_enabled_for_warp_size_vIXT1_EEEvE4typeEPT_S4_S3_ ; -- Begin function _Z26warp_exclusive_scan_kernelIiLj37ELj37EENSt9enable_ifIXsr10test_utilsE35device_test_enabled_for_warp_size_vIXT1_EEEvE4typeEPT_S4_S3_
	.globl	_Z26warp_exclusive_scan_kernelIiLj37ELj37EENSt9enable_ifIXsr10test_utilsE35device_test_enabled_for_warp_size_vIXT1_EEEvE4typeEPT_S4_S3_
	.p2align	8
	.type	_Z26warp_exclusive_scan_kernelIiLj37ELj37EENSt9enable_ifIXsr10test_utilsE35device_test_enabled_for_warp_size_vIXT1_EEEvE4typeEPT_S4_S3_,@function
_Z26warp_exclusive_scan_kernelIiLj37ELj37EENSt9enable_ifIXsr10test_utilsE35device_test_enabled_for_warp_size_vIXT1_EEEvE4typeEPT_S4_S3_: ; @_Z26warp_exclusive_scan_kernelIiLj37ELj37EENSt9enable_ifIXsr10test_utilsE35device_test_enabled_for_warp_size_vIXT1_EEEvE4typeEPT_S4_S3_
; %bb.0:
	s_load_dword s7, s[4:5], 0x24
	s_load_dwordx4 s[0:3], s[4:5], 0x0
	v_mov_b32_e32 v2, 0
	s_waitcnt lgkmcnt(0)
	s_and_b32 s7, s7, 0xffff
	s_mul_i32 s6, s6, s7
	v_add_u32_e32 v1, s6, v0
	v_lshlrev_b64 v[1:2], 2, v[1:2]
	v_mov_b32_e32 v4, s1
	v_add_co_u32_e32 v3, vcc, s0, v1
	v_addc_co_u32_e32 v4, vcc, v4, v2, vcc
	global_load_dword v3, v[3:4], off
	v_mbcnt_lo_u32_b32 v4, -1, 0
	s_mov_b32 s0, 0x6eb3e46
	v_mbcnt_hi_u32_b32 v4, -1, v4
	v_mul_hi_u32 v5, v4, s0
	v_mul_u32_u24_e32 v0, 0x6ec, v0
	s_movk_i32 s0, 0x94
	v_lshrrev_b32_e32 v0, 16, v0
	v_mul_u32_u24_e32 v5, 37, v5
	v_sub_u32_e32 v5, v4, v5
	v_lshlrev_b32_e32 v4, 2, v5
	v_mad_u32_u24 v4, v0, s0, v4
	v_cmp_ne_u32_e32 vcc, 0, v5
	v_add_u32_e32 v0, -4, v4
	s_waitcnt vmcnt(0)
	ds_write_b32 v4, v3
	; wave barrier
	s_and_saveexec_b64 s[0:1], vcc
	s_cbranch_execz .LBB125_2
; %bb.1:
	ds_read_b32 v6, v0
	s_waitcnt lgkmcnt(0)
	v_add_u32_e32 v3, v6, v3
.LBB125_2:
	s_or_b64 exec, exec, s[0:1]
	; wave barrier
	s_and_saveexec_b64 s[0:1], vcc
; %bb.3:
	ds_write_b32 v4, v3
; %bb.4:
	s_or_b64 exec, exec, s[0:1]
	v_cmp_lt_u32_e64 s[0:1], 1, v5
	; wave barrier
	s_and_saveexec_b64 s[6:7], s[0:1]
	s_cbranch_execz .LBB125_6
; %bb.5:
	v_add_u32_e32 v6, -8, v4
	ds_read_b32 v6, v6
	s_waitcnt lgkmcnt(0)
	v_add_u32_e32 v3, v6, v3
.LBB125_6:
	s_or_b64 exec, exec, s[6:7]
	; wave barrier
	s_and_saveexec_b64 s[6:7], s[0:1]
; %bb.7:
	ds_write_b32 v4, v3
; %bb.8:
	s_or_b64 exec, exec, s[6:7]
	v_cmp_lt_u32_e64 s[0:1], 3, v5
	; wave barrier
	s_and_saveexec_b64 s[6:7], s[0:1]
	s_cbranch_execz .LBB125_10
; %bb.9:
	v_add_u32_e32 v6, -16, v4
	ds_read_b32 v6, v6
	s_waitcnt lgkmcnt(0)
	v_add_u32_e32 v3, v6, v3
.LBB125_10:
	s_or_b64 exec, exec, s[6:7]
	; wave barrier
	s_and_saveexec_b64 s[6:7], s[0:1]
; %bb.11:
	ds_write_b32 v4, v3
; %bb.12:
	s_or_b64 exec, exec, s[6:7]
	v_cmp_lt_u32_e64 s[0:1], 7, v5
	; wave barrier
	s_and_saveexec_b64 s[6:7], s[0:1]
	s_cbranch_execz .LBB125_14
; %bb.13:
	v_subrev_u32_e32 v6, 32, v4
	ds_read_b32 v6, v6
	s_waitcnt lgkmcnt(0)
	v_add_u32_e32 v3, v6, v3
.LBB125_14:
	s_or_b64 exec, exec, s[6:7]
	; wave barrier
	s_and_saveexec_b64 s[6:7], s[0:1]
; %bb.15:
	ds_write_b32 v4, v3
; %bb.16:
	s_or_b64 exec, exec, s[6:7]
	v_cmp_lt_u32_e64 s[0:1], 15, v5
	; wave barrier
	s_and_saveexec_b64 s[6:7], s[0:1]
	s_cbranch_execz .LBB125_18
; %bb.17:
	v_subrev_u32_e32 v6, 64, v4
	ds_read_b32 v6, v6
	s_waitcnt lgkmcnt(0)
	v_add_u32_e32 v3, v6, v3
.LBB125_18:
	s_or_b64 exec, exec, s[6:7]
	; wave barrier
	s_and_saveexec_b64 s[6:7], s[0:1]
; %bb.19:
	ds_write_b32 v4, v3
; %bb.20:
	s_or_b64 exec, exec, s[6:7]
	v_cmp_lt_u32_e64 s[0:1], 31, v5
	; wave barrier
	s_and_saveexec_b64 s[6:7], s[0:1]
	s_cbranch_execz .LBB125_22
; %bb.21:
	v_add_u32_e32 v5, 0xffffff80, v4
	ds_read_b32 v5, v5
	s_waitcnt lgkmcnt(0)
	v_add_u32_e32 v3, v5, v3
.LBB125_22:
	s_or_b64 exec, exec, s[6:7]
	; wave barrier
	s_and_saveexec_b64 s[6:7], s[0:1]
; %bb.23:
	ds_write_b32 v4, v3
; %bb.24:
	s_or_b64 exec, exec, s[6:7]
	s_load_dword s4, s[4:5], 0x10
	; wave barrier
	s_waitcnt lgkmcnt(0)
	v_mov_b32_e32 v3, s4
	s_and_saveexec_b64 s[0:1], vcc
	s_cbranch_execz .LBB125_26
; %bb.25:
	ds_read_b32 v0, v0
	s_waitcnt lgkmcnt(0)
	v_add_u32_e32 v3, s4, v0
.LBB125_26:
	s_or_b64 exec, exec, s[0:1]
	v_mov_b32_e32 v4, s3
	v_add_co_u32_e32 v0, vcc, s2, v1
	v_addc_co_u32_e32 v1, vcc, v4, v2, vcc
	global_store_dword v[0:1], v3, off
	s_endpgm
	.section	.rodata,"a",@progbits
	.p2align	6, 0x0
	.amdhsa_kernel _Z26warp_exclusive_scan_kernelIiLj37ELj37EENSt9enable_ifIXsr10test_utilsE35device_test_enabled_for_warp_size_vIXT1_EEEvE4typeEPT_S4_S3_
		.amdhsa_group_segment_fixed_size 148
		.amdhsa_private_segment_fixed_size 0
		.amdhsa_kernarg_size 280
		.amdhsa_user_sgpr_count 6
		.amdhsa_user_sgpr_private_segment_buffer 1
		.amdhsa_user_sgpr_dispatch_ptr 0
		.amdhsa_user_sgpr_queue_ptr 0
		.amdhsa_user_sgpr_kernarg_segment_ptr 1
		.amdhsa_user_sgpr_dispatch_id 0
		.amdhsa_user_sgpr_flat_scratch_init 0
		.amdhsa_user_sgpr_private_segment_size 0
		.amdhsa_uses_dynamic_stack 0
		.amdhsa_system_sgpr_private_segment_wavefront_offset 0
		.amdhsa_system_sgpr_workgroup_id_x 1
		.amdhsa_system_sgpr_workgroup_id_y 0
		.amdhsa_system_sgpr_workgroup_id_z 0
		.amdhsa_system_sgpr_workgroup_info 0
		.amdhsa_system_vgpr_workitem_id 0
		.amdhsa_next_free_vgpr 7
		.amdhsa_next_free_sgpr 8
		.amdhsa_reserve_vcc 1
		.amdhsa_reserve_flat_scratch 0
		.amdhsa_float_round_mode_32 0
		.amdhsa_float_round_mode_16_64 0
		.amdhsa_float_denorm_mode_32 3
		.amdhsa_float_denorm_mode_16_64 3
		.amdhsa_dx10_clamp 1
		.amdhsa_ieee_mode 1
		.amdhsa_fp16_overflow 0
		.amdhsa_exception_fp_ieee_invalid_op 0
		.amdhsa_exception_fp_denorm_src 0
		.amdhsa_exception_fp_ieee_div_zero 0
		.amdhsa_exception_fp_ieee_overflow 0
		.amdhsa_exception_fp_ieee_underflow 0
		.amdhsa_exception_fp_ieee_inexact 0
		.amdhsa_exception_int_div_zero 0
	.end_amdhsa_kernel
	.section	.text._Z26warp_exclusive_scan_kernelIiLj37ELj37EENSt9enable_ifIXsr10test_utilsE35device_test_enabled_for_warp_size_vIXT1_EEEvE4typeEPT_S4_S3_,"axG",@progbits,_Z26warp_exclusive_scan_kernelIiLj37ELj37EENSt9enable_ifIXsr10test_utilsE35device_test_enabled_for_warp_size_vIXT1_EEEvE4typeEPT_S4_S3_,comdat
.Lfunc_end125:
	.size	_Z26warp_exclusive_scan_kernelIiLj37ELj37EENSt9enable_ifIXsr10test_utilsE35device_test_enabled_for_warp_size_vIXT1_EEEvE4typeEPT_S4_S3_, .Lfunc_end125-_Z26warp_exclusive_scan_kernelIiLj37ELj37EENSt9enable_ifIXsr10test_utilsE35device_test_enabled_for_warp_size_vIXT1_EEEvE4typeEPT_S4_S3_
                                        ; -- End function
	.set _Z26warp_exclusive_scan_kernelIiLj37ELj37EENSt9enable_ifIXsr10test_utilsE35device_test_enabled_for_warp_size_vIXT1_EEEvE4typeEPT_S4_S3_.num_vgpr, 7
	.set _Z26warp_exclusive_scan_kernelIiLj37ELj37EENSt9enable_ifIXsr10test_utilsE35device_test_enabled_for_warp_size_vIXT1_EEEvE4typeEPT_S4_S3_.num_agpr, 0
	.set _Z26warp_exclusive_scan_kernelIiLj37ELj37EENSt9enable_ifIXsr10test_utilsE35device_test_enabled_for_warp_size_vIXT1_EEEvE4typeEPT_S4_S3_.numbered_sgpr, 8
	.set _Z26warp_exclusive_scan_kernelIiLj37ELj37EENSt9enable_ifIXsr10test_utilsE35device_test_enabled_for_warp_size_vIXT1_EEEvE4typeEPT_S4_S3_.num_named_barrier, 0
	.set _Z26warp_exclusive_scan_kernelIiLj37ELj37EENSt9enable_ifIXsr10test_utilsE35device_test_enabled_for_warp_size_vIXT1_EEEvE4typeEPT_S4_S3_.private_seg_size, 0
	.set _Z26warp_exclusive_scan_kernelIiLj37ELj37EENSt9enable_ifIXsr10test_utilsE35device_test_enabled_for_warp_size_vIXT1_EEEvE4typeEPT_S4_S3_.uses_vcc, 1
	.set _Z26warp_exclusive_scan_kernelIiLj37ELj37EENSt9enable_ifIXsr10test_utilsE35device_test_enabled_for_warp_size_vIXT1_EEEvE4typeEPT_S4_S3_.uses_flat_scratch, 0
	.set _Z26warp_exclusive_scan_kernelIiLj37ELj37EENSt9enable_ifIXsr10test_utilsE35device_test_enabled_for_warp_size_vIXT1_EEEvE4typeEPT_S4_S3_.has_dyn_sized_stack, 0
	.set _Z26warp_exclusive_scan_kernelIiLj37ELj37EENSt9enable_ifIXsr10test_utilsE35device_test_enabled_for_warp_size_vIXT1_EEEvE4typeEPT_S4_S3_.has_recursion, 0
	.set _Z26warp_exclusive_scan_kernelIiLj37ELj37EENSt9enable_ifIXsr10test_utilsE35device_test_enabled_for_warp_size_vIXT1_EEEvE4typeEPT_S4_S3_.has_indirect_call, 0
	.section	.AMDGPU.csdata,"",@progbits
; Kernel info:
; codeLenInByte = 552
; TotalNumSgprs: 12
; NumVgprs: 7
; ScratchSize: 0
; MemoryBound: 0
; FloatMode: 240
; IeeeMode: 1
; LDSByteSize: 148 bytes/workgroup (compile time only)
; SGPRBlocks: 1
; VGPRBlocks: 1
; NumSGPRsForWavesPerEU: 12
; NumVGPRsForWavesPerEU: 7
; Occupancy: 10
; WaveLimiterHint : 0
; COMPUTE_PGM_RSRC2:SCRATCH_EN: 0
; COMPUTE_PGM_RSRC2:USER_SGPR: 6
; COMPUTE_PGM_RSRC2:TRAP_HANDLER: 0
; COMPUTE_PGM_RSRC2:TGID_X_EN: 1
; COMPUTE_PGM_RSRC2:TGID_Y_EN: 0
; COMPUTE_PGM_RSRC2:TGID_Z_EN: 0
; COMPUTE_PGM_RSRC2:TIDIG_COMP_CNT: 0
	.section	.text._Z26warp_exclusive_scan_kernelIiLj30ELj15EENSt9enable_ifIXsr10test_utilsE35device_test_enabled_for_warp_size_vIXT1_EEEvE4typeEPT_S4_S3_,"axG",@progbits,_Z26warp_exclusive_scan_kernelIiLj30ELj15EENSt9enable_ifIXsr10test_utilsE35device_test_enabled_for_warp_size_vIXT1_EEEvE4typeEPT_S4_S3_,comdat
	.protected	_Z26warp_exclusive_scan_kernelIiLj30ELj15EENSt9enable_ifIXsr10test_utilsE35device_test_enabled_for_warp_size_vIXT1_EEEvE4typeEPT_S4_S3_ ; -- Begin function _Z26warp_exclusive_scan_kernelIiLj30ELj15EENSt9enable_ifIXsr10test_utilsE35device_test_enabled_for_warp_size_vIXT1_EEEvE4typeEPT_S4_S3_
	.globl	_Z26warp_exclusive_scan_kernelIiLj30ELj15EENSt9enable_ifIXsr10test_utilsE35device_test_enabled_for_warp_size_vIXT1_EEEvE4typeEPT_S4_S3_
	.p2align	8
	.type	_Z26warp_exclusive_scan_kernelIiLj30ELj15EENSt9enable_ifIXsr10test_utilsE35device_test_enabled_for_warp_size_vIXT1_EEEvE4typeEPT_S4_S3_,@function
_Z26warp_exclusive_scan_kernelIiLj30ELj15EENSt9enable_ifIXsr10test_utilsE35device_test_enabled_for_warp_size_vIXT1_EEEvE4typeEPT_S4_S3_: ; @_Z26warp_exclusive_scan_kernelIiLj30ELj15EENSt9enable_ifIXsr10test_utilsE35device_test_enabled_for_warp_size_vIXT1_EEEvE4typeEPT_S4_S3_
; %bb.0:
	s_load_dword s7, s[4:5], 0x24
	s_load_dwordx4 s[0:3], s[4:5], 0x0
	v_mov_b32_e32 v2, 0
	s_waitcnt lgkmcnt(0)
	s_and_b32 s7, s7, 0xffff
	s_mul_i32 s6, s6, s7
	v_add_u32_e32 v1, s6, v0
	v_lshlrev_b64 v[1:2], 2, v[1:2]
	v_mov_b32_e32 v4, s1
	v_add_co_u32_e32 v3, vcc, s0, v1
	v_addc_co_u32_e32 v4, vcc, v4, v2, vcc
	global_load_dword v3, v[3:4], off
	v_mbcnt_lo_u32_b32 v4, -1, 0
	s_mov_b32 s0, 0x11111112
	v_mbcnt_hi_u32_b32 v4, -1, v4
	v_mul_hi_u32 v5, v4, s0
	v_mul_u32_u24_e32 v0, 0x1112, v0
	v_lshrrev_b32_e32 v0, 16, v0
	v_mul_u32_u24_e32 v5, 15, v5
	v_sub_u32_e32 v5, v4, v5
	v_lshlrev_b32_e32 v4, 2, v5
	v_mad_u32_u24 v4, v0, 60, v4
	v_cmp_ne_u32_e32 vcc, 0, v5
	v_add_u32_e32 v0, -4, v4
	s_waitcnt vmcnt(0)
	ds_write_b32 v4, v3
	; wave barrier
	s_and_saveexec_b64 s[0:1], vcc
	s_cbranch_execz .LBB126_2
; %bb.1:
	ds_read_b32 v6, v0
	s_waitcnt lgkmcnt(0)
	v_add_u32_e32 v3, v6, v3
.LBB126_2:
	s_or_b64 exec, exec, s[0:1]
	; wave barrier
	s_and_saveexec_b64 s[0:1], vcc
; %bb.3:
	ds_write_b32 v4, v3
; %bb.4:
	s_or_b64 exec, exec, s[0:1]
	v_cmp_lt_u32_e64 s[0:1], 1, v5
	; wave barrier
	s_and_saveexec_b64 s[6:7], s[0:1]
	s_cbranch_execz .LBB126_6
; %bb.5:
	v_add_u32_e32 v6, -8, v4
	ds_read_b32 v6, v6
	s_waitcnt lgkmcnt(0)
	v_add_u32_e32 v3, v6, v3
.LBB126_6:
	s_or_b64 exec, exec, s[6:7]
	; wave barrier
	s_and_saveexec_b64 s[6:7], s[0:1]
; %bb.7:
	ds_write_b32 v4, v3
; %bb.8:
	s_or_b64 exec, exec, s[6:7]
	v_cmp_lt_u32_e64 s[0:1], 3, v5
	; wave barrier
	s_and_saveexec_b64 s[6:7], s[0:1]
	s_cbranch_execz .LBB126_10
; %bb.9:
	v_add_u32_e32 v6, -16, v4
	ds_read_b32 v6, v6
	s_waitcnt lgkmcnt(0)
	v_add_u32_e32 v3, v6, v3
.LBB126_10:
	s_or_b64 exec, exec, s[6:7]
	; wave barrier
	s_and_saveexec_b64 s[6:7], s[0:1]
; %bb.11:
	ds_write_b32 v4, v3
; %bb.12:
	s_or_b64 exec, exec, s[6:7]
	v_cmp_lt_u32_e64 s[0:1], 7, v5
	; wave barrier
	s_and_saveexec_b64 s[6:7], s[0:1]
	s_cbranch_execz .LBB126_14
; %bb.13:
	v_subrev_u32_e32 v5, 32, v4
	ds_read_b32 v5, v5
	s_waitcnt lgkmcnt(0)
	v_add_u32_e32 v3, v5, v3
.LBB126_14:
	s_or_b64 exec, exec, s[6:7]
	; wave barrier
	s_and_saveexec_b64 s[6:7], s[0:1]
; %bb.15:
	ds_write_b32 v4, v3
; %bb.16:
	s_or_b64 exec, exec, s[6:7]
	s_load_dword s4, s[4:5], 0x10
	; wave barrier
	s_waitcnt lgkmcnt(0)
	v_mov_b32_e32 v3, s4
	s_and_saveexec_b64 s[0:1], vcc
	s_cbranch_execz .LBB126_18
; %bb.17:
	ds_read_b32 v0, v0
	s_waitcnt lgkmcnt(0)
	v_add_u32_e32 v3, s4, v0
.LBB126_18:
	s_or_b64 exec, exec, s[0:1]
	v_mov_b32_e32 v4, s3
	v_add_co_u32_e32 v0, vcc, s2, v1
	v_addc_co_u32_e32 v1, vcc, v4, v2, vcc
	global_store_dword v[0:1], v3, off
	s_endpgm
	.section	.rodata,"a",@progbits
	.p2align	6, 0x0
	.amdhsa_kernel _Z26warp_exclusive_scan_kernelIiLj30ELj15EENSt9enable_ifIXsr10test_utilsE35device_test_enabled_for_warp_size_vIXT1_EEEvE4typeEPT_S4_S3_
		.amdhsa_group_segment_fixed_size 120
		.amdhsa_private_segment_fixed_size 0
		.amdhsa_kernarg_size 280
		.amdhsa_user_sgpr_count 6
		.amdhsa_user_sgpr_private_segment_buffer 1
		.amdhsa_user_sgpr_dispatch_ptr 0
		.amdhsa_user_sgpr_queue_ptr 0
		.amdhsa_user_sgpr_kernarg_segment_ptr 1
		.amdhsa_user_sgpr_dispatch_id 0
		.amdhsa_user_sgpr_flat_scratch_init 0
		.amdhsa_user_sgpr_private_segment_size 0
		.amdhsa_uses_dynamic_stack 0
		.amdhsa_system_sgpr_private_segment_wavefront_offset 0
		.amdhsa_system_sgpr_workgroup_id_x 1
		.amdhsa_system_sgpr_workgroup_id_y 0
		.amdhsa_system_sgpr_workgroup_id_z 0
		.amdhsa_system_sgpr_workgroup_info 0
		.amdhsa_system_vgpr_workitem_id 0
		.amdhsa_next_free_vgpr 7
		.amdhsa_next_free_sgpr 8
		.amdhsa_reserve_vcc 1
		.amdhsa_reserve_flat_scratch 0
		.amdhsa_float_round_mode_32 0
		.amdhsa_float_round_mode_16_64 0
		.amdhsa_float_denorm_mode_32 3
		.amdhsa_float_denorm_mode_16_64 3
		.amdhsa_dx10_clamp 1
		.amdhsa_ieee_mode 1
		.amdhsa_fp16_overflow 0
		.amdhsa_exception_fp_ieee_invalid_op 0
		.amdhsa_exception_fp_denorm_src 0
		.amdhsa_exception_fp_ieee_div_zero 0
		.amdhsa_exception_fp_ieee_overflow 0
		.amdhsa_exception_fp_ieee_underflow 0
		.amdhsa_exception_fp_ieee_inexact 0
		.amdhsa_exception_int_div_zero 0
	.end_amdhsa_kernel
	.section	.text._Z26warp_exclusive_scan_kernelIiLj30ELj15EENSt9enable_ifIXsr10test_utilsE35device_test_enabled_for_warp_size_vIXT1_EEEvE4typeEPT_S4_S3_,"axG",@progbits,_Z26warp_exclusive_scan_kernelIiLj30ELj15EENSt9enable_ifIXsr10test_utilsE35device_test_enabled_for_warp_size_vIXT1_EEEvE4typeEPT_S4_S3_,comdat
.Lfunc_end126:
	.size	_Z26warp_exclusive_scan_kernelIiLj30ELj15EENSt9enable_ifIXsr10test_utilsE35device_test_enabled_for_warp_size_vIXT1_EEEvE4typeEPT_S4_S3_, .Lfunc_end126-_Z26warp_exclusive_scan_kernelIiLj30ELj15EENSt9enable_ifIXsr10test_utilsE35device_test_enabled_for_warp_size_vIXT1_EEEvE4typeEPT_S4_S3_
                                        ; -- End function
	.set _Z26warp_exclusive_scan_kernelIiLj30ELj15EENSt9enable_ifIXsr10test_utilsE35device_test_enabled_for_warp_size_vIXT1_EEEvE4typeEPT_S4_S3_.num_vgpr, 7
	.set _Z26warp_exclusive_scan_kernelIiLj30ELj15EENSt9enable_ifIXsr10test_utilsE35device_test_enabled_for_warp_size_vIXT1_EEEvE4typeEPT_S4_S3_.num_agpr, 0
	.set _Z26warp_exclusive_scan_kernelIiLj30ELj15EENSt9enable_ifIXsr10test_utilsE35device_test_enabled_for_warp_size_vIXT1_EEEvE4typeEPT_S4_S3_.numbered_sgpr, 8
	.set _Z26warp_exclusive_scan_kernelIiLj30ELj15EENSt9enable_ifIXsr10test_utilsE35device_test_enabled_for_warp_size_vIXT1_EEEvE4typeEPT_S4_S3_.num_named_barrier, 0
	.set _Z26warp_exclusive_scan_kernelIiLj30ELj15EENSt9enable_ifIXsr10test_utilsE35device_test_enabled_for_warp_size_vIXT1_EEEvE4typeEPT_S4_S3_.private_seg_size, 0
	.set _Z26warp_exclusive_scan_kernelIiLj30ELj15EENSt9enable_ifIXsr10test_utilsE35device_test_enabled_for_warp_size_vIXT1_EEEvE4typeEPT_S4_S3_.uses_vcc, 1
	.set _Z26warp_exclusive_scan_kernelIiLj30ELj15EENSt9enable_ifIXsr10test_utilsE35device_test_enabled_for_warp_size_vIXT1_EEEvE4typeEPT_S4_S3_.uses_flat_scratch, 0
	.set _Z26warp_exclusive_scan_kernelIiLj30ELj15EENSt9enable_ifIXsr10test_utilsE35device_test_enabled_for_warp_size_vIXT1_EEEvE4typeEPT_S4_S3_.has_dyn_sized_stack, 0
	.set _Z26warp_exclusive_scan_kernelIiLj30ELj15EENSt9enable_ifIXsr10test_utilsE35device_test_enabled_for_warp_size_vIXT1_EEEvE4typeEPT_S4_S3_.has_recursion, 0
	.set _Z26warp_exclusive_scan_kernelIiLj30ELj15EENSt9enable_ifIXsr10test_utilsE35device_test_enabled_for_warp_size_vIXT1_EEEvE4typeEPT_S4_S3_.has_indirect_call, 0
	.section	.AMDGPU.csdata,"",@progbits
; Kernel info:
; codeLenInByte = 432
; TotalNumSgprs: 12
; NumVgprs: 7
; ScratchSize: 0
; MemoryBound: 0
; FloatMode: 240
; IeeeMode: 1
; LDSByteSize: 120 bytes/workgroup (compile time only)
; SGPRBlocks: 1
; VGPRBlocks: 1
; NumSGPRsForWavesPerEU: 12
; NumVGPRsForWavesPerEU: 7
; Occupancy: 10
; WaveLimiterHint : 0
; COMPUTE_PGM_RSRC2:SCRATCH_EN: 0
; COMPUTE_PGM_RSRC2:USER_SGPR: 6
; COMPUTE_PGM_RSRC2:TRAP_HANDLER: 0
; COMPUTE_PGM_RSRC2:TGID_X_EN: 1
; COMPUTE_PGM_RSRC2:TGID_Y_EN: 0
; COMPUTE_PGM_RSRC2:TGID_Z_EN: 0
; COMPUTE_PGM_RSRC2:TIDIG_COMP_CNT: 0
	.section	.text._Z26warp_exclusive_scan_kernelIiLj60ELj15EENSt9enable_ifIXsr10test_utilsE35device_test_enabled_for_warp_size_vIXT1_EEEvE4typeEPT_S4_S3_,"axG",@progbits,_Z26warp_exclusive_scan_kernelIiLj60ELj15EENSt9enable_ifIXsr10test_utilsE35device_test_enabled_for_warp_size_vIXT1_EEEvE4typeEPT_S4_S3_,comdat
	.protected	_Z26warp_exclusive_scan_kernelIiLj60ELj15EENSt9enable_ifIXsr10test_utilsE35device_test_enabled_for_warp_size_vIXT1_EEEvE4typeEPT_S4_S3_ ; -- Begin function _Z26warp_exclusive_scan_kernelIiLj60ELj15EENSt9enable_ifIXsr10test_utilsE35device_test_enabled_for_warp_size_vIXT1_EEEvE4typeEPT_S4_S3_
	.globl	_Z26warp_exclusive_scan_kernelIiLj60ELj15EENSt9enable_ifIXsr10test_utilsE35device_test_enabled_for_warp_size_vIXT1_EEEvE4typeEPT_S4_S3_
	.p2align	8
	.type	_Z26warp_exclusive_scan_kernelIiLj60ELj15EENSt9enable_ifIXsr10test_utilsE35device_test_enabled_for_warp_size_vIXT1_EEEvE4typeEPT_S4_S3_,@function
_Z26warp_exclusive_scan_kernelIiLj60ELj15EENSt9enable_ifIXsr10test_utilsE35device_test_enabled_for_warp_size_vIXT1_EEEvE4typeEPT_S4_S3_: ; @_Z26warp_exclusive_scan_kernelIiLj60ELj15EENSt9enable_ifIXsr10test_utilsE35device_test_enabled_for_warp_size_vIXT1_EEEvE4typeEPT_S4_S3_
; %bb.0:
	s_load_dword s7, s[4:5], 0x24
	s_load_dwordx4 s[0:3], s[4:5], 0x0
	v_mov_b32_e32 v2, 0
	s_waitcnt lgkmcnt(0)
	s_and_b32 s7, s7, 0xffff
	s_mul_i32 s6, s6, s7
	v_add_u32_e32 v1, s6, v0
	v_lshlrev_b64 v[1:2], 2, v[1:2]
	v_mov_b32_e32 v4, s1
	v_add_co_u32_e32 v3, vcc, s0, v1
	v_addc_co_u32_e32 v4, vcc, v4, v2, vcc
	global_load_dword v3, v[3:4], off
	v_mbcnt_lo_u32_b32 v4, -1, 0
	s_mov_b32 s0, 0x11111112
	v_mbcnt_hi_u32_b32 v4, -1, v4
	v_mul_hi_u32 v5, v4, s0
	v_mul_u32_u24_e32 v0, 0x1112, v0
	v_lshrrev_b32_e32 v0, 16, v0
	v_mul_u32_u24_e32 v5, 15, v5
	v_sub_u32_e32 v5, v4, v5
	v_lshlrev_b32_e32 v4, 2, v5
	v_mad_u32_u24 v4, v0, 60, v4
	v_cmp_ne_u32_e32 vcc, 0, v5
	v_add_u32_e32 v0, -4, v4
	s_waitcnt vmcnt(0)
	ds_write_b32 v4, v3
	; wave barrier
	s_and_saveexec_b64 s[0:1], vcc
	s_cbranch_execz .LBB127_2
; %bb.1:
	ds_read_b32 v6, v0
	s_waitcnt lgkmcnt(0)
	v_add_u32_e32 v3, v6, v3
.LBB127_2:
	s_or_b64 exec, exec, s[0:1]
	; wave barrier
	s_and_saveexec_b64 s[0:1], vcc
; %bb.3:
	ds_write_b32 v4, v3
; %bb.4:
	s_or_b64 exec, exec, s[0:1]
	v_cmp_lt_u32_e64 s[0:1], 1, v5
	; wave barrier
	s_and_saveexec_b64 s[6:7], s[0:1]
	s_cbranch_execz .LBB127_6
; %bb.5:
	v_add_u32_e32 v6, -8, v4
	ds_read_b32 v6, v6
	s_waitcnt lgkmcnt(0)
	v_add_u32_e32 v3, v6, v3
.LBB127_6:
	s_or_b64 exec, exec, s[6:7]
	; wave barrier
	s_and_saveexec_b64 s[6:7], s[0:1]
; %bb.7:
	ds_write_b32 v4, v3
; %bb.8:
	s_or_b64 exec, exec, s[6:7]
	v_cmp_lt_u32_e64 s[0:1], 3, v5
	; wave barrier
	s_and_saveexec_b64 s[6:7], s[0:1]
	s_cbranch_execz .LBB127_10
; %bb.9:
	v_add_u32_e32 v6, -16, v4
	ds_read_b32 v6, v6
	s_waitcnt lgkmcnt(0)
	v_add_u32_e32 v3, v6, v3
.LBB127_10:
	s_or_b64 exec, exec, s[6:7]
	; wave barrier
	s_and_saveexec_b64 s[6:7], s[0:1]
; %bb.11:
	ds_write_b32 v4, v3
; %bb.12:
	s_or_b64 exec, exec, s[6:7]
	v_cmp_lt_u32_e64 s[0:1], 7, v5
	; wave barrier
	s_and_saveexec_b64 s[6:7], s[0:1]
	s_cbranch_execz .LBB127_14
; %bb.13:
	v_subrev_u32_e32 v5, 32, v4
	ds_read_b32 v5, v5
	s_waitcnt lgkmcnt(0)
	v_add_u32_e32 v3, v5, v3
.LBB127_14:
	s_or_b64 exec, exec, s[6:7]
	; wave barrier
	s_and_saveexec_b64 s[6:7], s[0:1]
; %bb.15:
	ds_write_b32 v4, v3
; %bb.16:
	s_or_b64 exec, exec, s[6:7]
	s_load_dword s4, s[4:5], 0x10
	; wave barrier
	s_waitcnt lgkmcnt(0)
	v_mov_b32_e32 v3, s4
	s_and_saveexec_b64 s[0:1], vcc
	s_cbranch_execz .LBB127_18
; %bb.17:
	ds_read_b32 v0, v0
	s_waitcnt lgkmcnt(0)
	v_add_u32_e32 v3, s4, v0
.LBB127_18:
	s_or_b64 exec, exec, s[0:1]
	v_mov_b32_e32 v4, s3
	v_add_co_u32_e32 v0, vcc, s2, v1
	v_addc_co_u32_e32 v1, vcc, v4, v2, vcc
	global_store_dword v[0:1], v3, off
	s_endpgm
	.section	.rodata,"a",@progbits
	.p2align	6, 0x0
	.amdhsa_kernel _Z26warp_exclusive_scan_kernelIiLj60ELj15EENSt9enable_ifIXsr10test_utilsE35device_test_enabled_for_warp_size_vIXT1_EEEvE4typeEPT_S4_S3_
		.amdhsa_group_segment_fixed_size 240
		.amdhsa_private_segment_fixed_size 0
		.amdhsa_kernarg_size 280
		.amdhsa_user_sgpr_count 6
		.amdhsa_user_sgpr_private_segment_buffer 1
		.amdhsa_user_sgpr_dispatch_ptr 0
		.amdhsa_user_sgpr_queue_ptr 0
		.amdhsa_user_sgpr_kernarg_segment_ptr 1
		.amdhsa_user_sgpr_dispatch_id 0
		.amdhsa_user_sgpr_flat_scratch_init 0
		.amdhsa_user_sgpr_private_segment_size 0
		.amdhsa_uses_dynamic_stack 0
		.amdhsa_system_sgpr_private_segment_wavefront_offset 0
		.amdhsa_system_sgpr_workgroup_id_x 1
		.amdhsa_system_sgpr_workgroup_id_y 0
		.amdhsa_system_sgpr_workgroup_id_z 0
		.amdhsa_system_sgpr_workgroup_info 0
		.amdhsa_system_vgpr_workitem_id 0
		.amdhsa_next_free_vgpr 7
		.amdhsa_next_free_sgpr 8
		.amdhsa_reserve_vcc 1
		.amdhsa_reserve_flat_scratch 0
		.amdhsa_float_round_mode_32 0
		.amdhsa_float_round_mode_16_64 0
		.amdhsa_float_denorm_mode_32 3
		.amdhsa_float_denorm_mode_16_64 3
		.amdhsa_dx10_clamp 1
		.amdhsa_ieee_mode 1
		.amdhsa_fp16_overflow 0
		.amdhsa_exception_fp_ieee_invalid_op 0
		.amdhsa_exception_fp_denorm_src 0
		.amdhsa_exception_fp_ieee_div_zero 0
		.amdhsa_exception_fp_ieee_overflow 0
		.amdhsa_exception_fp_ieee_underflow 0
		.amdhsa_exception_fp_ieee_inexact 0
		.amdhsa_exception_int_div_zero 0
	.end_amdhsa_kernel
	.section	.text._Z26warp_exclusive_scan_kernelIiLj60ELj15EENSt9enable_ifIXsr10test_utilsE35device_test_enabled_for_warp_size_vIXT1_EEEvE4typeEPT_S4_S3_,"axG",@progbits,_Z26warp_exclusive_scan_kernelIiLj60ELj15EENSt9enable_ifIXsr10test_utilsE35device_test_enabled_for_warp_size_vIXT1_EEEvE4typeEPT_S4_S3_,comdat
.Lfunc_end127:
	.size	_Z26warp_exclusive_scan_kernelIiLj60ELj15EENSt9enable_ifIXsr10test_utilsE35device_test_enabled_for_warp_size_vIXT1_EEEvE4typeEPT_S4_S3_, .Lfunc_end127-_Z26warp_exclusive_scan_kernelIiLj60ELj15EENSt9enable_ifIXsr10test_utilsE35device_test_enabled_for_warp_size_vIXT1_EEEvE4typeEPT_S4_S3_
                                        ; -- End function
	.set _Z26warp_exclusive_scan_kernelIiLj60ELj15EENSt9enable_ifIXsr10test_utilsE35device_test_enabled_for_warp_size_vIXT1_EEEvE4typeEPT_S4_S3_.num_vgpr, 7
	.set _Z26warp_exclusive_scan_kernelIiLj60ELj15EENSt9enable_ifIXsr10test_utilsE35device_test_enabled_for_warp_size_vIXT1_EEEvE4typeEPT_S4_S3_.num_agpr, 0
	.set _Z26warp_exclusive_scan_kernelIiLj60ELj15EENSt9enable_ifIXsr10test_utilsE35device_test_enabled_for_warp_size_vIXT1_EEEvE4typeEPT_S4_S3_.numbered_sgpr, 8
	.set _Z26warp_exclusive_scan_kernelIiLj60ELj15EENSt9enable_ifIXsr10test_utilsE35device_test_enabled_for_warp_size_vIXT1_EEEvE4typeEPT_S4_S3_.num_named_barrier, 0
	.set _Z26warp_exclusive_scan_kernelIiLj60ELj15EENSt9enable_ifIXsr10test_utilsE35device_test_enabled_for_warp_size_vIXT1_EEEvE4typeEPT_S4_S3_.private_seg_size, 0
	.set _Z26warp_exclusive_scan_kernelIiLj60ELj15EENSt9enable_ifIXsr10test_utilsE35device_test_enabled_for_warp_size_vIXT1_EEEvE4typeEPT_S4_S3_.uses_vcc, 1
	.set _Z26warp_exclusive_scan_kernelIiLj60ELj15EENSt9enable_ifIXsr10test_utilsE35device_test_enabled_for_warp_size_vIXT1_EEEvE4typeEPT_S4_S3_.uses_flat_scratch, 0
	.set _Z26warp_exclusive_scan_kernelIiLj60ELj15EENSt9enable_ifIXsr10test_utilsE35device_test_enabled_for_warp_size_vIXT1_EEEvE4typeEPT_S4_S3_.has_dyn_sized_stack, 0
	.set _Z26warp_exclusive_scan_kernelIiLj60ELj15EENSt9enable_ifIXsr10test_utilsE35device_test_enabled_for_warp_size_vIXT1_EEEvE4typeEPT_S4_S3_.has_recursion, 0
	.set _Z26warp_exclusive_scan_kernelIiLj60ELj15EENSt9enable_ifIXsr10test_utilsE35device_test_enabled_for_warp_size_vIXT1_EEEvE4typeEPT_S4_S3_.has_indirect_call, 0
	.section	.AMDGPU.csdata,"",@progbits
; Kernel info:
; codeLenInByte = 432
; TotalNumSgprs: 12
; NumVgprs: 7
; ScratchSize: 0
; MemoryBound: 0
; FloatMode: 240
; IeeeMode: 1
; LDSByteSize: 240 bytes/workgroup (compile time only)
; SGPRBlocks: 1
; VGPRBlocks: 1
; NumSGPRsForWavesPerEU: 12
; NumVGPRsForWavesPerEU: 7
; Occupancy: 10
; WaveLimiterHint : 0
; COMPUTE_PGM_RSRC2:SCRATCH_EN: 0
; COMPUTE_PGM_RSRC2:USER_SGPR: 6
; COMPUTE_PGM_RSRC2:TRAP_HANDLER: 0
; COMPUTE_PGM_RSRC2:TGID_X_EN: 1
; COMPUTE_PGM_RSRC2:TGID_Y_EN: 0
; COMPUTE_PGM_RSRC2:TGID_Z_EN: 0
; COMPUTE_PGM_RSRC2:TIDIG_COMP_CNT: 0
	.section	.text._Z26warp_exclusive_scan_kernelIiLj28ELj7EENSt9enable_ifIXsr10test_utilsE35device_test_enabled_for_warp_size_vIXT1_EEEvE4typeEPT_S4_S3_,"axG",@progbits,_Z26warp_exclusive_scan_kernelIiLj28ELj7EENSt9enable_ifIXsr10test_utilsE35device_test_enabled_for_warp_size_vIXT1_EEEvE4typeEPT_S4_S3_,comdat
	.protected	_Z26warp_exclusive_scan_kernelIiLj28ELj7EENSt9enable_ifIXsr10test_utilsE35device_test_enabled_for_warp_size_vIXT1_EEEvE4typeEPT_S4_S3_ ; -- Begin function _Z26warp_exclusive_scan_kernelIiLj28ELj7EENSt9enable_ifIXsr10test_utilsE35device_test_enabled_for_warp_size_vIXT1_EEEvE4typeEPT_S4_S3_
	.globl	_Z26warp_exclusive_scan_kernelIiLj28ELj7EENSt9enable_ifIXsr10test_utilsE35device_test_enabled_for_warp_size_vIXT1_EEEvE4typeEPT_S4_S3_
	.p2align	8
	.type	_Z26warp_exclusive_scan_kernelIiLj28ELj7EENSt9enable_ifIXsr10test_utilsE35device_test_enabled_for_warp_size_vIXT1_EEEvE4typeEPT_S4_S3_,@function
_Z26warp_exclusive_scan_kernelIiLj28ELj7EENSt9enable_ifIXsr10test_utilsE35device_test_enabled_for_warp_size_vIXT1_EEEvE4typeEPT_S4_S3_: ; @_Z26warp_exclusive_scan_kernelIiLj28ELj7EENSt9enable_ifIXsr10test_utilsE35device_test_enabled_for_warp_size_vIXT1_EEEvE4typeEPT_S4_S3_
; %bb.0:
	s_load_dword s7, s[4:5], 0x24
	s_load_dwordx4 s[0:3], s[4:5], 0x0
	v_mov_b32_e32 v2, 0
	s_waitcnt lgkmcnt(0)
	s_and_b32 s7, s7, 0xffff
	s_mul_i32 s6, s6, s7
	v_add_u32_e32 v1, s6, v0
	v_lshlrev_b64 v[1:2], 2, v[1:2]
	v_mov_b32_e32 v4, s1
	v_add_co_u32_e32 v3, vcc, s0, v1
	v_addc_co_u32_e32 v4, vcc, v4, v2, vcc
	global_load_dword v3, v[3:4], off
	v_mbcnt_lo_u32_b32 v4, -1, 0
	s_mov_b32 s0, 0x24924925
	v_mbcnt_hi_u32_b32 v4, -1, v4
	v_mul_hi_u32 v5, v4, s0
	v_mul_u32_u24_e32 v0, 0x2493, v0
	v_lshrrev_b32_e32 v0, 16, v0
	v_mul_u32_u24_e32 v5, 7, v5
	v_sub_u32_e32 v5, v4, v5
	v_lshlrev_b32_e32 v4, 2, v5
	v_mad_u32_u24 v4, v0, 28, v4
	v_cmp_ne_u32_e32 vcc, 0, v5
	v_add_u32_e32 v0, -4, v4
	s_waitcnt vmcnt(0)
	ds_write_b32 v4, v3
	; wave barrier
	s_and_saveexec_b64 s[0:1], vcc
	s_cbranch_execz .LBB128_2
; %bb.1:
	ds_read_b32 v6, v0
	s_waitcnt lgkmcnt(0)
	v_add_u32_e32 v3, v6, v3
.LBB128_2:
	s_or_b64 exec, exec, s[0:1]
	; wave barrier
	s_and_saveexec_b64 s[0:1], vcc
; %bb.3:
	ds_write_b32 v4, v3
; %bb.4:
	s_or_b64 exec, exec, s[0:1]
	v_cmp_lt_u32_e64 s[0:1], 1, v5
	; wave barrier
	s_and_saveexec_b64 s[6:7], s[0:1]
	s_cbranch_execz .LBB128_6
; %bb.5:
	v_add_u32_e32 v6, -8, v4
	ds_read_b32 v6, v6
	s_waitcnt lgkmcnt(0)
	v_add_u32_e32 v3, v6, v3
.LBB128_6:
	s_or_b64 exec, exec, s[6:7]
	; wave barrier
	s_and_saveexec_b64 s[6:7], s[0:1]
; %bb.7:
	ds_write_b32 v4, v3
; %bb.8:
	s_or_b64 exec, exec, s[6:7]
	v_cmp_lt_u32_e64 s[0:1], 3, v5
	; wave barrier
	s_and_saveexec_b64 s[6:7], s[0:1]
	s_cbranch_execz .LBB128_10
; %bb.9:
	v_add_u32_e32 v5, -16, v4
	ds_read_b32 v5, v5
	s_waitcnt lgkmcnt(0)
	v_add_u32_e32 v3, v5, v3
.LBB128_10:
	s_or_b64 exec, exec, s[6:7]
	; wave barrier
	s_and_saveexec_b64 s[6:7], s[0:1]
; %bb.11:
	ds_write_b32 v4, v3
; %bb.12:
	s_or_b64 exec, exec, s[6:7]
	s_load_dword s4, s[4:5], 0x10
	; wave barrier
	s_waitcnt lgkmcnt(0)
	v_mov_b32_e32 v3, s4
	s_and_saveexec_b64 s[0:1], vcc
	s_cbranch_execz .LBB128_14
; %bb.13:
	ds_read_b32 v0, v0
	s_waitcnt lgkmcnt(0)
	v_add_u32_e32 v3, s4, v0
.LBB128_14:
	s_or_b64 exec, exec, s[0:1]
	v_mov_b32_e32 v4, s3
	v_add_co_u32_e32 v0, vcc, s2, v1
	v_addc_co_u32_e32 v1, vcc, v4, v2, vcc
	global_store_dword v[0:1], v3, off
	s_endpgm
	.section	.rodata,"a",@progbits
	.p2align	6, 0x0
	.amdhsa_kernel _Z26warp_exclusive_scan_kernelIiLj28ELj7EENSt9enable_ifIXsr10test_utilsE35device_test_enabled_for_warp_size_vIXT1_EEEvE4typeEPT_S4_S3_
		.amdhsa_group_segment_fixed_size 112
		.amdhsa_private_segment_fixed_size 0
		.amdhsa_kernarg_size 280
		.amdhsa_user_sgpr_count 6
		.amdhsa_user_sgpr_private_segment_buffer 1
		.amdhsa_user_sgpr_dispatch_ptr 0
		.amdhsa_user_sgpr_queue_ptr 0
		.amdhsa_user_sgpr_kernarg_segment_ptr 1
		.amdhsa_user_sgpr_dispatch_id 0
		.amdhsa_user_sgpr_flat_scratch_init 0
		.amdhsa_user_sgpr_private_segment_size 0
		.amdhsa_uses_dynamic_stack 0
		.amdhsa_system_sgpr_private_segment_wavefront_offset 0
		.amdhsa_system_sgpr_workgroup_id_x 1
		.amdhsa_system_sgpr_workgroup_id_y 0
		.amdhsa_system_sgpr_workgroup_id_z 0
		.amdhsa_system_sgpr_workgroup_info 0
		.amdhsa_system_vgpr_workitem_id 0
		.amdhsa_next_free_vgpr 7
		.amdhsa_next_free_sgpr 8
		.amdhsa_reserve_vcc 1
		.amdhsa_reserve_flat_scratch 0
		.amdhsa_float_round_mode_32 0
		.amdhsa_float_round_mode_16_64 0
		.amdhsa_float_denorm_mode_32 3
		.amdhsa_float_denorm_mode_16_64 3
		.amdhsa_dx10_clamp 1
		.amdhsa_ieee_mode 1
		.amdhsa_fp16_overflow 0
		.amdhsa_exception_fp_ieee_invalid_op 0
		.amdhsa_exception_fp_denorm_src 0
		.amdhsa_exception_fp_ieee_div_zero 0
		.amdhsa_exception_fp_ieee_overflow 0
		.amdhsa_exception_fp_ieee_underflow 0
		.amdhsa_exception_fp_ieee_inexact 0
		.amdhsa_exception_int_div_zero 0
	.end_amdhsa_kernel
	.section	.text._Z26warp_exclusive_scan_kernelIiLj28ELj7EENSt9enable_ifIXsr10test_utilsE35device_test_enabled_for_warp_size_vIXT1_EEEvE4typeEPT_S4_S3_,"axG",@progbits,_Z26warp_exclusive_scan_kernelIiLj28ELj7EENSt9enable_ifIXsr10test_utilsE35device_test_enabled_for_warp_size_vIXT1_EEEvE4typeEPT_S4_S3_,comdat
.Lfunc_end128:
	.size	_Z26warp_exclusive_scan_kernelIiLj28ELj7EENSt9enable_ifIXsr10test_utilsE35device_test_enabled_for_warp_size_vIXT1_EEEvE4typeEPT_S4_S3_, .Lfunc_end128-_Z26warp_exclusive_scan_kernelIiLj28ELj7EENSt9enable_ifIXsr10test_utilsE35device_test_enabled_for_warp_size_vIXT1_EEEvE4typeEPT_S4_S3_
                                        ; -- End function
	.set _Z26warp_exclusive_scan_kernelIiLj28ELj7EENSt9enable_ifIXsr10test_utilsE35device_test_enabled_for_warp_size_vIXT1_EEEvE4typeEPT_S4_S3_.num_vgpr, 7
	.set _Z26warp_exclusive_scan_kernelIiLj28ELj7EENSt9enable_ifIXsr10test_utilsE35device_test_enabled_for_warp_size_vIXT1_EEEvE4typeEPT_S4_S3_.num_agpr, 0
	.set _Z26warp_exclusive_scan_kernelIiLj28ELj7EENSt9enable_ifIXsr10test_utilsE35device_test_enabled_for_warp_size_vIXT1_EEEvE4typeEPT_S4_S3_.numbered_sgpr, 8
	.set _Z26warp_exclusive_scan_kernelIiLj28ELj7EENSt9enable_ifIXsr10test_utilsE35device_test_enabled_for_warp_size_vIXT1_EEEvE4typeEPT_S4_S3_.num_named_barrier, 0
	.set _Z26warp_exclusive_scan_kernelIiLj28ELj7EENSt9enable_ifIXsr10test_utilsE35device_test_enabled_for_warp_size_vIXT1_EEEvE4typeEPT_S4_S3_.private_seg_size, 0
	.set _Z26warp_exclusive_scan_kernelIiLj28ELj7EENSt9enable_ifIXsr10test_utilsE35device_test_enabled_for_warp_size_vIXT1_EEEvE4typeEPT_S4_S3_.uses_vcc, 1
	.set _Z26warp_exclusive_scan_kernelIiLj28ELj7EENSt9enable_ifIXsr10test_utilsE35device_test_enabled_for_warp_size_vIXT1_EEEvE4typeEPT_S4_S3_.uses_flat_scratch, 0
	.set _Z26warp_exclusive_scan_kernelIiLj28ELj7EENSt9enable_ifIXsr10test_utilsE35device_test_enabled_for_warp_size_vIXT1_EEEvE4typeEPT_S4_S3_.has_dyn_sized_stack, 0
	.set _Z26warp_exclusive_scan_kernelIiLj28ELj7EENSt9enable_ifIXsr10test_utilsE35device_test_enabled_for_warp_size_vIXT1_EEEvE4typeEPT_S4_S3_.has_recursion, 0
	.set _Z26warp_exclusive_scan_kernelIiLj28ELj7EENSt9enable_ifIXsr10test_utilsE35device_test_enabled_for_warp_size_vIXT1_EEEvE4typeEPT_S4_S3_.has_indirect_call, 0
	.section	.AMDGPU.csdata,"",@progbits
; Kernel info:
; codeLenInByte = 376
; TotalNumSgprs: 12
; NumVgprs: 7
; ScratchSize: 0
; MemoryBound: 0
; FloatMode: 240
; IeeeMode: 1
; LDSByteSize: 112 bytes/workgroup (compile time only)
; SGPRBlocks: 1
; VGPRBlocks: 1
; NumSGPRsForWavesPerEU: 12
; NumVGPRsForWavesPerEU: 7
; Occupancy: 10
; WaveLimiterHint : 0
; COMPUTE_PGM_RSRC2:SCRATCH_EN: 0
; COMPUTE_PGM_RSRC2:USER_SGPR: 6
; COMPUTE_PGM_RSRC2:TRAP_HANDLER: 0
; COMPUTE_PGM_RSRC2:TGID_X_EN: 1
; COMPUTE_PGM_RSRC2:TGID_Y_EN: 0
; COMPUTE_PGM_RSRC2:TGID_Z_EN: 0
; COMPUTE_PGM_RSRC2:TIDIG_COMP_CNT: 0
	.section	.text._Z26warp_exclusive_scan_kernelIiLj63ELj7EENSt9enable_ifIXsr10test_utilsE35device_test_enabled_for_warp_size_vIXT1_EEEvE4typeEPT_S4_S3_,"axG",@progbits,_Z26warp_exclusive_scan_kernelIiLj63ELj7EENSt9enable_ifIXsr10test_utilsE35device_test_enabled_for_warp_size_vIXT1_EEEvE4typeEPT_S4_S3_,comdat
	.protected	_Z26warp_exclusive_scan_kernelIiLj63ELj7EENSt9enable_ifIXsr10test_utilsE35device_test_enabled_for_warp_size_vIXT1_EEEvE4typeEPT_S4_S3_ ; -- Begin function _Z26warp_exclusive_scan_kernelIiLj63ELj7EENSt9enable_ifIXsr10test_utilsE35device_test_enabled_for_warp_size_vIXT1_EEEvE4typeEPT_S4_S3_
	.globl	_Z26warp_exclusive_scan_kernelIiLj63ELj7EENSt9enable_ifIXsr10test_utilsE35device_test_enabled_for_warp_size_vIXT1_EEEvE4typeEPT_S4_S3_
	.p2align	8
	.type	_Z26warp_exclusive_scan_kernelIiLj63ELj7EENSt9enable_ifIXsr10test_utilsE35device_test_enabled_for_warp_size_vIXT1_EEEvE4typeEPT_S4_S3_,@function
_Z26warp_exclusive_scan_kernelIiLj63ELj7EENSt9enable_ifIXsr10test_utilsE35device_test_enabled_for_warp_size_vIXT1_EEEvE4typeEPT_S4_S3_: ; @_Z26warp_exclusive_scan_kernelIiLj63ELj7EENSt9enable_ifIXsr10test_utilsE35device_test_enabled_for_warp_size_vIXT1_EEEvE4typeEPT_S4_S3_
; %bb.0:
	s_load_dword s7, s[4:5], 0x24
	s_load_dwordx4 s[0:3], s[4:5], 0x0
	v_mov_b32_e32 v2, 0
	s_waitcnt lgkmcnt(0)
	s_and_b32 s7, s7, 0xffff
	s_mul_i32 s6, s6, s7
	v_add_u32_e32 v1, s6, v0
	v_lshlrev_b64 v[1:2], 2, v[1:2]
	v_mov_b32_e32 v4, s1
	v_add_co_u32_e32 v3, vcc, s0, v1
	v_addc_co_u32_e32 v4, vcc, v4, v2, vcc
	global_load_dword v3, v[3:4], off
	v_mbcnt_lo_u32_b32 v4, -1, 0
	s_mov_b32 s0, 0x24924925
	v_mbcnt_hi_u32_b32 v4, -1, v4
	v_mul_hi_u32 v5, v4, s0
	v_mul_u32_u24_e32 v0, 0x2493, v0
	v_lshrrev_b32_e32 v0, 16, v0
	v_mul_u32_u24_e32 v5, 7, v5
	v_sub_u32_e32 v5, v4, v5
	v_lshlrev_b32_e32 v4, 2, v5
	v_mad_u32_u24 v4, v0, 28, v4
	v_cmp_ne_u32_e32 vcc, 0, v5
	v_add_u32_e32 v0, -4, v4
	s_waitcnt vmcnt(0)
	ds_write_b32 v4, v3
	; wave barrier
	s_and_saveexec_b64 s[0:1], vcc
	s_cbranch_execz .LBB129_2
; %bb.1:
	ds_read_b32 v6, v0
	s_waitcnt lgkmcnt(0)
	v_add_u32_e32 v3, v6, v3
.LBB129_2:
	s_or_b64 exec, exec, s[0:1]
	; wave barrier
	s_and_saveexec_b64 s[0:1], vcc
; %bb.3:
	ds_write_b32 v4, v3
; %bb.4:
	s_or_b64 exec, exec, s[0:1]
	v_cmp_lt_u32_e64 s[0:1], 1, v5
	; wave barrier
	s_and_saveexec_b64 s[6:7], s[0:1]
	s_cbranch_execz .LBB129_6
; %bb.5:
	v_add_u32_e32 v6, -8, v4
	ds_read_b32 v6, v6
	s_waitcnt lgkmcnt(0)
	v_add_u32_e32 v3, v6, v3
.LBB129_6:
	s_or_b64 exec, exec, s[6:7]
	; wave barrier
	s_and_saveexec_b64 s[6:7], s[0:1]
; %bb.7:
	ds_write_b32 v4, v3
; %bb.8:
	s_or_b64 exec, exec, s[6:7]
	v_cmp_lt_u32_e64 s[0:1], 3, v5
	; wave barrier
	s_and_saveexec_b64 s[6:7], s[0:1]
	s_cbranch_execz .LBB129_10
; %bb.9:
	v_add_u32_e32 v5, -16, v4
	ds_read_b32 v5, v5
	s_waitcnt lgkmcnt(0)
	v_add_u32_e32 v3, v5, v3
.LBB129_10:
	s_or_b64 exec, exec, s[6:7]
	; wave barrier
	s_and_saveexec_b64 s[6:7], s[0:1]
; %bb.11:
	ds_write_b32 v4, v3
; %bb.12:
	s_or_b64 exec, exec, s[6:7]
	s_load_dword s4, s[4:5], 0x10
	; wave barrier
	s_waitcnt lgkmcnt(0)
	v_mov_b32_e32 v3, s4
	s_and_saveexec_b64 s[0:1], vcc
	s_cbranch_execz .LBB129_14
; %bb.13:
	ds_read_b32 v0, v0
	s_waitcnt lgkmcnt(0)
	v_add_u32_e32 v3, s4, v0
.LBB129_14:
	s_or_b64 exec, exec, s[0:1]
	v_mov_b32_e32 v4, s3
	v_add_co_u32_e32 v0, vcc, s2, v1
	v_addc_co_u32_e32 v1, vcc, v4, v2, vcc
	global_store_dword v[0:1], v3, off
	s_endpgm
	.section	.rodata,"a",@progbits
	.p2align	6, 0x0
	.amdhsa_kernel _Z26warp_exclusive_scan_kernelIiLj63ELj7EENSt9enable_ifIXsr10test_utilsE35device_test_enabled_for_warp_size_vIXT1_EEEvE4typeEPT_S4_S3_
		.amdhsa_group_segment_fixed_size 252
		.amdhsa_private_segment_fixed_size 0
		.amdhsa_kernarg_size 280
		.amdhsa_user_sgpr_count 6
		.amdhsa_user_sgpr_private_segment_buffer 1
		.amdhsa_user_sgpr_dispatch_ptr 0
		.amdhsa_user_sgpr_queue_ptr 0
		.amdhsa_user_sgpr_kernarg_segment_ptr 1
		.amdhsa_user_sgpr_dispatch_id 0
		.amdhsa_user_sgpr_flat_scratch_init 0
		.amdhsa_user_sgpr_private_segment_size 0
		.amdhsa_uses_dynamic_stack 0
		.amdhsa_system_sgpr_private_segment_wavefront_offset 0
		.amdhsa_system_sgpr_workgroup_id_x 1
		.amdhsa_system_sgpr_workgroup_id_y 0
		.amdhsa_system_sgpr_workgroup_id_z 0
		.amdhsa_system_sgpr_workgroup_info 0
		.amdhsa_system_vgpr_workitem_id 0
		.amdhsa_next_free_vgpr 7
		.amdhsa_next_free_sgpr 8
		.amdhsa_reserve_vcc 1
		.amdhsa_reserve_flat_scratch 0
		.amdhsa_float_round_mode_32 0
		.amdhsa_float_round_mode_16_64 0
		.amdhsa_float_denorm_mode_32 3
		.amdhsa_float_denorm_mode_16_64 3
		.amdhsa_dx10_clamp 1
		.amdhsa_ieee_mode 1
		.amdhsa_fp16_overflow 0
		.amdhsa_exception_fp_ieee_invalid_op 0
		.amdhsa_exception_fp_denorm_src 0
		.amdhsa_exception_fp_ieee_div_zero 0
		.amdhsa_exception_fp_ieee_overflow 0
		.amdhsa_exception_fp_ieee_underflow 0
		.amdhsa_exception_fp_ieee_inexact 0
		.amdhsa_exception_int_div_zero 0
	.end_amdhsa_kernel
	.section	.text._Z26warp_exclusive_scan_kernelIiLj63ELj7EENSt9enable_ifIXsr10test_utilsE35device_test_enabled_for_warp_size_vIXT1_EEEvE4typeEPT_S4_S3_,"axG",@progbits,_Z26warp_exclusive_scan_kernelIiLj63ELj7EENSt9enable_ifIXsr10test_utilsE35device_test_enabled_for_warp_size_vIXT1_EEEvE4typeEPT_S4_S3_,comdat
.Lfunc_end129:
	.size	_Z26warp_exclusive_scan_kernelIiLj63ELj7EENSt9enable_ifIXsr10test_utilsE35device_test_enabled_for_warp_size_vIXT1_EEEvE4typeEPT_S4_S3_, .Lfunc_end129-_Z26warp_exclusive_scan_kernelIiLj63ELj7EENSt9enable_ifIXsr10test_utilsE35device_test_enabled_for_warp_size_vIXT1_EEEvE4typeEPT_S4_S3_
                                        ; -- End function
	.set _Z26warp_exclusive_scan_kernelIiLj63ELj7EENSt9enable_ifIXsr10test_utilsE35device_test_enabled_for_warp_size_vIXT1_EEEvE4typeEPT_S4_S3_.num_vgpr, 7
	.set _Z26warp_exclusive_scan_kernelIiLj63ELj7EENSt9enable_ifIXsr10test_utilsE35device_test_enabled_for_warp_size_vIXT1_EEEvE4typeEPT_S4_S3_.num_agpr, 0
	.set _Z26warp_exclusive_scan_kernelIiLj63ELj7EENSt9enable_ifIXsr10test_utilsE35device_test_enabled_for_warp_size_vIXT1_EEEvE4typeEPT_S4_S3_.numbered_sgpr, 8
	.set _Z26warp_exclusive_scan_kernelIiLj63ELj7EENSt9enable_ifIXsr10test_utilsE35device_test_enabled_for_warp_size_vIXT1_EEEvE4typeEPT_S4_S3_.num_named_barrier, 0
	.set _Z26warp_exclusive_scan_kernelIiLj63ELj7EENSt9enable_ifIXsr10test_utilsE35device_test_enabled_for_warp_size_vIXT1_EEEvE4typeEPT_S4_S3_.private_seg_size, 0
	.set _Z26warp_exclusive_scan_kernelIiLj63ELj7EENSt9enable_ifIXsr10test_utilsE35device_test_enabled_for_warp_size_vIXT1_EEEvE4typeEPT_S4_S3_.uses_vcc, 1
	.set _Z26warp_exclusive_scan_kernelIiLj63ELj7EENSt9enable_ifIXsr10test_utilsE35device_test_enabled_for_warp_size_vIXT1_EEEvE4typeEPT_S4_S3_.uses_flat_scratch, 0
	.set _Z26warp_exclusive_scan_kernelIiLj63ELj7EENSt9enable_ifIXsr10test_utilsE35device_test_enabled_for_warp_size_vIXT1_EEEvE4typeEPT_S4_S3_.has_dyn_sized_stack, 0
	.set _Z26warp_exclusive_scan_kernelIiLj63ELj7EENSt9enable_ifIXsr10test_utilsE35device_test_enabled_for_warp_size_vIXT1_EEEvE4typeEPT_S4_S3_.has_recursion, 0
	.set _Z26warp_exclusive_scan_kernelIiLj63ELj7EENSt9enable_ifIXsr10test_utilsE35device_test_enabled_for_warp_size_vIXT1_EEEvE4typeEPT_S4_S3_.has_indirect_call, 0
	.section	.AMDGPU.csdata,"",@progbits
; Kernel info:
; codeLenInByte = 376
; TotalNumSgprs: 12
; NumVgprs: 7
; ScratchSize: 0
; MemoryBound: 0
; FloatMode: 240
; IeeeMode: 1
; LDSByteSize: 252 bytes/workgroup (compile time only)
; SGPRBlocks: 1
; VGPRBlocks: 1
; NumSGPRsForWavesPerEU: 12
; NumVGPRsForWavesPerEU: 7
; Occupancy: 10
; WaveLimiterHint : 0
; COMPUTE_PGM_RSRC2:SCRATCH_EN: 0
; COMPUTE_PGM_RSRC2:USER_SGPR: 6
; COMPUTE_PGM_RSRC2:TRAP_HANDLER: 0
; COMPUTE_PGM_RSRC2:TGID_X_EN: 1
; COMPUTE_PGM_RSRC2:TGID_Y_EN: 0
; COMPUTE_PGM_RSRC2:TGID_Z_EN: 0
; COMPUTE_PGM_RSRC2:TIDIG_COMP_CNT: 0
	.section	.text._Z26warp_exclusive_scan_kernelIiLj30ELj3EENSt9enable_ifIXsr10test_utilsE35device_test_enabled_for_warp_size_vIXT1_EEEvE4typeEPT_S4_S3_,"axG",@progbits,_Z26warp_exclusive_scan_kernelIiLj30ELj3EENSt9enable_ifIXsr10test_utilsE35device_test_enabled_for_warp_size_vIXT1_EEEvE4typeEPT_S4_S3_,comdat
	.protected	_Z26warp_exclusive_scan_kernelIiLj30ELj3EENSt9enable_ifIXsr10test_utilsE35device_test_enabled_for_warp_size_vIXT1_EEEvE4typeEPT_S4_S3_ ; -- Begin function _Z26warp_exclusive_scan_kernelIiLj30ELj3EENSt9enable_ifIXsr10test_utilsE35device_test_enabled_for_warp_size_vIXT1_EEEvE4typeEPT_S4_S3_
	.globl	_Z26warp_exclusive_scan_kernelIiLj30ELj3EENSt9enable_ifIXsr10test_utilsE35device_test_enabled_for_warp_size_vIXT1_EEEvE4typeEPT_S4_S3_
	.p2align	8
	.type	_Z26warp_exclusive_scan_kernelIiLj30ELj3EENSt9enable_ifIXsr10test_utilsE35device_test_enabled_for_warp_size_vIXT1_EEEvE4typeEPT_S4_S3_,@function
_Z26warp_exclusive_scan_kernelIiLj30ELj3EENSt9enable_ifIXsr10test_utilsE35device_test_enabled_for_warp_size_vIXT1_EEEvE4typeEPT_S4_S3_: ; @_Z26warp_exclusive_scan_kernelIiLj30ELj3EENSt9enable_ifIXsr10test_utilsE35device_test_enabled_for_warp_size_vIXT1_EEEvE4typeEPT_S4_S3_
; %bb.0:
	s_load_dword s7, s[4:5], 0x24
	s_load_dwordx4 s[0:3], s[4:5], 0x0
	v_mov_b32_e32 v2, 0
	s_waitcnt lgkmcnt(0)
	s_and_b32 s7, s7, 0xffff
	s_mul_i32 s6, s6, s7
	v_add_u32_e32 v1, s6, v0
	v_lshlrev_b64 v[1:2], 2, v[1:2]
	v_mov_b32_e32 v4, s1
	v_add_co_u32_e32 v3, vcc, s0, v1
	v_addc_co_u32_e32 v4, vcc, v4, v2, vcc
	global_load_dword v3, v[3:4], off
	v_mbcnt_lo_u32_b32 v4, -1, 0
	s_mov_b32 s0, 0x55555556
	v_mbcnt_hi_u32_b32 v4, -1, v4
	v_mul_hi_u32 v5, v4, s0
	v_mul_u32_u24_e32 v0, 0x5556, v0
	v_lshrrev_b32_e32 v6, 16, v0
	v_mul_u32_u24_e32 v0, 3, v5
	v_sub_u32_e32 v5, v4, v0
	v_lshlrev_b32_e32 v0, 2, v5
	v_mad_u32_u24 v4, v6, 12, v0
	v_cmp_ne_u32_e32 vcc, 0, v5
	v_add_u32_e32 v0, -4, v4
	s_waitcnt vmcnt(0)
	ds_write_b32 v4, v3
	; wave barrier
	s_and_saveexec_b64 s[0:1], vcc
	s_cbranch_execz .LBB130_2
; %bb.1:
	ds_read_b32 v7, v0
	s_waitcnt lgkmcnt(0)
	v_add_u32_e32 v3, v7, v3
.LBB130_2:
	s_or_b64 exec, exec, s[0:1]
	v_mul_u32_u24_e32 v6, 12, v6
	; wave barrier
	s_and_saveexec_b64 s[0:1], vcc
; %bb.3:
	ds_write_b32 v4, v3
; %bb.4:
	s_or_b64 exec, exec, s[0:1]
	; wave barrier
	ds_read_b32 v6, v6
	v_cmp_lt_u32_e64 s[0:1], 1, v5
	; wave barrier
	s_and_saveexec_b64 s[6:7], s[0:1]
	s_cbranch_execz .LBB130_6
; %bb.5:
	s_waitcnt lgkmcnt(0)
	v_add_u32_e32 v3, v6, v3
	ds_write_b32 v4, v3
.LBB130_6:
	s_or_b64 exec, exec, s[6:7]
	s_load_dword s4, s[4:5], 0x10
	; wave barrier
	s_waitcnt lgkmcnt(0)
	v_mov_b32_e32 v3, s4
	s_and_saveexec_b64 s[0:1], vcc
	s_cbranch_execz .LBB130_8
; %bb.7:
	ds_read_b32 v0, v0
	s_waitcnt lgkmcnt(0)
	v_add_u32_e32 v3, s4, v0
.LBB130_8:
	s_or_b64 exec, exec, s[0:1]
	v_mov_b32_e32 v4, s3
	v_add_co_u32_e32 v0, vcc, s2, v1
	v_addc_co_u32_e32 v1, vcc, v4, v2, vcc
	global_store_dword v[0:1], v3, off
	s_endpgm
	.section	.rodata,"a",@progbits
	.p2align	6, 0x0
	.amdhsa_kernel _Z26warp_exclusive_scan_kernelIiLj30ELj3EENSt9enable_ifIXsr10test_utilsE35device_test_enabled_for_warp_size_vIXT1_EEEvE4typeEPT_S4_S3_
		.amdhsa_group_segment_fixed_size 120
		.amdhsa_private_segment_fixed_size 0
		.amdhsa_kernarg_size 280
		.amdhsa_user_sgpr_count 6
		.amdhsa_user_sgpr_private_segment_buffer 1
		.amdhsa_user_sgpr_dispatch_ptr 0
		.amdhsa_user_sgpr_queue_ptr 0
		.amdhsa_user_sgpr_kernarg_segment_ptr 1
		.amdhsa_user_sgpr_dispatch_id 0
		.amdhsa_user_sgpr_flat_scratch_init 0
		.amdhsa_user_sgpr_private_segment_size 0
		.amdhsa_uses_dynamic_stack 0
		.amdhsa_system_sgpr_private_segment_wavefront_offset 0
		.amdhsa_system_sgpr_workgroup_id_x 1
		.amdhsa_system_sgpr_workgroup_id_y 0
		.amdhsa_system_sgpr_workgroup_id_z 0
		.amdhsa_system_sgpr_workgroup_info 0
		.amdhsa_system_vgpr_workitem_id 0
		.amdhsa_next_free_vgpr 8
		.amdhsa_next_free_sgpr 8
		.amdhsa_reserve_vcc 1
		.amdhsa_reserve_flat_scratch 0
		.amdhsa_float_round_mode_32 0
		.amdhsa_float_round_mode_16_64 0
		.amdhsa_float_denorm_mode_32 3
		.amdhsa_float_denorm_mode_16_64 3
		.amdhsa_dx10_clamp 1
		.amdhsa_ieee_mode 1
		.amdhsa_fp16_overflow 0
		.amdhsa_exception_fp_ieee_invalid_op 0
		.amdhsa_exception_fp_denorm_src 0
		.amdhsa_exception_fp_ieee_div_zero 0
		.amdhsa_exception_fp_ieee_overflow 0
		.amdhsa_exception_fp_ieee_underflow 0
		.amdhsa_exception_fp_ieee_inexact 0
		.amdhsa_exception_int_div_zero 0
	.end_amdhsa_kernel
	.section	.text._Z26warp_exclusive_scan_kernelIiLj30ELj3EENSt9enable_ifIXsr10test_utilsE35device_test_enabled_for_warp_size_vIXT1_EEEvE4typeEPT_S4_S3_,"axG",@progbits,_Z26warp_exclusive_scan_kernelIiLj30ELj3EENSt9enable_ifIXsr10test_utilsE35device_test_enabled_for_warp_size_vIXT1_EEEvE4typeEPT_S4_S3_,comdat
.Lfunc_end130:
	.size	_Z26warp_exclusive_scan_kernelIiLj30ELj3EENSt9enable_ifIXsr10test_utilsE35device_test_enabled_for_warp_size_vIXT1_EEEvE4typeEPT_S4_S3_, .Lfunc_end130-_Z26warp_exclusive_scan_kernelIiLj30ELj3EENSt9enable_ifIXsr10test_utilsE35device_test_enabled_for_warp_size_vIXT1_EEEvE4typeEPT_S4_S3_
                                        ; -- End function
	.set _Z26warp_exclusive_scan_kernelIiLj30ELj3EENSt9enable_ifIXsr10test_utilsE35device_test_enabled_for_warp_size_vIXT1_EEEvE4typeEPT_S4_S3_.num_vgpr, 8
	.set _Z26warp_exclusive_scan_kernelIiLj30ELj3EENSt9enable_ifIXsr10test_utilsE35device_test_enabled_for_warp_size_vIXT1_EEEvE4typeEPT_S4_S3_.num_agpr, 0
	.set _Z26warp_exclusive_scan_kernelIiLj30ELj3EENSt9enable_ifIXsr10test_utilsE35device_test_enabled_for_warp_size_vIXT1_EEEvE4typeEPT_S4_S3_.numbered_sgpr, 8
	.set _Z26warp_exclusive_scan_kernelIiLj30ELj3EENSt9enable_ifIXsr10test_utilsE35device_test_enabled_for_warp_size_vIXT1_EEEvE4typeEPT_S4_S3_.num_named_barrier, 0
	.set _Z26warp_exclusive_scan_kernelIiLj30ELj3EENSt9enable_ifIXsr10test_utilsE35device_test_enabled_for_warp_size_vIXT1_EEEvE4typeEPT_S4_S3_.private_seg_size, 0
	.set _Z26warp_exclusive_scan_kernelIiLj30ELj3EENSt9enable_ifIXsr10test_utilsE35device_test_enabled_for_warp_size_vIXT1_EEEvE4typeEPT_S4_S3_.uses_vcc, 1
	.set _Z26warp_exclusive_scan_kernelIiLj30ELj3EENSt9enable_ifIXsr10test_utilsE35device_test_enabled_for_warp_size_vIXT1_EEEvE4typeEPT_S4_S3_.uses_flat_scratch, 0
	.set _Z26warp_exclusive_scan_kernelIiLj30ELj3EENSt9enable_ifIXsr10test_utilsE35device_test_enabled_for_warp_size_vIXT1_EEEvE4typeEPT_S4_S3_.has_dyn_sized_stack, 0
	.set _Z26warp_exclusive_scan_kernelIiLj30ELj3EENSt9enable_ifIXsr10test_utilsE35device_test_enabled_for_warp_size_vIXT1_EEEvE4typeEPT_S4_S3_.has_recursion, 0
	.set _Z26warp_exclusive_scan_kernelIiLj30ELj3EENSt9enable_ifIXsr10test_utilsE35device_test_enabled_for_warp_size_vIXT1_EEEvE4typeEPT_S4_S3_.has_indirect_call, 0
	.section	.AMDGPU.csdata,"",@progbits
; Kernel info:
; codeLenInByte = 312
; TotalNumSgprs: 12
; NumVgprs: 8
; ScratchSize: 0
; MemoryBound: 0
; FloatMode: 240
; IeeeMode: 1
; LDSByteSize: 120 bytes/workgroup (compile time only)
; SGPRBlocks: 1
; VGPRBlocks: 1
; NumSGPRsForWavesPerEU: 12
; NumVGPRsForWavesPerEU: 8
; Occupancy: 10
; WaveLimiterHint : 0
; COMPUTE_PGM_RSRC2:SCRATCH_EN: 0
; COMPUTE_PGM_RSRC2:USER_SGPR: 6
; COMPUTE_PGM_RSRC2:TRAP_HANDLER: 0
; COMPUTE_PGM_RSRC2:TGID_X_EN: 1
; COMPUTE_PGM_RSRC2:TGID_Y_EN: 0
; COMPUTE_PGM_RSRC2:TGID_Z_EN: 0
; COMPUTE_PGM_RSRC2:TIDIG_COMP_CNT: 0
	.section	.text._Z26warp_exclusive_scan_kernelIiLj63ELj3EENSt9enable_ifIXsr10test_utilsE35device_test_enabled_for_warp_size_vIXT1_EEEvE4typeEPT_S4_S3_,"axG",@progbits,_Z26warp_exclusive_scan_kernelIiLj63ELj3EENSt9enable_ifIXsr10test_utilsE35device_test_enabled_for_warp_size_vIXT1_EEEvE4typeEPT_S4_S3_,comdat
	.protected	_Z26warp_exclusive_scan_kernelIiLj63ELj3EENSt9enable_ifIXsr10test_utilsE35device_test_enabled_for_warp_size_vIXT1_EEEvE4typeEPT_S4_S3_ ; -- Begin function _Z26warp_exclusive_scan_kernelIiLj63ELj3EENSt9enable_ifIXsr10test_utilsE35device_test_enabled_for_warp_size_vIXT1_EEEvE4typeEPT_S4_S3_
	.globl	_Z26warp_exclusive_scan_kernelIiLj63ELj3EENSt9enable_ifIXsr10test_utilsE35device_test_enabled_for_warp_size_vIXT1_EEEvE4typeEPT_S4_S3_
	.p2align	8
	.type	_Z26warp_exclusive_scan_kernelIiLj63ELj3EENSt9enable_ifIXsr10test_utilsE35device_test_enabled_for_warp_size_vIXT1_EEEvE4typeEPT_S4_S3_,@function
_Z26warp_exclusive_scan_kernelIiLj63ELj3EENSt9enable_ifIXsr10test_utilsE35device_test_enabled_for_warp_size_vIXT1_EEEvE4typeEPT_S4_S3_: ; @_Z26warp_exclusive_scan_kernelIiLj63ELj3EENSt9enable_ifIXsr10test_utilsE35device_test_enabled_for_warp_size_vIXT1_EEEvE4typeEPT_S4_S3_
; %bb.0:
	s_load_dword s7, s[4:5], 0x24
	s_load_dwordx4 s[0:3], s[4:5], 0x0
	v_mov_b32_e32 v2, 0
	s_waitcnt lgkmcnt(0)
	s_and_b32 s7, s7, 0xffff
	s_mul_i32 s6, s6, s7
	v_add_u32_e32 v1, s6, v0
	v_lshlrev_b64 v[1:2], 2, v[1:2]
	v_mov_b32_e32 v4, s1
	v_add_co_u32_e32 v3, vcc, s0, v1
	v_addc_co_u32_e32 v4, vcc, v4, v2, vcc
	global_load_dword v3, v[3:4], off
	v_mbcnt_lo_u32_b32 v4, -1, 0
	s_mov_b32 s0, 0x55555556
	v_mbcnt_hi_u32_b32 v4, -1, v4
	v_mul_hi_u32 v5, v4, s0
	v_mul_u32_u24_e32 v0, 0x5556, v0
	v_lshrrev_b32_e32 v6, 16, v0
	v_mul_u32_u24_e32 v0, 3, v5
	v_sub_u32_e32 v5, v4, v0
	v_lshlrev_b32_e32 v0, 2, v5
	v_mad_u32_u24 v4, v6, 12, v0
	v_cmp_ne_u32_e32 vcc, 0, v5
	v_add_u32_e32 v0, -4, v4
	s_waitcnt vmcnt(0)
	ds_write_b32 v4, v3
	; wave barrier
	s_and_saveexec_b64 s[0:1], vcc
	s_cbranch_execz .LBB131_2
; %bb.1:
	ds_read_b32 v7, v0
	s_waitcnt lgkmcnt(0)
	v_add_u32_e32 v3, v7, v3
.LBB131_2:
	s_or_b64 exec, exec, s[0:1]
	v_mul_u32_u24_e32 v6, 12, v6
	; wave barrier
	s_and_saveexec_b64 s[0:1], vcc
; %bb.3:
	ds_write_b32 v4, v3
; %bb.4:
	s_or_b64 exec, exec, s[0:1]
	; wave barrier
	ds_read_b32 v6, v6
	v_cmp_lt_u32_e64 s[0:1], 1, v5
	; wave barrier
	s_and_saveexec_b64 s[6:7], s[0:1]
	s_cbranch_execz .LBB131_6
; %bb.5:
	s_waitcnt lgkmcnt(0)
	v_add_u32_e32 v3, v6, v3
	ds_write_b32 v4, v3
.LBB131_6:
	s_or_b64 exec, exec, s[6:7]
	s_load_dword s4, s[4:5], 0x10
	; wave barrier
	s_waitcnt lgkmcnt(0)
	v_mov_b32_e32 v3, s4
	s_and_saveexec_b64 s[0:1], vcc
	s_cbranch_execz .LBB131_8
; %bb.7:
	ds_read_b32 v0, v0
	s_waitcnt lgkmcnt(0)
	v_add_u32_e32 v3, s4, v0
.LBB131_8:
	s_or_b64 exec, exec, s[0:1]
	v_mov_b32_e32 v4, s3
	v_add_co_u32_e32 v0, vcc, s2, v1
	v_addc_co_u32_e32 v1, vcc, v4, v2, vcc
	global_store_dword v[0:1], v3, off
	s_endpgm
	.section	.rodata,"a",@progbits
	.p2align	6, 0x0
	.amdhsa_kernel _Z26warp_exclusive_scan_kernelIiLj63ELj3EENSt9enable_ifIXsr10test_utilsE35device_test_enabled_for_warp_size_vIXT1_EEEvE4typeEPT_S4_S3_
		.amdhsa_group_segment_fixed_size 252
		.amdhsa_private_segment_fixed_size 0
		.amdhsa_kernarg_size 280
		.amdhsa_user_sgpr_count 6
		.amdhsa_user_sgpr_private_segment_buffer 1
		.amdhsa_user_sgpr_dispatch_ptr 0
		.amdhsa_user_sgpr_queue_ptr 0
		.amdhsa_user_sgpr_kernarg_segment_ptr 1
		.amdhsa_user_sgpr_dispatch_id 0
		.amdhsa_user_sgpr_flat_scratch_init 0
		.amdhsa_user_sgpr_private_segment_size 0
		.amdhsa_uses_dynamic_stack 0
		.amdhsa_system_sgpr_private_segment_wavefront_offset 0
		.amdhsa_system_sgpr_workgroup_id_x 1
		.amdhsa_system_sgpr_workgroup_id_y 0
		.amdhsa_system_sgpr_workgroup_id_z 0
		.amdhsa_system_sgpr_workgroup_info 0
		.amdhsa_system_vgpr_workitem_id 0
		.amdhsa_next_free_vgpr 8
		.amdhsa_next_free_sgpr 8
		.amdhsa_reserve_vcc 1
		.amdhsa_reserve_flat_scratch 0
		.amdhsa_float_round_mode_32 0
		.amdhsa_float_round_mode_16_64 0
		.amdhsa_float_denorm_mode_32 3
		.amdhsa_float_denorm_mode_16_64 3
		.amdhsa_dx10_clamp 1
		.amdhsa_ieee_mode 1
		.amdhsa_fp16_overflow 0
		.amdhsa_exception_fp_ieee_invalid_op 0
		.amdhsa_exception_fp_denorm_src 0
		.amdhsa_exception_fp_ieee_div_zero 0
		.amdhsa_exception_fp_ieee_overflow 0
		.amdhsa_exception_fp_ieee_underflow 0
		.amdhsa_exception_fp_ieee_inexact 0
		.amdhsa_exception_int_div_zero 0
	.end_amdhsa_kernel
	.section	.text._Z26warp_exclusive_scan_kernelIiLj63ELj3EENSt9enable_ifIXsr10test_utilsE35device_test_enabled_for_warp_size_vIXT1_EEEvE4typeEPT_S4_S3_,"axG",@progbits,_Z26warp_exclusive_scan_kernelIiLj63ELj3EENSt9enable_ifIXsr10test_utilsE35device_test_enabled_for_warp_size_vIXT1_EEEvE4typeEPT_S4_S3_,comdat
.Lfunc_end131:
	.size	_Z26warp_exclusive_scan_kernelIiLj63ELj3EENSt9enable_ifIXsr10test_utilsE35device_test_enabled_for_warp_size_vIXT1_EEEvE4typeEPT_S4_S3_, .Lfunc_end131-_Z26warp_exclusive_scan_kernelIiLj63ELj3EENSt9enable_ifIXsr10test_utilsE35device_test_enabled_for_warp_size_vIXT1_EEEvE4typeEPT_S4_S3_
                                        ; -- End function
	.set _Z26warp_exclusive_scan_kernelIiLj63ELj3EENSt9enable_ifIXsr10test_utilsE35device_test_enabled_for_warp_size_vIXT1_EEEvE4typeEPT_S4_S3_.num_vgpr, 8
	.set _Z26warp_exclusive_scan_kernelIiLj63ELj3EENSt9enable_ifIXsr10test_utilsE35device_test_enabled_for_warp_size_vIXT1_EEEvE4typeEPT_S4_S3_.num_agpr, 0
	.set _Z26warp_exclusive_scan_kernelIiLj63ELj3EENSt9enable_ifIXsr10test_utilsE35device_test_enabled_for_warp_size_vIXT1_EEEvE4typeEPT_S4_S3_.numbered_sgpr, 8
	.set _Z26warp_exclusive_scan_kernelIiLj63ELj3EENSt9enable_ifIXsr10test_utilsE35device_test_enabled_for_warp_size_vIXT1_EEEvE4typeEPT_S4_S3_.num_named_barrier, 0
	.set _Z26warp_exclusive_scan_kernelIiLj63ELj3EENSt9enable_ifIXsr10test_utilsE35device_test_enabled_for_warp_size_vIXT1_EEEvE4typeEPT_S4_S3_.private_seg_size, 0
	.set _Z26warp_exclusive_scan_kernelIiLj63ELj3EENSt9enable_ifIXsr10test_utilsE35device_test_enabled_for_warp_size_vIXT1_EEEvE4typeEPT_S4_S3_.uses_vcc, 1
	.set _Z26warp_exclusive_scan_kernelIiLj63ELj3EENSt9enable_ifIXsr10test_utilsE35device_test_enabled_for_warp_size_vIXT1_EEEvE4typeEPT_S4_S3_.uses_flat_scratch, 0
	.set _Z26warp_exclusive_scan_kernelIiLj63ELj3EENSt9enable_ifIXsr10test_utilsE35device_test_enabled_for_warp_size_vIXT1_EEEvE4typeEPT_S4_S3_.has_dyn_sized_stack, 0
	.set _Z26warp_exclusive_scan_kernelIiLj63ELj3EENSt9enable_ifIXsr10test_utilsE35device_test_enabled_for_warp_size_vIXT1_EEEvE4typeEPT_S4_S3_.has_recursion, 0
	.set _Z26warp_exclusive_scan_kernelIiLj63ELj3EENSt9enable_ifIXsr10test_utilsE35device_test_enabled_for_warp_size_vIXT1_EEEvE4typeEPT_S4_S3_.has_indirect_call, 0
	.section	.AMDGPU.csdata,"",@progbits
; Kernel info:
; codeLenInByte = 312
; TotalNumSgprs: 12
; NumVgprs: 8
; ScratchSize: 0
; MemoryBound: 0
; FloatMode: 240
; IeeeMode: 1
; LDSByteSize: 252 bytes/workgroup (compile time only)
; SGPRBlocks: 1
; VGPRBlocks: 1
; NumSGPRsForWavesPerEU: 12
; NumVGPRsForWavesPerEU: 8
; Occupancy: 10
; WaveLimiterHint : 0
; COMPUTE_PGM_RSRC2:SCRATCH_EN: 0
; COMPUTE_PGM_RSRC2:USER_SGPR: 6
; COMPUTE_PGM_RSRC2:TRAP_HANDLER: 0
; COMPUTE_PGM_RSRC2:TGID_X_EN: 1
; COMPUTE_PGM_RSRC2:TGID_Y_EN: 0
; COMPUTE_PGM_RSRC2:TGID_Z_EN: 0
; COMPUTE_PGM_RSRC2:TIDIG_COMP_CNT: 0
	.section	.text._Z26warp_exclusive_scan_kernelI12hip_bfloat16Lj256ELj64EENSt9enable_ifIXsr10test_utilsE35device_test_enabled_for_warp_size_vIXT1_EEEvE4typeEPT_S5_S4_,"axG",@progbits,_Z26warp_exclusive_scan_kernelI12hip_bfloat16Lj256ELj64EENSt9enable_ifIXsr10test_utilsE35device_test_enabled_for_warp_size_vIXT1_EEEvE4typeEPT_S5_S4_,comdat
	.protected	_Z26warp_exclusive_scan_kernelI12hip_bfloat16Lj256ELj64EENSt9enable_ifIXsr10test_utilsE35device_test_enabled_for_warp_size_vIXT1_EEEvE4typeEPT_S5_S4_ ; -- Begin function _Z26warp_exclusive_scan_kernelI12hip_bfloat16Lj256ELj64EENSt9enable_ifIXsr10test_utilsE35device_test_enabled_for_warp_size_vIXT1_EEEvE4typeEPT_S5_S4_
	.globl	_Z26warp_exclusive_scan_kernelI12hip_bfloat16Lj256ELj64EENSt9enable_ifIXsr10test_utilsE35device_test_enabled_for_warp_size_vIXT1_EEEvE4typeEPT_S5_S4_
	.p2align	8
	.type	_Z26warp_exclusive_scan_kernelI12hip_bfloat16Lj256ELj64EENSt9enable_ifIXsr10test_utilsE35device_test_enabled_for_warp_size_vIXT1_EEEvE4typeEPT_S5_S4_,@function
_Z26warp_exclusive_scan_kernelI12hip_bfloat16Lj256ELj64EENSt9enable_ifIXsr10test_utilsE35device_test_enabled_for_warp_size_vIXT1_EEEvE4typeEPT_S5_S4_: ; @_Z26warp_exclusive_scan_kernelI12hip_bfloat16Lj256ELj64EENSt9enable_ifIXsr10test_utilsE35device_test_enabled_for_warp_size_vIXT1_EEEvE4typeEPT_S5_S4_
; %bb.0:
	s_load_dword s7, s[4:5], 0x24
	s_load_dwordx4 s[0:3], s[4:5], 0x0
	v_mov_b32_e32 v1, 0
                                        ; implicit-def: $vgpr6
	s_waitcnt lgkmcnt(0)
	s_and_b32 s7, s7, 0xffff
	s_mul_i32 s6, s6, s7
	v_add_u32_e32 v0, s6, v0
	v_lshlrev_b64 v[0:1], 1, v[0:1]
	v_mov_b32_e32 v3, s1
	v_add_co_u32_e32 v2, vcc, s0, v0
	v_addc_co_u32_e32 v3, vcc, v3, v1, vcc
	global_load_ushort v4, v[2:3], off
	s_mov_b32 s0, 0x7f800000
	s_waitcnt vmcnt(0)
	v_lshlrev_b32_e32 v5, 16, v4
	v_mov_b32_dpp v2, v4 row_shr:1 row_mask:0xf bank_mask:0xf
	v_lshlrev_b32_e32 v2, 16, v2
	v_add_f32_e32 v2, v5, v2
	v_and_b32_e32 v3, 0x7f800000, v2
	v_cmp_ne_u32_e32 vcc, s0, v3
	s_and_saveexec_b64 s[0:1], vcc
	s_xor_b64 s[0:1], exec, s[0:1]
; %bb.1:
	v_bfe_u32 v3, v2, 16, 1
	s_movk_i32 s6, 0x7fff
	v_add3_u32 v6, v2, v3, s6
                                        ; implicit-def: $vgpr2
; %bb.2:
	s_andn2_saveexec_b64 s[0:1], s[0:1]
; %bb.3:
	v_mov_b32_e32 v3, 0
	v_or_b32_e32 v6, 0x10000, v2
	v_cmp_eq_u32_sdwa vcc, v2, v3 src0_sel:WORD_0 src1_sel:DWORD
	v_cndmask_b32_e32 v6, v6, v2, vcc
; %bb.4:
	s_or_b64 exec, exec, s[0:1]
	v_mbcnt_lo_u32_b32 v2, -1, 0
	v_mbcnt_hi_u32_b32 v2, -1, v2
	v_and_b32_e32 v3, 15, v2
	v_and_b32_e32 v7, 0xffff0000, v6
	v_lshrrev_b32_e32 v6, 16, v6
	v_cmp_eq_u32_e32 vcc, 0, v3
	v_cndmask_b32_e32 v4, v6, v4, vcc
	v_cndmask_b32_e32 v5, v7, v5, vcc
	s_mov_b32 s0, 0x7f800000
	v_mov_b32_dpp v6, v4 row_shr:2 row_mask:0xf bank_mask:0xf
	v_lshlrev_b32_e32 v6, 16, v6
	v_add_f32_e32 v6, v5, v6
	v_and_b32_e32 v7, 0x7f800000, v6
	v_cmp_ne_u32_e32 vcc, s0, v7
                                        ; implicit-def: $vgpr7
	s_and_saveexec_b64 s[0:1], vcc
	s_xor_b64 s[0:1], exec, s[0:1]
; %bb.5:
	v_bfe_u32 v7, v6, 16, 1
	s_movk_i32 s6, 0x7fff
	v_add3_u32 v7, v6, v7, s6
                                        ; implicit-def: $vgpr6
; %bb.6:
	s_andn2_saveexec_b64 s[0:1], s[0:1]
; %bb.7:
	v_mov_b32_e32 v7, 0
	v_or_b32_e32 v8, 0x10000, v6
	v_cmp_eq_u32_sdwa vcc, v6, v7 src0_sel:WORD_0 src1_sel:DWORD
	v_cndmask_b32_e32 v7, v8, v6, vcc
; %bb.8:
	s_or_b64 exec, exec, s[0:1]
	v_and_b32_e32 v6, 0xffff0000, v7
	v_lshrrev_b32_e32 v7, 16, v7
	v_cmp_lt_u32_e32 vcc, 1, v3
	v_cndmask_b32_e32 v4, v4, v7, vcc
	v_cndmask_b32_e32 v5, v5, v6, vcc
	s_mov_b32 s0, 0x7f800000
	v_mov_b32_dpp v6, v4 row_shr:4 row_mask:0xf bank_mask:0xf
	v_lshlrev_b32_e32 v6, 16, v6
	v_add_f32_e32 v6, v5, v6
	v_and_b32_e32 v7, 0x7f800000, v6
	v_cmp_ne_u32_e32 vcc, s0, v7
                                        ; implicit-def: $vgpr7
	s_and_saveexec_b64 s[0:1], vcc
	s_xor_b64 s[0:1], exec, s[0:1]
; %bb.9:
	v_bfe_u32 v7, v6, 16, 1
	s_movk_i32 s6, 0x7fff
	v_add3_u32 v7, v6, v7, s6
                                        ; implicit-def: $vgpr6
; %bb.10:
	s_andn2_saveexec_b64 s[0:1], s[0:1]
; %bb.11:
	v_mov_b32_e32 v7, 0
	v_or_b32_e32 v8, 0x10000, v6
	v_cmp_eq_u32_sdwa vcc, v6, v7 src0_sel:WORD_0 src1_sel:DWORD
	v_cndmask_b32_e32 v7, v8, v6, vcc
; %bb.12:
	s_or_b64 exec, exec, s[0:1]
	v_and_b32_e32 v6, 0xffff0000, v7
	v_lshrrev_b32_e32 v7, 16, v7
	v_cmp_lt_u32_e32 vcc, 3, v3
	;; [unrolled: 28-line block ×3, first 2 shown]
	v_cndmask_b32_e32 v4, v4, v7, vcc
	v_cndmask_b32_e32 v3, v5, v6, vcc
	s_mov_b32 s0, 0x7f800000
	v_mov_b32_dpp v5, v4 row_bcast:15 row_mask:0xf bank_mask:0xf
	v_lshlrev_b32_e32 v5, 16, v5
	v_add_f32_e32 v5, v3, v5
	v_and_b32_e32 v6, 0x7f800000, v5
	v_cmp_ne_u32_e32 vcc, s0, v6
                                        ; implicit-def: $vgpr6
	s_and_saveexec_b64 s[0:1], vcc
	s_xor_b64 s[0:1], exec, s[0:1]
; %bb.17:
	v_bfe_u32 v6, v5, 16, 1
	s_movk_i32 s6, 0x7fff
	v_add3_u32 v6, v5, v6, s6
                                        ; implicit-def: $vgpr5
; %bb.18:
	s_andn2_saveexec_b64 s[0:1], s[0:1]
; %bb.19:
	v_mov_b32_e32 v6, 0
	v_or_b32_e32 v7, 0x10000, v5
	v_cmp_eq_u32_sdwa vcc, v5, v6 src0_sel:WORD_0 src1_sel:DWORD
	v_cndmask_b32_e32 v6, v7, v5, vcc
; %bb.20:
	s_or_b64 exec, exec, s[0:1]
	v_and_b32_e32 v5, 16, v2
	v_and_b32_e32 v7, 0xffff0000, v6
	v_lshrrev_b32_e32 v6, 16, v6
	v_cmp_eq_u32_e32 vcc, 0, v5
	v_cndmask_b32_e32 v5, v7, v3, vcc
	v_cndmask_b32_e32 v3, v6, v4, vcc
	s_mov_b32 s0, 0x7f800000
	s_nop 0
	v_mov_b32_dpp v4, v3 row_bcast:31 row_mask:0xf bank_mask:0xf
	v_lshlrev_b32_e32 v4, 16, v4
	v_add_f32_e32 v4, v5, v4
	v_and_b32_e32 v5, 0x7f800000, v4
	v_cmp_ne_u32_e32 vcc, s0, v5
                                        ; implicit-def: $vgpr5
	s_and_saveexec_b64 s[0:1], vcc
	s_xor_b64 s[0:1], exec, s[0:1]
; %bb.21:
	v_bfe_u32 v5, v4, 16, 1
	s_movk_i32 s6, 0x7fff
	v_add3_u32 v5, v4, v5, s6
                                        ; implicit-def: $vgpr4
; %bb.22:
	s_andn2_saveexec_b64 s[0:1], s[0:1]
; %bb.23:
	v_mov_b32_e32 v5, 0
	v_or_b32_e32 v6, 0x10000, v4
	v_cmp_eq_u32_sdwa vcc, v4, v5 src0_sel:WORD_0 src1_sel:DWORD
	v_cndmask_b32_e32 v5, v6, v4, vcc
; %bb.24:
	s_or_b64 exec, exec, s[0:1]
	s_load_dword s4, s[4:5], 0x10
	v_cmp_lt_u32_e32 vcc, 31, v2
	v_cndmask_b32_sdwa v3, v3, v5, vcc dst_sel:WORD_1 dst_unused:UNUSED_PAD src0_sel:DWORD src1_sel:WORD_1
	s_waitcnt lgkmcnt(0)
	s_lshl_b32 s0, s4, 16
	v_add_f32_e32 v3, s0, v3
	s_mov_b32 s0, 0x7f800000
	v_and_b32_e32 v4, 0x7f800000, v3
	v_cmp_ne_u32_e32 vcc, s0, v4
                                        ; implicit-def: $vgpr4
	s_and_saveexec_b64 s[0:1], vcc
	s_xor_b64 s[0:1], exec, s[0:1]
; %bb.25:
	v_bfe_u32 v4, v3, 16, 1
	s_movk_i32 s5, 0x7fff
	v_add3_u32 v4, v3, v4, s5
                                        ; implicit-def: $vgpr3
; %bb.26:
	s_andn2_saveexec_b64 s[0:1], s[0:1]
; %bb.27:
	v_mov_b32_e32 v4, 0
	v_or_b32_e32 v5, 0x10000, v3
	v_cmp_eq_u32_sdwa vcc, v3, v4 src0_sel:WORD_0 src1_sel:DWORD
	v_cndmask_b32_e32 v4, v5, v3, vcc
; %bb.28:
	s_or_b64 exec, exec, s[0:1]
	v_subrev_co_u32_e32 v5, vcc, 1, v2
	v_and_b32_e32 v6, 64, v2
	v_cmp_lt_i32_e64 s[0:1], v5, v6
	v_cndmask_b32_e64 v2, v5, v2, s[0:1]
	v_lshrrev_b32_e32 v3, 16, v4
	v_lshlrev_b32_e32 v2, 2, v2
	ds_bpermute_b32 v2, v2, v3
	v_mov_b32_e32 v4, s4
	v_mov_b32_e32 v3, s3
	s_waitcnt lgkmcnt(0)
	v_cndmask_b32_e32 v2, v2, v4, vcc
	v_add_co_u32_e32 v0, vcc, s2, v0
	v_addc_co_u32_e32 v1, vcc, v3, v1, vcc
	global_store_short v[0:1], v2, off
	s_endpgm
	.section	.rodata,"a",@progbits
	.p2align	6, 0x0
	.amdhsa_kernel _Z26warp_exclusive_scan_kernelI12hip_bfloat16Lj256ELj64EENSt9enable_ifIXsr10test_utilsE35device_test_enabled_for_warp_size_vIXT1_EEEvE4typeEPT_S5_S4_
		.amdhsa_group_segment_fixed_size 0
		.amdhsa_private_segment_fixed_size 0
		.amdhsa_kernarg_size 280
		.amdhsa_user_sgpr_count 6
		.amdhsa_user_sgpr_private_segment_buffer 1
		.amdhsa_user_sgpr_dispatch_ptr 0
		.amdhsa_user_sgpr_queue_ptr 0
		.amdhsa_user_sgpr_kernarg_segment_ptr 1
		.amdhsa_user_sgpr_dispatch_id 0
		.amdhsa_user_sgpr_flat_scratch_init 0
		.amdhsa_user_sgpr_private_segment_size 0
		.amdhsa_uses_dynamic_stack 0
		.amdhsa_system_sgpr_private_segment_wavefront_offset 0
		.amdhsa_system_sgpr_workgroup_id_x 1
		.amdhsa_system_sgpr_workgroup_id_y 0
		.amdhsa_system_sgpr_workgroup_id_z 0
		.amdhsa_system_sgpr_workgroup_info 0
		.amdhsa_system_vgpr_workitem_id 0
		.amdhsa_next_free_vgpr 9
		.amdhsa_next_free_sgpr 8
		.amdhsa_reserve_vcc 1
		.amdhsa_reserve_flat_scratch 0
		.amdhsa_float_round_mode_32 0
		.amdhsa_float_round_mode_16_64 0
		.amdhsa_float_denorm_mode_32 3
		.amdhsa_float_denorm_mode_16_64 3
		.amdhsa_dx10_clamp 1
		.amdhsa_ieee_mode 1
		.amdhsa_fp16_overflow 0
		.amdhsa_exception_fp_ieee_invalid_op 0
		.amdhsa_exception_fp_denorm_src 0
		.amdhsa_exception_fp_ieee_div_zero 0
		.amdhsa_exception_fp_ieee_overflow 0
		.amdhsa_exception_fp_ieee_underflow 0
		.amdhsa_exception_fp_ieee_inexact 0
		.amdhsa_exception_int_div_zero 0
	.end_amdhsa_kernel
	.section	.text._Z26warp_exclusive_scan_kernelI12hip_bfloat16Lj256ELj64EENSt9enable_ifIXsr10test_utilsE35device_test_enabled_for_warp_size_vIXT1_EEEvE4typeEPT_S5_S4_,"axG",@progbits,_Z26warp_exclusive_scan_kernelI12hip_bfloat16Lj256ELj64EENSt9enable_ifIXsr10test_utilsE35device_test_enabled_for_warp_size_vIXT1_EEEvE4typeEPT_S5_S4_,comdat
.Lfunc_end132:
	.size	_Z26warp_exclusive_scan_kernelI12hip_bfloat16Lj256ELj64EENSt9enable_ifIXsr10test_utilsE35device_test_enabled_for_warp_size_vIXT1_EEEvE4typeEPT_S5_S4_, .Lfunc_end132-_Z26warp_exclusive_scan_kernelI12hip_bfloat16Lj256ELj64EENSt9enable_ifIXsr10test_utilsE35device_test_enabled_for_warp_size_vIXT1_EEEvE4typeEPT_S5_S4_
                                        ; -- End function
	.set _Z26warp_exclusive_scan_kernelI12hip_bfloat16Lj256ELj64EENSt9enable_ifIXsr10test_utilsE35device_test_enabled_for_warp_size_vIXT1_EEEvE4typeEPT_S5_S4_.num_vgpr, 9
	.set _Z26warp_exclusive_scan_kernelI12hip_bfloat16Lj256ELj64EENSt9enable_ifIXsr10test_utilsE35device_test_enabled_for_warp_size_vIXT1_EEEvE4typeEPT_S5_S4_.num_agpr, 0
	.set _Z26warp_exclusive_scan_kernelI12hip_bfloat16Lj256ELj64EENSt9enable_ifIXsr10test_utilsE35device_test_enabled_for_warp_size_vIXT1_EEEvE4typeEPT_S5_S4_.numbered_sgpr, 8
	.set _Z26warp_exclusive_scan_kernelI12hip_bfloat16Lj256ELj64EENSt9enable_ifIXsr10test_utilsE35device_test_enabled_for_warp_size_vIXT1_EEEvE4typeEPT_S5_S4_.num_named_barrier, 0
	.set _Z26warp_exclusive_scan_kernelI12hip_bfloat16Lj256ELj64EENSt9enable_ifIXsr10test_utilsE35device_test_enabled_for_warp_size_vIXT1_EEEvE4typeEPT_S5_S4_.private_seg_size, 0
	.set _Z26warp_exclusive_scan_kernelI12hip_bfloat16Lj256ELj64EENSt9enable_ifIXsr10test_utilsE35device_test_enabled_for_warp_size_vIXT1_EEEvE4typeEPT_S5_S4_.uses_vcc, 1
	.set _Z26warp_exclusive_scan_kernelI12hip_bfloat16Lj256ELj64EENSt9enable_ifIXsr10test_utilsE35device_test_enabled_for_warp_size_vIXT1_EEEvE4typeEPT_S5_S4_.uses_flat_scratch, 0
	.set _Z26warp_exclusive_scan_kernelI12hip_bfloat16Lj256ELj64EENSt9enable_ifIXsr10test_utilsE35device_test_enabled_for_warp_size_vIXT1_EEEvE4typeEPT_S5_S4_.has_dyn_sized_stack, 0
	.set _Z26warp_exclusive_scan_kernelI12hip_bfloat16Lj256ELj64EENSt9enable_ifIXsr10test_utilsE35device_test_enabled_for_warp_size_vIXT1_EEEvE4typeEPT_S5_S4_.has_recursion, 0
	.set _Z26warp_exclusive_scan_kernelI12hip_bfloat16Lj256ELj64EENSt9enable_ifIXsr10test_utilsE35device_test_enabled_for_warp_size_vIXT1_EEEvE4typeEPT_S5_S4_.has_indirect_call, 0
	.section	.AMDGPU.csdata,"",@progbits
; Kernel info:
; codeLenInByte = 988
; TotalNumSgprs: 12
; NumVgprs: 9
; ScratchSize: 0
; MemoryBound: 0
; FloatMode: 240
; IeeeMode: 1
; LDSByteSize: 0 bytes/workgroup (compile time only)
; SGPRBlocks: 1
; VGPRBlocks: 2
; NumSGPRsForWavesPerEU: 12
; NumVGPRsForWavesPerEU: 9
; Occupancy: 10
; WaveLimiterHint : 0
; COMPUTE_PGM_RSRC2:SCRATCH_EN: 0
; COMPUTE_PGM_RSRC2:USER_SGPR: 6
; COMPUTE_PGM_RSRC2:TRAP_HANDLER: 0
; COMPUTE_PGM_RSRC2:TGID_X_EN: 1
; COMPUTE_PGM_RSRC2:TGID_Y_EN: 0
; COMPUTE_PGM_RSRC2:TGID_Z_EN: 0
; COMPUTE_PGM_RSRC2:TIDIG_COMP_CNT: 0
	.section	.text._Z26warp_exclusive_scan_kernelI12hip_bfloat16Lj128ELj32EENSt9enable_ifIXsr10test_utilsE35device_test_enabled_for_warp_size_vIXT1_EEEvE4typeEPT_S5_S4_,"axG",@progbits,_Z26warp_exclusive_scan_kernelI12hip_bfloat16Lj128ELj32EENSt9enable_ifIXsr10test_utilsE35device_test_enabled_for_warp_size_vIXT1_EEEvE4typeEPT_S5_S4_,comdat
	.protected	_Z26warp_exclusive_scan_kernelI12hip_bfloat16Lj128ELj32EENSt9enable_ifIXsr10test_utilsE35device_test_enabled_for_warp_size_vIXT1_EEEvE4typeEPT_S5_S4_ ; -- Begin function _Z26warp_exclusive_scan_kernelI12hip_bfloat16Lj128ELj32EENSt9enable_ifIXsr10test_utilsE35device_test_enabled_for_warp_size_vIXT1_EEEvE4typeEPT_S5_S4_
	.globl	_Z26warp_exclusive_scan_kernelI12hip_bfloat16Lj128ELj32EENSt9enable_ifIXsr10test_utilsE35device_test_enabled_for_warp_size_vIXT1_EEEvE4typeEPT_S5_S4_
	.p2align	8
	.type	_Z26warp_exclusive_scan_kernelI12hip_bfloat16Lj128ELj32EENSt9enable_ifIXsr10test_utilsE35device_test_enabled_for_warp_size_vIXT1_EEEvE4typeEPT_S5_S4_,@function
_Z26warp_exclusive_scan_kernelI12hip_bfloat16Lj128ELj32EENSt9enable_ifIXsr10test_utilsE35device_test_enabled_for_warp_size_vIXT1_EEEvE4typeEPT_S5_S4_: ; @_Z26warp_exclusive_scan_kernelI12hip_bfloat16Lj128ELj32EENSt9enable_ifIXsr10test_utilsE35device_test_enabled_for_warp_size_vIXT1_EEEvE4typeEPT_S5_S4_
; %bb.0:
	s_load_dword s7, s[4:5], 0x24
	s_load_dwordx4 s[0:3], s[4:5], 0x0
	v_mov_b32_e32 v1, 0
                                        ; implicit-def: $vgpr6
	s_waitcnt lgkmcnt(0)
	s_and_b32 s7, s7, 0xffff
	s_mul_i32 s6, s6, s7
	v_add_u32_e32 v0, s6, v0
	v_lshlrev_b64 v[0:1], 1, v[0:1]
	v_mov_b32_e32 v3, s1
	v_add_co_u32_e32 v2, vcc, s0, v0
	v_addc_co_u32_e32 v3, vcc, v3, v1, vcc
	global_load_ushort v4, v[2:3], off
	s_mov_b32 s0, 0x7f800000
	s_waitcnt vmcnt(0)
	v_lshlrev_b32_e32 v5, 16, v4
	v_mov_b32_dpp v2, v4 row_shr:1 row_mask:0xf bank_mask:0xf
	v_lshlrev_b32_e32 v2, 16, v2
	v_add_f32_e32 v2, v5, v2
	v_and_b32_e32 v3, 0x7f800000, v2
	v_cmp_ne_u32_e32 vcc, s0, v3
	s_and_saveexec_b64 s[0:1], vcc
	s_xor_b64 s[0:1], exec, s[0:1]
; %bb.1:
	v_bfe_u32 v3, v2, 16, 1
	s_movk_i32 s6, 0x7fff
	v_add3_u32 v6, v2, v3, s6
                                        ; implicit-def: $vgpr2
; %bb.2:
	s_andn2_saveexec_b64 s[0:1], s[0:1]
; %bb.3:
	v_mov_b32_e32 v3, 0
	v_or_b32_e32 v6, 0x10000, v2
	v_cmp_eq_u32_sdwa vcc, v2, v3 src0_sel:WORD_0 src1_sel:DWORD
	v_cndmask_b32_e32 v6, v6, v2, vcc
; %bb.4:
	s_or_b64 exec, exec, s[0:1]
	v_mbcnt_lo_u32_b32 v2, -1, 0
	v_mbcnt_hi_u32_b32 v2, -1, v2
	v_and_b32_e32 v3, 15, v2
	v_and_b32_e32 v7, 0xffff0000, v6
	v_lshrrev_b32_e32 v6, 16, v6
	v_cmp_eq_u32_e32 vcc, 0, v3
	v_cndmask_b32_e32 v4, v6, v4, vcc
	v_cndmask_b32_e32 v5, v7, v5, vcc
	s_mov_b32 s0, 0x7f800000
	v_mov_b32_dpp v6, v4 row_shr:2 row_mask:0xf bank_mask:0xf
	v_lshlrev_b32_e32 v6, 16, v6
	v_add_f32_e32 v6, v5, v6
	v_and_b32_e32 v7, 0x7f800000, v6
	v_cmp_ne_u32_e32 vcc, s0, v7
                                        ; implicit-def: $vgpr7
	s_and_saveexec_b64 s[0:1], vcc
	s_xor_b64 s[0:1], exec, s[0:1]
; %bb.5:
	v_bfe_u32 v7, v6, 16, 1
	s_movk_i32 s6, 0x7fff
	v_add3_u32 v7, v6, v7, s6
                                        ; implicit-def: $vgpr6
; %bb.6:
	s_andn2_saveexec_b64 s[0:1], s[0:1]
; %bb.7:
	v_mov_b32_e32 v7, 0
	v_or_b32_e32 v8, 0x10000, v6
	v_cmp_eq_u32_sdwa vcc, v6, v7 src0_sel:WORD_0 src1_sel:DWORD
	v_cndmask_b32_e32 v7, v8, v6, vcc
; %bb.8:
	s_or_b64 exec, exec, s[0:1]
	v_and_b32_e32 v6, 0xffff0000, v7
	v_lshrrev_b32_e32 v7, 16, v7
	v_cmp_lt_u32_e32 vcc, 1, v3
	v_cndmask_b32_e32 v4, v4, v7, vcc
	v_cndmask_b32_e32 v5, v5, v6, vcc
	s_mov_b32 s0, 0x7f800000
	v_mov_b32_dpp v6, v4 row_shr:4 row_mask:0xf bank_mask:0xf
	v_lshlrev_b32_e32 v6, 16, v6
	v_add_f32_e32 v6, v5, v6
	v_and_b32_e32 v7, 0x7f800000, v6
	v_cmp_ne_u32_e32 vcc, s0, v7
                                        ; implicit-def: $vgpr7
	s_and_saveexec_b64 s[0:1], vcc
	s_xor_b64 s[0:1], exec, s[0:1]
; %bb.9:
	v_bfe_u32 v7, v6, 16, 1
	s_movk_i32 s6, 0x7fff
	v_add3_u32 v7, v6, v7, s6
                                        ; implicit-def: $vgpr6
; %bb.10:
	s_andn2_saveexec_b64 s[0:1], s[0:1]
; %bb.11:
	v_mov_b32_e32 v7, 0
	v_or_b32_e32 v8, 0x10000, v6
	v_cmp_eq_u32_sdwa vcc, v6, v7 src0_sel:WORD_0 src1_sel:DWORD
	v_cndmask_b32_e32 v7, v8, v6, vcc
; %bb.12:
	s_or_b64 exec, exec, s[0:1]
	v_and_b32_e32 v6, 0xffff0000, v7
	v_lshrrev_b32_e32 v7, 16, v7
	v_cmp_lt_u32_e32 vcc, 3, v3
	;; [unrolled: 28-line block ×3, first 2 shown]
	v_cndmask_b32_e32 v3, v4, v7, vcc
	v_cndmask_b32_e32 v5, v5, v6, vcc
	s_mov_b32 s0, 0x7f800000
	v_mov_b32_dpp v4, v3 row_bcast:15 row_mask:0xf bank_mask:0xf
	v_lshlrev_b32_e32 v4, 16, v4
	v_add_f32_e32 v4, v5, v4
	v_and_b32_e32 v5, 0x7f800000, v4
	v_cmp_ne_u32_e32 vcc, s0, v5
                                        ; implicit-def: $vgpr5
	s_and_saveexec_b64 s[0:1], vcc
	s_xor_b64 s[0:1], exec, s[0:1]
; %bb.17:
	v_bfe_u32 v5, v4, 16, 1
	s_movk_i32 s6, 0x7fff
	v_add3_u32 v5, v4, v5, s6
                                        ; implicit-def: $vgpr4
; %bb.18:
	s_andn2_saveexec_b64 s[0:1], s[0:1]
; %bb.19:
	v_mov_b32_e32 v5, 0
	v_or_b32_e32 v6, 0x10000, v4
	v_cmp_eq_u32_sdwa vcc, v4, v5 src0_sel:WORD_0 src1_sel:DWORD
	v_cndmask_b32_e32 v5, v6, v4, vcc
; %bb.20:
	s_or_b64 exec, exec, s[0:1]
	s_load_dword s4, s[4:5], 0x10
	v_and_b32_e32 v4, 16, v2
	v_cmp_eq_u32_e32 vcc, 0, v4
	v_cndmask_b32_sdwa v3, v5, v3, vcc dst_sel:WORD_1 dst_unused:UNUSED_PAD src0_sel:WORD_1 src1_sel:DWORD
	s_waitcnt lgkmcnt(0)
	s_lshl_b32 s0, s4, 16
	v_add_f32_e32 v3, s0, v3
	s_mov_b32 s0, 0x7f800000
	v_and_b32_e32 v4, 0x7f800000, v3
	v_cmp_ne_u32_e32 vcc, s0, v4
                                        ; implicit-def: $vgpr4
	s_and_saveexec_b64 s[0:1], vcc
	s_xor_b64 s[0:1], exec, s[0:1]
; %bb.21:
	v_bfe_u32 v4, v3, 16, 1
	s_movk_i32 s5, 0x7fff
	v_add3_u32 v4, v3, v4, s5
                                        ; implicit-def: $vgpr3
; %bb.22:
	s_andn2_saveexec_b64 s[0:1], s[0:1]
; %bb.23:
	v_mov_b32_e32 v4, 0
	v_or_b32_e32 v5, 0x10000, v3
	v_cmp_eq_u32_sdwa vcc, v3, v4 src0_sel:WORD_0 src1_sel:DWORD
	v_cndmask_b32_e32 v4, v5, v3, vcc
; %bb.24:
	s_or_b64 exec, exec, s[0:1]
	v_lshrrev_b32_e32 v3, 16, v4
	v_add_u32_e32 v4, -1, v2
	v_and_b32_e32 v5, 0x60, v2
	v_cmp_lt_i32_e32 vcc, v4, v5
	v_cndmask_b32_e32 v4, v4, v2, vcc
	v_lshlrev_b32_e32 v4, 2, v4
	ds_bpermute_b32 v3, v4, v3
	v_and_b32_e32 v2, 31, v2
	v_mov_b32_e32 v4, s4
	v_cmp_eq_u32_e32 vcc, 0, v2
	s_waitcnt lgkmcnt(0)
	v_cndmask_b32_e32 v2, v3, v4, vcc
	v_mov_b32_e32 v3, s3
	v_add_co_u32_e32 v0, vcc, s2, v0
	v_addc_co_u32_e32 v1, vcc, v3, v1, vcc
	global_store_short v[0:1], v2, off
	s_endpgm
	.section	.rodata,"a",@progbits
	.p2align	6, 0x0
	.amdhsa_kernel _Z26warp_exclusive_scan_kernelI12hip_bfloat16Lj128ELj32EENSt9enable_ifIXsr10test_utilsE35device_test_enabled_for_warp_size_vIXT1_EEEvE4typeEPT_S5_S4_
		.amdhsa_group_segment_fixed_size 0
		.amdhsa_private_segment_fixed_size 0
		.amdhsa_kernarg_size 280
		.amdhsa_user_sgpr_count 6
		.amdhsa_user_sgpr_private_segment_buffer 1
		.amdhsa_user_sgpr_dispatch_ptr 0
		.amdhsa_user_sgpr_queue_ptr 0
		.amdhsa_user_sgpr_kernarg_segment_ptr 1
		.amdhsa_user_sgpr_dispatch_id 0
		.amdhsa_user_sgpr_flat_scratch_init 0
		.amdhsa_user_sgpr_private_segment_size 0
		.amdhsa_uses_dynamic_stack 0
		.amdhsa_system_sgpr_private_segment_wavefront_offset 0
		.amdhsa_system_sgpr_workgroup_id_x 1
		.amdhsa_system_sgpr_workgroup_id_y 0
		.amdhsa_system_sgpr_workgroup_id_z 0
		.amdhsa_system_sgpr_workgroup_info 0
		.amdhsa_system_vgpr_workitem_id 0
		.amdhsa_next_free_vgpr 9
		.amdhsa_next_free_sgpr 8
		.amdhsa_reserve_vcc 1
		.amdhsa_reserve_flat_scratch 0
		.amdhsa_float_round_mode_32 0
		.amdhsa_float_round_mode_16_64 0
		.amdhsa_float_denorm_mode_32 3
		.amdhsa_float_denorm_mode_16_64 3
		.amdhsa_dx10_clamp 1
		.amdhsa_ieee_mode 1
		.amdhsa_fp16_overflow 0
		.amdhsa_exception_fp_ieee_invalid_op 0
		.amdhsa_exception_fp_denorm_src 0
		.amdhsa_exception_fp_ieee_div_zero 0
		.amdhsa_exception_fp_ieee_overflow 0
		.amdhsa_exception_fp_ieee_underflow 0
		.amdhsa_exception_fp_ieee_inexact 0
		.amdhsa_exception_int_div_zero 0
	.end_amdhsa_kernel
	.section	.text._Z26warp_exclusive_scan_kernelI12hip_bfloat16Lj128ELj32EENSt9enable_ifIXsr10test_utilsE35device_test_enabled_for_warp_size_vIXT1_EEEvE4typeEPT_S5_S4_,"axG",@progbits,_Z26warp_exclusive_scan_kernelI12hip_bfloat16Lj128ELj32EENSt9enable_ifIXsr10test_utilsE35device_test_enabled_for_warp_size_vIXT1_EEEvE4typeEPT_S5_S4_,comdat
.Lfunc_end133:
	.size	_Z26warp_exclusive_scan_kernelI12hip_bfloat16Lj128ELj32EENSt9enable_ifIXsr10test_utilsE35device_test_enabled_for_warp_size_vIXT1_EEEvE4typeEPT_S5_S4_, .Lfunc_end133-_Z26warp_exclusive_scan_kernelI12hip_bfloat16Lj128ELj32EENSt9enable_ifIXsr10test_utilsE35device_test_enabled_for_warp_size_vIXT1_EEEvE4typeEPT_S5_S4_
                                        ; -- End function
	.set _Z26warp_exclusive_scan_kernelI12hip_bfloat16Lj128ELj32EENSt9enable_ifIXsr10test_utilsE35device_test_enabled_for_warp_size_vIXT1_EEEvE4typeEPT_S5_S4_.num_vgpr, 9
	.set _Z26warp_exclusive_scan_kernelI12hip_bfloat16Lj128ELj32EENSt9enable_ifIXsr10test_utilsE35device_test_enabled_for_warp_size_vIXT1_EEEvE4typeEPT_S5_S4_.num_agpr, 0
	.set _Z26warp_exclusive_scan_kernelI12hip_bfloat16Lj128ELj32EENSt9enable_ifIXsr10test_utilsE35device_test_enabled_for_warp_size_vIXT1_EEEvE4typeEPT_S5_S4_.numbered_sgpr, 8
	.set _Z26warp_exclusive_scan_kernelI12hip_bfloat16Lj128ELj32EENSt9enable_ifIXsr10test_utilsE35device_test_enabled_for_warp_size_vIXT1_EEEvE4typeEPT_S5_S4_.num_named_barrier, 0
	.set _Z26warp_exclusive_scan_kernelI12hip_bfloat16Lj128ELj32EENSt9enable_ifIXsr10test_utilsE35device_test_enabled_for_warp_size_vIXT1_EEEvE4typeEPT_S5_S4_.private_seg_size, 0
	.set _Z26warp_exclusive_scan_kernelI12hip_bfloat16Lj128ELj32EENSt9enable_ifIXsr10test_utilsE35device_test_enabled_for_warp_size_vIXT1_EEEvE4typeEPT_S5_S4_.uses_vcc, 1
	.set _Z26warp_exclusive_scan_kernelI12hip_bfloat16Lj128ELj32EENSt9enable_ifIXsr10test_utilsE35device_test_enabled_for_warp_size_vIXT1_EEEvE4typeEPT_S5_S4_.uses_flat_scratch, 0
	.set _Z26warp_exclusive_scan_kernelI12hip_bfloat16Lj128ELj32EENSt9enable_ifIXsr10test_utilsE35device_test_enabled_for_warp_size_vIXT1_EEEvE4typeEPT_S5_S4_.has_dyn_sized_stack, 0
	.set _Z26warp_exclusive_scan_kernelI12hip_bfloat16Lj128ELj32EENSt9enable_ifIXsr10test_utilsE35device_test_enabled_for_warp_size_vIXT1_EEEvE4typeEPT_S5_S4_.has_recursion, 0
	.set _Z26warp_exclusive_scan_kernelI12hip_bfloat16Lj128ELj32EENSt9enable_ifIXsr10test_utilsE35device_test_enabled_for_warp_size_vIXT1_EEEvE4typeEPT_S5_S4_.has_indirect_call, 0
	.section	.AMDGPU.csdata,"",@progbits
; Kernel info:
; codeLenInByte = 868
; TotalNumSgprs: 12
; NumVgprs: 9
; ScratchSize: 0
; MemoryBound: 0
; FloatMode: 240
; IeeeMode: 1
; LDSByteSize: 0 bytes/workgroup (compile time only)
; SGPRBlocks: 1
; VGPRBlocks: 2
; NumSGPRsForWavesPerEU: 12
; NumVGPRsForWavesPerEU: 9
; Occupancy: 10
; WaveLimiterHint : 0
; COMPUTE_PGM_RSRC2:SCRATCH_EN: 0
; COMPUTE_PGM_RSRC2:USER_SGPR: 6
; COMPUTE_PGM_RSRC2:TRAP_HANDLER: 0
; COMPUTE_PGM_RSRC2:TGID_X_EN: 1
; COMPUTE_PGM_RSRC2:TGID_Y_EN: 0
; COMPUTE_PGM_RSRC2:TGID_Z_EN: 0
; COMPUTE_PGM_RSRC2:TIDIG_COMP_CNT: 0
	.section	.text._Z26warp_exclusive_scan_kernelI12hip_bfloat16Lj64ELj16EENSt9enable_ifIXsr10test_utilsE35device_test_enabled_for_warp_size_vIXT1_EEEvE4typeEPT_S5_S4_,"axG",@progbits,_Z26warp_exclusive_scan_kernelI12hip_bfloat16Lj64ELj16EENSt9enable_ifIXsr10test_utilsE35device_test_enabled_for_warp_size_vIXT1_EEEvE4typeEPT_S5_S4_,comdat
	.protected	_Z26warp_exclusive_scan_kernelI12hip_bfloat16Lj64ELj16EENSt9enable_ifIXsr10test_utilsE35device_test_enabled_for_warp_size_vIXT1_EEEvE4typeEPT_S5_S4_ ; -- Begin function _Z26warp_exclusive_scan_kernelI12hip_bfloat16Lj64ELj16EENSt9enable_ifIXsr10test_utilsE35device_test_enabled_for_warp_size_vIXT1_EEEvE4typeEPT_S5_S4_
	.globl	_Z26warp_exclusive_scan_kernelI12hip_bfloat16Lj64ELj16EENSt9enable_ifIXsr10test_utilsE35device_test_enabled_for_warp_size_vIXT1_EEEvE4typeEPT_S5_S4_
	.p2align	8
	.type	_Z26warp_exclusive_scan_kernelI12hip_bfloat16Lj64ELj16EENSt9enable_ifIXsr10test_utilsE35device_test_enabled_for_warp_size_vIXT1_EEEvE4typeEPT_S5_S4_,@function
_Z26warp_exclusive_scan_kernelI12hip_bfloat16Lj64ELj16EENSt9enable_ifIXsr10test_utilsE35device_test_enabled_for_warp_size_vIXT1_EEEvE4typeEPT_S5_S4_: ; @_Z26warp_exclusive_scan_kernelI12hip_bfloat16Lj64ELj16EENSt9enable_ifIXsr10test_utilsE35device_test_enabled_for_warp_size_vIXT1_EEEvE4typeEPT_S5_S4_
; %bb.0:
	s_load_dword s7, s[4:5], 0x24
	s_load_dwordx4 s[0:3], s[4:5], 0x0
	v_mov_b32_e32 v1, 0
                                        ; implicit-def: $vgpr6
	s_waitcnt lgkmcnt(0)
	s_and_b32 s7, s7, 0xffff
	s_mul_i32 s6, s6, s7
	v_add_u32_e32 v0, s6, v0
	v_lshlrev_b64 v[0:1], 1, v[0:1]
	v_mov_b32_e32 v3, s1
	v_add_co_u32_e32 v2, vcc, s0, v0
	v_addc_co_u32_e32 v3, vcc, v3, v1, vcc
	global_load_ushort v4, v[2:3], off
	s_mov_b32 s0, 0x7f800000
	s_waitcnt vmcnt(0)
	v_lshlrev_b32_e32 v5, 16, v4
	v_mov_b32_dpp v2, v4 row_shr:1 row_mask:0xf bank_mask:0xf
	v_lshlrev_b32_e32 v2, 16, v2
	v_add_f32_e32 v2, v5, v2
	v_and_b32_e32 v3, 0x7f800000, v2
	v_cmp_ne_u32_e32 vcc, s0, v3
	s_and_saveexec_b64 s[0:1], vcc
	s_xor_b64 s[0:1], exec, s[0:1]
; %bb.1:
	v_bfe_u32 v3, v2, 16, 1
	s_movk_i32 s6, 0x7fff
	v_add3_u32 v6, v2, v3, s6
                                        ; implicit-def: $vgpr2
; %bb.2:
	s_andn2_saveexec_b64 s[0:1], s[0:1]
; %bb.3:
	v_mov_b32_e32 v3, 0
	v_or_b32_e32 v6, 0x10000, v2
	v_cmp_eq_u32_sdwa vcc, v2, v3 src0_sel:WORD_0 src1_sel:DWORD
	v_cndmask_b32_e32 v6, v6, v2, vcc
; %bb.4:
	s_or_b64 exec, exec, s[0:1]
	v_mbcnt_lo_u32_b32 v2, -1, 0
	v_mbcnt_hi_u32_b32 v2, -1, v2
	v_and_b32_e32 v3, 15, v2
	v_and_b32_e32 v7, 0xffff0000, v6
	v_lshrrev_b32_e32 v6, 16, v6
	v_cmp_eq_u32_e64 s[0:1], 0, v3
	v_cndmask_b32_e64 v4, v6, v4, s[0:1]
	v_cndmask_b32_e64 v5, v7, v5, s[0:1]
	s_mov_b32 s6, 0x7f800000
	v_mov_b32_dpp v6, v4 row_shr:2 row_mask:0xf bank_mask:0xf
	v_lshlrev_b32_e32 v6, 16, v6
	v_add_f32_e32 v6, v5, v6
	v_and_b32_e32 v7, 0x7f800000, v6
	v_cmp_ne_u32_e32 vcc, s6, v7
                                        ; implicit-def: $vgpr7
	s_and_saveexec_b64 s[6:7], vcc
	s_xor_b64 s[6:7], exec, s[6:7]
; %bb.5:
	v_bfe_u32 v7, v6, 16, 1
	s_movk_i32 s8, 0x7fff
	v_add3_u32 v7, v6, v7, s8
                                        ; implicit-def: $vgpr6
; %bb.6:
	s_andn2_saveexec_b64 s[6:7], s[6:7]
; %bb.7:
	v_mov_b32_e32 v7, 0
	v_or_b32_e32 v8, 0x10000, v6
	v_cmp_eq_u32_sdwa vcc, v6, v7 src0_sel:WORD_0 src1_sel:DWORD
	v_cndmask_b32_e32 v7, v8, v6, vcc
; %bb.8:
	s_or_b64 exec, exec, s[6:7]
	v_and_b32_e32 v6, 0xffff0000, v7
	v_lshrrev_b32_e32 v7, 16, v7
	v_cmp_lt_u32_e32 vcc, 1, v3
	v_cndmask_b32_e32 v4, v4, v7, vcc
	v_cndmask_b32_e32 v5, v5, v6, vcc
	s_mov_b32 s6, 0x7f800000
	v_mov_b32_dpp v6, v4 row_shr:4 row_mask:0xf bank_mask:0xf
	v_lshlrev_b32_e32 v6, 16, v6
	v_add_f32_e32 v6, v5, v6
	v_and_b32_e32 v7, 0x7f800000, v6
	v_cmp_ne_u32_e32 vcc, s6, v7
                                        ; implicit-def: $vgpr7
	s_and_saveexec_b64 s[6:7], vcc
	s_xor_b64 s[6:7], exec, s[6:7]
; %bb.9:
	v_bfe_u32 v7, v6, 16, 1
	s_movk_i32 s8, 0x7fff
	v_add3_u32 v7, v6, v7, s8
                                        ; implicit-def: $vgpr6
; %bb.10:
	s_andn2_saveexec_b64 s[6:7], s[6:7]
; %bb.11:
	v_mov_b32_e32 v7, 0
	v_or_b32_e32 v8, 0x10000, v6
	v_cmp_eq_u32_sdwa vcc, v6, v7 src0_sel:WORD_0 src1_sel:DWORD
	v_cndmask_b32_e32 v7, v8, v6, vcc
; %bb.12:
	s_or_b64 exec, exec, s[6:7]
	v_and_b32_e32 v6, 0xffff0000, v7
	v_lshrrev_b32_e32 v7, 16, v7
	v_cmp_lt_u32_e32 vcc, 3, v3
	v_cndmask_b32_e32 v4, v4, v7, vcc
	v_cndmask_b32_e32 v5, v5, v6, vcc
	s_mov_b32 s6, 0x7f800000
	v_mov_b32_dpp v6, v4 row_shr:8 row_mask:0xf bank_mask:0xf
	v_lshlrev_b32_e32 v6, 16, v6
	v_add_f32_e32 v5, v5, v6
	v_and_b32_e32 v6, 0x7f800000, v5
	v_cmp_ne_u32_e32 vcc, s6, v6
                                        ; implicit-def: $vgpr6
	s_and_saveexec_b64 s[6:7], vcc
	s_xor_b64 s[6:7], exec, s[6:7]
; %bb.13:
	v_bfe_u32 v6, v5, 16, 1
	s_movk_i32 s8, 0x7fff
	v_add3_u32 v6, v5, v6, s8
                                        ; implicit-def: $vgpr5
; %bb.14:
	s_andn2_saveexec_b64 s[6:7], s[6:7]
; %bb.15:
	v_mov_b32_e32 v6, 0
	v_or_b32_e32 v7, 0x10000, v5
	v_cmp_eq_u32_sdwa vcc, v5, v6 src0_sel:WORD_0 src1_sel:DWORD
	v_cndmask_b32_e32 v6, v7, v5, vcc
; %bb.16:
	s_or_b64 exec, exec, s[6:7]
	s_load_dword s6, s[4:5], 0x10
	v_cmp_lt_u32_e32 vcc, 7, v3
	v_cndmask_b32_sdwa v3, v4, v6, vcc dst_sel:WORD_1 dst_unused:UNUSED_PAD src0_sel:DWORD src1_sel:WORD_1
	s_waitcnt lgkmcnt(0)
	s_lshl_b32 s4, s6, 16
	v_add_f32_e32 v3, s4, v3
	s_mov_b32 s4, 0x7f800000
	v_and_b32_e32 v4, 0x7f800000, v3
	v_cmp_ne_u32_e32 vcc, s4, v4
                                        ; implicit-def: $vgpr4
	s_and_saveexec_b64 s[4:5], vcc
	s_xor_b64 s[4:5], exec, s[4:5]
; %bb.17:
	v_bfe_u32 v4, v3, 16, 1
	s_movk_i32 s7, 0x7fff
	v_add3_u32 v4, v3, v4, s7
                                        ; implicit-def: $vgpr3
; %bb.18:
	s_andn2_saveexec_b64 s[4:5], s[4:5]
; %bb.19:
	v_mov_b32_e32 v4, 0
	v_or_b32_e32 v5, 0x10000, v3
	v_cmp_eq_u32_sdwa vcc, v3, v4 src0_sel:WORD_0 src1_sel:DWORD
	v_cndmask_b32_e32 v4, v5, v3, vcc
; %bb.20:
	s_or_b64 exec, exec, s[4:5]
	v_lshrrev_b32_e32 v3, 16, v4
	v_add_u32_e32 v4, -1, v2
	v_and_b32_e32 v5, 0x70, v2
	v_cmp_lt_i32_e32 vcc, v4, v5
	v_cndmask_b32_e32 v2, v4, v2, vcc
	v_lshlrev_b32_e32 v2, 2, v2
	ds_bpermute_b32 v2, v2, v3
	v_mov_b32_e32 v3, s6
	v_add_co_u32_e32 v0, vcc, s2, v0
	s_waitcnt lgkmcnt(0)
	v_cndmask_b32_e64 v2, v2, v3, s[0:1]
	v_mov_b32_e32 v3, s3
	v_addc_co_u32_e32 v1, vcc, v3, v1, vcc
	global_store_short v[0:1], v2, off
	s_endpgm
	.section	.rodata,"a",@progbits
	.p2align	6, 0x0
	.amdhsa_kernel _Z26warp_exclusive_scan_kernelI12hip_bfloat16Lj64ELj16EENSt9enable_ifIXsr10test_utilsE35device_test_enabled_for_warp_size_vIXT1_EEEvE4typeEPT_S5_S4_
		.amdhsa_group_segment_fixed_size 0
		.amdhsa_private_segment_fixed_size 0
		.amdhsa_kernarg_size 280
		.amdhsa_user_sgpr_count 6
		.amdhsa_user_sgpr_private_segment_buffer 1
		.amdhsa_user_sgpr_dispatch_ptr 0
		.amdhsa_user_sgpr_queue_ptr 0
		.amdhsa_user_sgpr_kernarg_segment_ptr 1
		.amdhsa_user_sgpr_dispatch_id 0
		.amdhsa_user_sgpr_flat_scratch_init 0
		.amdhsa_user_sgpr_private_segment_size 0
		.amdhsa_uses_dynamic_stack 0
		.amdhsa_system_sgpr_private_segment_wavefront_offset 0
		.amdhsa_system_sgpr_workgroup_id_x 1
		.amdhsa_system_sgpr_workgroup_id_y 0
		.amdhsa_system_sgpr_workgroup_id_z 0
		.amdhsa_system_sgpr_workgroup_info 0
		.amdhsa_system_vgpr_workitem_id 0
		.amdhsa_next_free_vgpr 9
		.amdhsa_next_free_sgpr 9
		.amdhsa_reserve_vcc 1
		.amdhsa_reserve_flat_scratch 0
		.amdhsa_float_round_mode_32 0
		.amdhsa_float_round_mode_16_64 0
		.amdhsa_float_denorm_mode_32 3
		.amdhsa_float_denorm_mode_16_64 3
		.amdhsa_dx10_clamp 1
		.amdhsa_ieee_mode 1
		.amdhsa_fp16_overflow 0
		.amdhsa_exception_fp_ieee_invalid_op 0
		.amdhsa_exception_fp_denorm_src 0
		.amdhsa_exception_fp_ieee_div_zero 0
		.amdhsa_exception_fp_ieee_overflow 0
		.amdhsa_exception_fp_ieee_underflow 0
		.amdhsa_exception_fp_ieee_inexact 0
		.amdhsa_exception_int_div_zero 0
	.end_amdhsa_kernel
	.section	.text._Z26warp_exclusive_scan_kernelI12hip_bfloat16Lj64ELj16EENSt9enable_ifIXsr10test_utilsE35device_test_enabled_for_warp_size_vIXT1_EEEvE4typeEPT_S5_S4_,"axG",@progbits,_Z26warp_exclusive_scan_kernelI12hip_bfloat16Lj64ELj16EENSt9enable_ifIXsr10test_utilsE35device_test_enabled_for_warp_size_vIXT1_EEEvE4typeEPT_S5_S4_,comdat
.Lfunc_end134:
	.size	_Z26warp_exclusive_scan_kernelI12hip_bfloat16Lj64ELj16EENSt9enable_ifIXsr10test_utilsE35device_test_enabled_for_warp_size_vIXT1_EEEvE4typeEPT_S5_S4_, .Lfunc_end134-_Z26warp_exclusive_scan_kernelI12hip_bfloat16Lj64ELj16EENSt9enable_ifIXsr10test_utilsE35device_test_enabled_for_warp_size_vIXT1_EEEvE4typeEPT_S5_S4_
                                        ; -- End function
	.set _Z26warp_exclusive_scan_kernelI12hip_bfloat16Lj64ELj16EENSt9enable_ifIXsr10test_utilsE35device_test_enabled_for_warp_size_vIXT1_EEEvE4typeEPT_S5_S4_.num_vgpr, 9
	.set _Z26warp_exclusive_scan_kernelI12hip_bfloat16Lj64ELj16EENSt9enable_ifIXsr10test_utilsE35device_test_enabled_for_warp_size_vIXT1_EEEvE4typeEPT_S5_S4_.num_agpr, 0
	.set _Z26warp_exclusive_scan_kernelI12hip_bfloat16Lj64ELj16EENSt9enable_ifIXsr10test_utilsE35device_test_enabled_for_warp_size_vIXT1_EEEvE4typeEPT_S5_S4_.numbered_sgpr, 9
	.set _Z26warp_exclusive_scan_kernelI12hip_bfloat16Lj64ELj16EENSt9enable_ifIXsr10test_utilsE35device_test_enabled_for_warp_size_vIXT1_EEEvE4typeEPT_S5_S4_.num_named_barrier, 0
	.set _Z26warp_exclusive_scan_kernelI12hip_bfloat16Lj64ELj16EENSt9enable_ifIXsr10test_utilsE35device_test_enabled_for_warp_size_vIXT1_EEEvE4typeEPT_S5_S4_.private_seg_size, 0
	.set _Z26warp_exclusive_scan_kernelI12hip_bfloat16Lj64ELj16EENSt9enable_ifIXsr10test_utilsE35device_test_enabled_for_warp_size_vIXT1_EEEvE4typeEPT_S5_S4_.uses_vcc, 1
	.set _Z26warp_exclusive_scan_kernelI12hip_bfloat16Lj64ELj16EENSt9enable_ifIXsr10test_utilsE35device_test_enabled_for_warp_size_vIXT1_EEEvE4typeEPT_S5_S4_.uses_flat_scratch, 0
	.set _Z26warp_exclusive_scan_kernelI12hip_bfloat16Lj64ELj16EENSt9enable_ifIXsr10test_utilsE35device_test_enabled_for_warp_size_vIXT1_EEEvE4typeEPT_S5_S4_.has_dyn_sized_stack, 0
	.set _Z26warp_exclusive_scan_kernelI12hip_bfloat16Lj64ELj16EENSt9enable_ifIXsr10test_utilsE35device_test_enabled_for_warp_size_vIXT1_EEEvE4typeEPT_S5_S4_.has_recursion, 0
	.set _Z26warp_exclusive_scan_kernelI12hip_bfloat16Lj64ELj16EENSt9enable_ifIXsr10test_utilsE35device_test_enabled_for_warp_size_vIXT1_EEEvE4typeEPT_S5_S4_.has_indirect_call, 0
	.section	.AMDGPU.csdata,"",@progbits
; Kernel info:
; codeLenInByte = 752
; TotalNumSgprs: 13
; NumVgprs: 9
; ScratchSize: 0
; MemoryBound: 0
; FloatMode: 240
; IeeeMode: 1
; LDSByteSize: 0 bytes/workgroup (compile time only)
; SGPRBlocks: 1
; VGPRBlocks: 2
; NumSGPRsForWavesPerEU: 13
; NumVGPRsForWavesPerEU: 9
; Occupancy: 10
; WaveLimiterHint : 0
; COMPUTE_PGM_RSRC2:SCRATCH_EN: 0
; COMPUTE_PGM_RSRC2:USER_SGPR: 6
; COMPUTE_PGM_RSRC2:TRAP_HANDLER: 0
; COMPUTE_PGM_RSRC2:TGID_X_EN: 1
; COMPUTE_PGM_RSRC2:TGID_Y_EN: 0
; COMPUTE_PGM_RSRC2:TGID_Z_EN: 0
; COMPUTE_PGM_RSRC2:TIDIG_COMP_CNT: 0
	.section	.text._Z26warp_exclusive_scan_kernelI12hip_bfloat16Lj32ELj8EENSt9enable_ifIXsr10test_utilsE35device_test_enabled_for_warp_size_vIXT1_EEEvE4typeEPT_S5_S4_,"axG",@progbits,_Z26warp_exclusive_scan_kernelI12hip_bfloat16Lj32ELj8EENSt9enable_ifIXsr10test_utilsE35device_test_enabled_for_warp_size_vIXT1_EEEvE4typeEPT_S5_S4_,comdat
	.protected	_Z26warp_exclusive_scan_kernelI12hip_bfloat16Lj32ELj8EENSt9enable_ifIXsr10test_utilsE35device_test_enabled_for_warp_size_vIXT1_EEEvE4typeEPT_S5_S4_ ; -- Begin function _Z26warp_exclusive_scan_kernelI12hip_bfloat16Lj32ELj8EENSt9enable_ifIXsr10test_utilsE35device_test_enabled_for_warp_size_vIXT1_EEEvE4typeEPT_S5_S4_
	.globl	_Z26warp_exclusive_scan_kernelI12hip_bfloat16Lj32ELj8EENSt9enable_ifIXsr10test_utilsE35device_test_enabled_for_warp_size_vIXT1_EEEvE4typeEPT_S5_S4_
	.p2align	8
	.type	_Z26warp_exclusive_scan_kernelI12hip_bfloat16Lj32ELj8EENSt9enable_ifIXsr10test_utilsE35device_test_enabled_for_warp_size_vIXT1_EEEvE4typeEPT_S5_S4_,@function
_Z26warp_exclusive_scan_kernelI12hip_bfloat16Lj32ELj8EENSt9enable_ifIXsr10test_utilsE35device_test_enabled_for_warp_size_vIXT1_EEEvE4typeEPT_S5_S4_: ; @_Z26warp_exclusive_scan_kernelI12hip_bfloat16Lj32ELj8EENSt9enable_ifIXsr10test_utilsE35device_test_enabled_for_warp_size_vIXT1_EEEvE4typeEPT_S5_S4_
; %bb.0:
	s_load_dword s7, s[4:5], 0x24
	s_load_dwordx4 s[0:3], s[4:5], 0x0
	v_mov_b32_e32 v1, 0
                                        ; implicit-def: $vgpr6
	s_waitcnt lgkmcnt(0)
	s_and_b32 s7, s7, 0xffff
	s_mul_i32 s6, s6, s7
	v_add_u32_e32 v0, s6, v0
	v_lshlrev_b64 v[0:1], 1, v[0:1]
	v_mov_b32_e32 v3, s1
	v_add_co_u32_e32 v2, vcc, s0, v0
	v_addc_co_u32_e32 v3, vcc, v3, v1, vcc
	global_load_ushort v4, v[2:3], off
	s_mov_b32 s0, 0x7f800000
	s_waitcnt vmcnt(0)
	v_lshlrev_b32_e32 v5, 16, v4
	v_mov_b32_dpp v2, v4 row_shr:1 row_mask:0xf bank_mask:0xf
	v_lshlrev_b32_e32 v2, 16, v2
	v_add_f32_e32 v2, v5, v2
	v_and_b32_e32 v3, 0x7f800000, v2
	v_cmp_ne_u32_e32 vcc, s0, v3
	s_and_saveexec_b64 s[0:1], vcc
	s_xor_b64 s[0:1], exec, s[0:1]
; %bb.1:
	v_bfe_u32 v3, v2, 16, 1
	s_movk_i32 s6, 0x7fff
	v_add3_u32 v6, v2, v3, s6
                                        ; implicit-def: $vgpr2
; %bb.2:
	s_andn2_saveexec_b64 s[0:1], s[0:1]
; %bb.3:
	v_mov_b32_e32 v3, 0
	v_or_b32_e32 v6, 0x10000, v2
	v_cmp_eq_u32_sdwa vcc, v2, v3 src0_sel:WORD_0 src1_sel:DWORD
	v_cndmask_b32_e32 v6, v6, v2, vcc
; %bb.4:
	s_or_b64 exec, exec, s[0:1]
	v_mbcnt_lo_u32_b32 v2, -1, 0
	v_mbcnt_hi_u32_b32 v2, -1, v2
	v_and_b32_e32 v3, 7, v2
	v_and_b32_e32 v7, 0xffff0000, v6
	v_lshrrev_b32_e32 v6, 16, v6
	v_cmp_eq_u32_e64 s[0:1], 0, v3
	v_cndmask_b32_e64 v4, v6, v4, s[0:1]
	v_cndmask_b32_e64 v5, v7, v5, s[0:1]
	s_mov_b32 s6, 0x7f800000
	v_mov_b32_dpp v6, v4 row_shr:2 row_mask:0xf bank_mask:0xf
	v_lshlrev_b32_e32 v6, 16, v6
	v_add_f32_e32 v6, v5, v6
	v_and_b32_e32 v7, 0x7f800000, v6
	v_cmp_ne_u32_e32 vcc, s6, v7
                                        ; implicit-def: $vgpr7
	s_and_saveexec_b64 s[6:7], vcc
	s_xor_b64 s[6:7], exec, s[6:7]
; %bb.5:
	v_bfe_u32 v7, v6, 16, 1
	s_movk_i32 s8, 0x7fff
	v_add3_u32 v7, v6, v7, s8
                                        ; implicit-def: $vgpr6
; %bb.6:
	s_andn2_saveexec_b64 s[6:7], s[6:7]
; %bb.7:
	v_mov_b32_e32 v7, 0
	v_or_b32_e32 v8, 0x10000, v6
	v_cmp_eq_u32_sdwa vcc, v6, v7 src0_sel:WORD_0 src1_sel:DWORD
	v_cndmask_b32_e32 v7, v8, v6, vcc
; %bb.8:
	s_or_b64 exec, exec, s[6:7]
	v_and_b32_e32 v6, 0xffff0000, v7
	v_lshrrev_b32_e32 v7, 16, v7
	v_cmp_lt_u32_e32 vcc, 1, v3
	v_cndmask_b32_e32 v4, v4, v7, vcc
	v_cndmask_b32_e32 v5, v5, v6, vcc
	s_mov_b32 s6, 0x7f800000
	v_mov_b32_dpp v6, v4 row_shr:4 row_mask:0xf bank_mask:0xf
	v_lshlrev_b32_e32 v6, 16, v6
	v_add_f32_e32 v5, v5, v6
	v_and_b32_e32 v6, 0x7f800000, v5
	v_cmp_ne_u32_e32 vcc, s6, v6
                                        ; implicit-def: $vgpr6
	s_and_saveexec_b64 s[6:7], vcc
	s_xor_b64 s[6:7], exec, s[6:7]
; %bb.9:
	v_bfe_u32 v6, v5, 16, 1
	s_movk_i32 s8, 0x7fff
	v_add3_u32 v6, v5, v6, s8
                                        ; implicit-def: $vgpr5
; %bb.10:
	s_andn2_saveexec_b64 s[6:7], s[6:7]
; %bb.11:
	v_mov_b32_e32 v6, 0
	v_or_b32_e32 v7, 0x10000, v5
	v_cmp_eq_u32_sdwa vcc, v5, v6 src0_sel:WORD_0 src1_sel:DWORD
	v_cndmask_b32_e32 v6, v7, v5, vcc
; %bb.12:
	s_or_b64 exec, exec, s[6:7]
	s_load_dword s6, s[4:5], 0x10
	v_cmp_lt_u32_e32 vcc, 3, v3
	v_cndmask_b32_sdwa v3, v4, v6, vcc dst_sel:WORD_1 dst_unused:UNUSED_PAD src0_sel:DWORD src1_sel:WORD_1
	s_waitcnt lgkmcnt(0)
	s_lshl_b32 s4, s6, 16
	v_add_f32_e32 v3, s4, v3
	s_mov_b32 s4, 0x7f800000
	v_and_b32_e32 v4, 0x7f800000, v3
	v_cmp_ne_u32_e32 vcc, s4, v4
                                        ; implicit-def: $vgpr4
	s_and_saveexec_b64 s[4:5], vcc
	s_xor_b64 s[4:5], exec, s[4:5]
; %bb.13:
	v_bfe_u32 v4, v3, 16, 1
	s_movk_i32 s7, 0x7fff
	v_add3_u32 v4, v3, v4, s7
                                        ; implicit-def: $vgpr3
; %bb.14:
	s_andn2_saveexec_b64 s[4:5], s[4:5]
; %bb.15:
	v_mov_b32_e32 v4, 0
	v_or_b32_e32 v5, 0x10000, v3
	v_cmp_eq_u32_sdwa vcc, v3, v4 src0_sel:WORD_0 src1_sel:DWORD
	v_cndmask_b32_e32 v4, v5, v3, vcc
; %bb.16:
	s_or_b64 exec, exec, s[4:5]
	v_lshrrev_b32_e32 v3, 16, v4
	v_add_u32_e32 v4, -1, v2
	v_and_b32_e32 v5, 0x78, v2
	v_cmp_lt_i32_e32 vcc, v4, v5
	v_cndmask_b32_e32 v2, v4, v2, vcc
	v_lshlrev_b32_e32 v2, 2, v2
	ds_bpermute_b32 v2, v2, v3
	v_mov_b32_e32 v3, s6
	v_add_co_u32_e32 v0, vcc, s2, v0
	s_waitcnt lgkmcnt(0)
	v_cndmask_b32_e64 v2, v2, v3, s[0:1]
	v_mov_b32_e32 v3, s3
	v_addc_co_u32_e32 v1, vcc, v3, v1, vcc
	global_store_short v[0:1], v2, off
	s_endpgm
	.section	.rodata,"a",@progbits
	.p2align	6, 0x0
	.amdhsa_kernel _Z26warp_exclusive_scan_kernelI12hip_bfloat16Lj32ELj8EENSt9enable_ifIXsr10test_utilsE35device_test_enabled_for_warp_size_vIXT1_EEEvE4typeEPT_S5_S4_
		.amdhsa_group_segment_fixed_size 0
		.amdhsa_private_segment_fixed_size 0
		.amdhsa_kernarg_size 280
		.amdhsa_user_sgpr_count 6
		.amdhsa_user_sgpr_private_segment_buffer 1
		.amdhsa_user_sgpr_dispatch_ptr 0
		.amdhsa_user_sgpr_queue_ptr 0
		.amdhsa_user_sgpr_kernarg_segment_ptr 1
		.amdhsa_user_sgpr_dispatch_id 0
		.amdhsa_user_sgpr_flat_scratch_init 0
		.amdhsa_user_sgpr_private_segment_size 0
		.amdhsa_uses_dynamic_stack 0
		.amdhsa_system_sgpr_private_segment_wavefront_offset 0
		.amdhsa_system_sgpr_workgroup_id_x 1
		.amdhsa_system_sgpr_workgroup_id_y 0
		.amdhsa_system_sgpr_workgroup_id_z 0
		.amdhsa_system_sgpr_workgroup_info 0
		.amdhsa_system_vgpr_workitem_id 0
		.amdhsa_next_free_vgpr 9
		.amdhsa_next_free_sgpr 9
		.amdhsa_reserve_vcc 1
		.amdhsa_reserve_flat_scratch 0
		.amdhsa_float_round_mode_32 0
		.amdhsa_float_round_mode_16_64 0
		.amdhsa_float_denorm_mode_32 3
		.amdhsa_float_denorm_mode_16_64 3
		.amdhsa_dx10_clamp 1
		.amdhsa_ieee_mode 1
		.amdhsa_fp16_overflow 0
		.amdhsa_exception_fp_ieee_invalid_op 0
		.amdhsa_exception_fp_denorm_src 0
		.amdhsa_exception_fp_ieee_div_zero 0
		.amdhsa_exception_fp_ieee_overflow 0
		.amdhsa_exception_fp_ieee_underflow 0
		.amdhsa_exception_fp_ieee_inexact 0
		.amdhsa_exception_int_div_zero 0
	.end_amdhsa_kernel
	.section	.text._Z26warp_exclusive_scan_kernelI12hip_bfloat16Lj32ELj8EENSt9enable_ifIXsr10test_utilsE35device_test_enabled_for_warp_size_vIXT1_EEEvE4typeEPT_S5_S4_,"axG",@progbits,_Z26warp_exclusive_scan_kernelI12hip_bfloat16Lj32ELj8EENSt9enable_ifIXsr10test_utilsE35device_test_enabled_for_warp_size_vIXT1_EEEvE4typeEPT_S5_S4_,comdat
.Lfunc_end135:
	.size	_Z26warp_exclusive_scan_kernelI12hip_bfloat16Lj32ELj8EENSt9enable_ifIXsr10test_utilsE35device_test_enabled_for_warp_size_vIXT1_EEEvE4typeEPT_S5_S4_, .Lfunc_end135-_Z26warp_exclusive_scan_kernelI12hip_bfloat16Lj32ELj8EENSt9enable_ifIXsr10test_utilsE35device_test_enabled_for_warp_size_vIXT1_EEEvE4typeEPT_S5_S4_
                                        ; -- End function
	.set _Z26warp_exclusive_scan_kernelI12hip_bfloat16Lj32ELj8EENSt9enable_ifIXsr10test_utilsE35device_test_enabled_for_warp_size_vIXT1_EEEvE4typeEPT_S5_S4_.num_vgpr, 9
	.set _Z26warp_exclusive_scan_kernelI12hip_bfloat16Lj32ELj8EENSt9enable_ifIXsr10test_utilsE35device_test_enabled_for_warp_size_vIXT1_EEEvE4typeEPT_S5_S4_.num_agpr, 0
	.set _Z26warp_exclusive_scan_kernelI12hip_bfloat16Lj32ELj8EENSt9enable_ifIXsr10test_utilsE35device_test_enabled_for_warp_size_vIXT1_EEEvE4typeEPT_S5_S4_.numbered_sgpr, 9
	.set _Z26warp_exclusive_scan_kernelI12hip_bfloat16Lj32ELj8EENSt9enable_ifIXsr10test_utilsE35device_test_enabled_for_warp_size_vIXT1_EEEvE4typeEPT_S5_S4_.num_named_barrier, 0
	.set _Z26warp_exclusive_scan_kernelI12hip_bfloat16Lj32ELj8EENSt9enable_ifIXsr10test_utilsE35device_test_enabled_for_warp_size_vIXT1_EEEvE4typeEPT_S5_S4_.private_seg_size, 0
	.set _Z26warp_exclusive_scan_kernelI12hip_bfloat16Lj32ELj8EENSt9enable_ifIXsr10test_utilsE35device_test_enabled_for_warp_size_vIXT1_EEEvE4typeEPT_S5_S4_.uses_vcc, 1
	.set _Z26warp_exclusive_scan_kernelI12hip_bfloat16Lj32ELj8EENSt9enable_ifIXsr10test_utilsE35device_test_enabled_for_warp_size_vIXT1_EEEvE4typeEPT_S5_S4_.uses_flat_scratch, 0
	.set _Z26warp_exclusive_scan_kernelI12hip_bfloat16Lj32ELj8EENSt9enable_ifIXsr10test_utilsE35device_test_enabled_for_warp_size_vIXT1_EEEvE4typeEPT_S5_S4_.has_dyn_sized_stack, 0
	.set _Z26warp_exclusive_scan_kernelI12hip_bfloat16Lj32ELj8EENSt9enable_ifIXsr10test_utilsE35device_test_enabled_for_warp_size_vIXT1_EEEvE4typeEPT_S5_S4_.has_recursion, 0
	.set _Z26warp_exclusive_scan_kernelI12hip_bfloat16Lj32ELj8EENSt9enable_ifIXsr10test_utilsE35device_test_enabled_for_warp_size_vIXT1_EEEvE4typeEPT_S5_S4_.has_indirect_call, 0
	.section	.AMDGPU.csdata,"",@progbits
; Kernel info:
; codeLenInByte = 632
; TotalNumSgprs: 13
; NumVgprs: 9
; ScratchSize: 0
; MemoryBound: 0
; FloatMode: 240
; IeeeMode: 1
; LDSByteSize: 0 bytes/workgroup (compile time only)
; SGPRBlocks: 1
; VGPRBlocks: 2
; NumSGPRsForWavesPerEU: 13
; NumVGPRsForWavesPerEU: 9
; Occupancy: 10
; WaveLimiterHint : 0
; COMPUTE_PGM_RSRC2:SCRATCH_EN: 0
; COMPUTE_PGM_RSRC2:USER_SGPR: 6
; COMPUTE_PGM_RSRC2:TRAP_HANDLER: 0
; COMPUTE_PGM_RSRC2:TGID_X_EN: 1
; COMPUTE_PGM_RSRC2:TGID_Y_EN: 0
; COMPUTE_PGM_RSRC2:TGID_Z_EN: 0
; COMPUTE_PGM_RSRC2:TIDIG_COMP_CNT: 0
	.section	.text._Z26warp_exclusive_scan_kernelI12hip_bfloat16Lj64ELj8EENSt9enable_ifIXsr10test_utilsE35device_test_enabled_for_warp_size_vIXT1_EEEvE4typeEPT_S5_S4_,"axG",@progbits,_Z26warp_exclusive_scan_kernelI12hip_bfloat16Lj64ELj8EENSt9enable_ifIXsr10test_utilsE35device_test_enabled_for_warp_size_vIXT1_EEEvE4typeEPT_S5_S4_,comdat
	.protected	_Z26warp_exclusive_scan_kernelI12hip_bfloat16Lj64ELj8EENSt9enable_ifIXsr10test_utilsE35device_test_enabled_for_warp_size_vIXT1_EEEvE4typeEPT_S5_S4_ ; -- Begin function _Z26warp_exclusive_scan_kernelI12hip_bfloat16Lj64ELj8EENSt9enable_ifIXsr10test_utilsE35device_test_enabled_for_warp_size_vIXT1_EEEvE4typeEPT_S5_S4_
	.globl	_Z26warp_exclusive_scan_kernelI12hip_bfloat16Lj64ELj8EENSt9enable_ifIXsr10test_utilsE35device_test_enabled_for_warp_size_vIXT1_EEEvE4typeEPT_S5_S4_
	.p2align	8
	.type	_Z26warp_exclusive_scan_kernelI12hip_bfloat16Lj64ELj8EENSt9enable_ifIXsr10test_utilsE35device_test_enabled_for_warp_size_vIXT1_EEEvE4typeEPT_S5_S4_,@function
_Z26warp_exclusive_scan_kernelI12hip_bfloat16Lj64ELj8EENSt9enable_ifIXsr10test_utilsE35device_test_enabled_for_warp_size_vIXT1_EEEvE4typeEPT_S5_S4_: ; @_Z26warp_exclusive_scan_kernelI12hip_bfloat16Lj64ELj8EENSt9enable_ifIXsr10test_utilsE35device_test_enabled_for_warp_size_vIXT1_EEEvE4typeEPT_S5_S4_
; %bb.0:
	s_load_dword s7, s[4:5], 0x24
	s_load_dwordx4 s[0:3], s[4:5], 0x0
	v_mov_b32_e32 v1, 0
                                        ; implicit-def: $vgpr6
	s_waitcnt lgkmcnt(0)
	s_and_b32 s7, s7, 0xffff
	s_mul_i32 s6, s6, s7
	v_add_u32_e32 v0, s6, v0
	v_lshlrev_b64 v[0:1], 1, v[0:1]
	v_mov_b32_e32 v3, s1
	v_add_co_u32_e32 v2, vcc, s0, v0
	v_addc_co_u32_e32 v3, vcc, v3, v1, vcc
	global_load_ushort v4, v[2:3], off
	s_mov_b32 s0, 0x7f800000
	s_waitcnt vmcnt(0)
	v_lshlrev_b32_e32 v5, 16, v4
	v_mov_b32_dpp v2, v4 row_shr:1 row_mask:0xf bank_mask:0xf
	v_lshlrev_b32_e32 v2, 16, v2
	v_add_f32_e32 v2, v5, v2
	v_and_b32_e32 v3, 0x7f800000, v2
	v_cmp_ne_u32_e32 vcc, s0, v3
	s_and_saveexec_b64 s[0:1], vcc
	s_xor_b64 s[0:1], exec, s[0:1]
; %bb.1:
	v_bfe_u32 v3, v2, 16, 1
	s_movk_i32 s6, 0x7fff
	v_add3_u32 v6, v2, v3, s6
                                        ; implicit-def: $vgpr2
; %bb.2:
	s_andn2_saveexec_b64 s[0:1], s[0:1]
; %bb.3:
	v_mov_b32_e32 v3, 0
	v_or_b32_e32 v6, 0x10000, v2
	v_cmp_eq_u32_sdwa vcc, v2, v3 src0_sel:WORD_0 src1_sel:DWORD
	v_cndmask_b32_e32 v6, v6, v2, vcc
; %bb.4:
	s_or_b64 exec, exec, s[0:1]
	v_mbcnt_lo_u32_b32 v2, -1, 0
	v_mbcnt_hi_u32_b32 v2, -1, v2
	v_and_b32_e32 v3, 7, v2
	v_and_b32_e32 v7, 0xffff0000, v6
	v_lshrrev_b32_e32 v6, 16, v6
	v_cmp_eq_u32_e64 s[0:1], 0, v3
	v_cndmask_b32_e64 v4, v6, v4, s[0:1]
	v_cndmask_b32_e64 v5, v7, v5, s[0:1]
	s_mov_b32 s6, 0x7f800000
	v_mov_b32_dpp v6, v4 row_shr:2 row_mask:0xf bank_mask:0xf
	v_lshlrev_b32_e32 v6, 16, v6
	v_add_f32_e32 v6, v5, v6
	v_and_b32_e32 v7, 0x7f800000, v6
	v_cmp_ne_u32_e32 vcc, s6, v7
                                        ; implicit-def: $vgpr7
	s_and_saveexec_b64 s[6:7], vcc
	s_xor_b64 s[6:7], exec, s[6:7]
; %bb.5:
	v_bfe_u32 v7, v6, 16, 1
	s_movk_i32 s8, 0x7fff
	v_add3_u32 v7, v6, v7, s8
                                        ; implicit-def: $vgpr6
; %bb.6:
	s_andn2_saveexec_b64 s[6:7], s[6:7]
; %bb.7:
	v_mov_b32_e32 v7, 0
	v_or_b32_e32 v8, 0x10000, v6
	v_cmp_eq_u32_sdwa vcc, v6, v7 src0_sel:WORD_0 src1_sel:DWORD
	v_cndmask_b32_e32 v7, v8, v6, vcc
; %bb.8:
	s_or_b64 exec, exec, s[6:7]
	v_and_b32_e32 v6, 0xffff0000, v7
	v_lshrrev_b32_e32 v7, 16, v7
	v_cmp_lt_u32_e32 vcc, 1, v3
	v_cndmask_b32_e32 v4, v4, v7, vcc
	v_cndmask_b32_e32 v5, v5, v6, vcc
	s_mov_b32 s6, 0x7f800000
	v_mov_b32_dpp v6, v4 row_shr:4 row_mask:0xf bank_mask:0xf
	v_lshlrev_b32_e32 v6, 16, v6
	v_add_f32_e32 v5, v5, v6
	v_and_b32_e32 v6, 0x7f800000, v5
	v_cmp_ne_u32_e32 vcc, s6, v6
                                        ; implicit-def: $vgpr6
	s_and_saveexec_b64 s[6:7], vcc
	s_xor_b64 s[6:7], exec, s[6:7]
; %bb.9:
	v_bfe_u32 v6, v5, 16, 1
	s_movk_i32 s8, 0x7fff
	v_add3_u32 v6, v5, v6, s8
                                        ; implicit-def: $vgpr5
; %bb.10:
	s_andn2_saveexec_b64 s[6:7], s[6:7]
; %bb.11:
	v_mov_b32_e32 v6, 0
	v_or_b32_e32 v7, 0x10000, v5
	v_cmp_eq_u32_sdwa vcc, v5, v6 src0_sel:WORD_0 src1_sel:DWORD
	v_cndmask_b32_e32 v6, v7, v5, vcc
; %bb.12:
	s_or_b64 exec, exec, s[6:7]
	s_load_dword s6, s[4:5], 0x10
	v_cmp_lt_u32_e32 vcc, 3, v3
	v_cndmask_b32_sdwa v3, v4, v6, vcc dst_sel:WORD_1 dst_unused:UNUSED_PAD src0_sel:DWORD src1_sel:WORD_1
	s_waitcnt lgkmcnt(0)
	s_lshl_b32 s4, s6, 16
	v_add_f32_e32 v3, s4, v3
	s_mov_b32 s4, 0x7f800000
	v_and_b32_e32 v4, 0x7f800000, v3
	v_cmp_ne_u32_e32 vcc, s4, v4
                                        ; implicit-def: $vgpr4
	s_and_saveexec_b64 s[4:5], vcc
	s_xor_b64 s[4:5], exec, s[4:5]
; %bb.13:
	v_bfe_u32 v4, v3, 16, 1
	s_movk_i32 s7, 0x7fff
	v_add3_u32 v4, v3, v4, s7
                                        ; implicit-def: $vgpr3
; %bb.14:
	s_andn2_saveexec_b64 s[4:5], s[4:5]
; %bb.15:
	v_mov_b32_e32 v4, 0
	v_or_b32_e32 v5, 0x10000, v3
	v_cmp_eq_u32_sdwa vcc, v3, v4 src0_sel:WORD_0 src1_sel:DWORD
	v_cndmask_b32_e32 v4, v5, v3, vcc
; %bb.16:
	s_or_b64 exec, exec, s[4:5]
	v_lshrrev_b32_e32 v3, 16, v4
	v_add_u32_e32 v4, -1, v2
	v_and_b32_e32 v5, 0x78, v2
	v_cmp_lt_i32_e32 vcc, v4, v5
	v_cndmask_b32_e32 v2, v4, v2, vcc
	v_lshlrev_b32_e32 v2, 2, v2
	ds_bpermute_b32 v2, v2, v3
	v_mov_b32_e32 v3, s6
	v_add_co_u32_e32 v0, vcc, s2, v0
	s_waitcnt lgkmcnt(0)
	v_cndmask_b32_e64 v2, v2, v3, s[0:1]
	v_mov_b32_e32 v3, s3
	v_addc_co_u32_e32 v1, vcc, v3, v1, vcc
	global_store_short v[0:1], v2, off
	s_endpgm
	.section	.rodata,"a",@progbits
	.p2align	6, 0x0
	.amdhsa_kernel _Z26warp_exclusive_scan_kernelI12hip_bfloat16Lj64ELj8EENSt9enable_ifIXsr10test_utilsE35device_test_enabled_for_warp_size_vIXT1_EEEvE4typeEPT_S5_S4_
		.amdhsa_group_segment_fixed_size 0
		.amdhsa_private_segment_fixed_size 0
		.amdhsa_kernarg_size 280
		.amdhsa_user_sgpr_count 6
		.amdhsa_user_sgpr_private_segment_buffer 1
		.amdhsa_user_sgpr_dispatch_ptr 0
		.amdhsa_user_sgpr_queue_ptr 0
		.amdhsa_user_sgpr_kernarg_segment_ptr 1
		.amdhsa_user_sgpr_dispatch_id 0
		.amdhsa_user_sgpr_flat_scratch_init 0
		.amdhsa_user_sgpr_private_segment_size 0
		.amdhsa_uses_dynamic_stack 0
		.amdhsa_system_sgpr_private_segment_wavefront_offset 0
		.amdhsa_system_sgpr_workgroup_id_x 1
		.amdhsa_system_sgpr_workgroup_id_y 0
		.amdhsa_system_sgpr_workgroup_id_z 0
		.amdhsa_system_sgpr_workgroup_info 0
		.amdhsa_system_vgpr_workitem_id 0
		.amdhsa_next_free_vgpr 9
		.amdhsa_next_free_sgpr 9
		.amdhsa_reserve_vcc 1
		.amdhsa_reserve_flat_scratch 0
		.amdhsa_float_round_mode_32 0
		.amdhsa_float_round_mode_16_64 0
		.amdhsa_float_denorm_mode_32 3
		.amdhsa_float_denorm_mode_16_64 3
		.amdhsa_dx10_clamp 1
		.amdhsa_ieee_mode 1
		.amdhsa_fp16_overflow 0
		.amdhsa_exception_fp_ieee_invalid_op 0
		.amdhsa_exception_fp_denorm_src 0
		.amdhsa_exception_fp_ieee_div_zero 0
		.amdhsa_exception_fp_ieee_overflow 0
		.amdhsa_exception_fp_ieee_underflow 0
		.amdhsa_exception_fp_ieee_inexact 0
		.amdhsa_exception_int_div_zero 0
	.end_amdhsa_kernel
	.section	.text._Z26warp_exclusive_scan_kernelI12hip_bfloat16Lj64ELj8EENSt9enable_ifIXsr10test_utilsE35device_test_enabled_for_warp_size_vIXT1_EEEvE4typeEPT_S5_S4_,"axG",@progbits,_Z26warp_exclusive_scan_kernelI12hip_bfloat16Lj64ELj8EENSt9enable_ifIXsr10test_utilsE35device_test_enabled_for_warp_size_vIXT1_EEEvE4typeEPT_S5_S4_,comdat
.Lfunc_end136:
	.size	_Z26warp_exclusive_scan_kernelI12hip_bfloat16Lj64ELj8EENSt9enable_ifIXsr10test_utilsE35device_test_enabled_for_warp_size_vIXT1_EEEvE4typeEPT_S5_S4_, .Lfunc_end136-_Z26warp_exclusive_scan_kernelI12hip_bfloat16Lj64ELj8EENSt9enable_ifIXsr10test_utilsE35device_test_enabled_for_warp_size_vIXT1_EEEvE4typeEPT_S5_S4_
                                        ; -- End function
	.set _Z26warp_exclusive_scan_kernelI12hip_bfloat16Lj64ELj8EENSt9enable_ifIXsr10test_utilsE35device_test_enabled_for_warp_size_vIXT1_EEEvE4typeEPT_S5_S4_.num_vgpr, 9
	.set _Z26warp_exclusive_scan_kernelI12hip_bfloat16Lj64ELj8EENSt9enable_ifIXsr10test_utilsE35device_test_enabled_for_warp_size_vIXT1_EEEvE4typeEPT_S5_S4_.num_agpr, 0
	.set _Z26warp_exclusive_scan_kernelI12hip_bfloat16Lj64ELj8EENSt9enable_ifIXsr10test_utilsE35device_test_enabled_for_warp_size_vIXT1_EEEvE4typeEPT_S5_S4_.numbered_sgpr, 9
	.set _Z26warp_exclusive_scan_kernelI12hip_bfloat16Lj64ELj8EENSt9enable_ifIXsr10test_utilsE35device_test_enabled_for_warp_size_vIXT1_EEEvE4typeEPT_S5_S4_.num_named_barrier, 0
	.set _Z26warp_exclusive_scan_kernelI12hip_bfloat16Lj64ELj8EENSt9enable_ifIXsr10test_utilsE35device_test_enabled_for_warp_size_vIXT1_EEEvE4typeEPT_S5_S4_.private_seg_size, 0
	.set _Z26warp_exclusive_scan_kernelI12hip_bfloat16Lj64ELj8EENSt9enable_ifIXsr10test_utilsE35device_test_enabled_for_warp_size_vIXT1_EEEvE4typeEPT_S5_S4_.uses_vcc, 1
	.set _Z26warp_exclusive_scan_kernelI12hip_bfloat16Lj64ELj8EENSt9enable_ifIXsr10test_utilsE35device_test_enabled_for_warp_size_vIXT1_EEEvE4typeEPT_S5_S4_.uses_flat_scratch, 0
	.set _Z26warp_exclusive_scan_kernelI12hip_bfloat16Lj64ELj8EENSt9enable_ifIXsr10test_utilsE35device_test_enabled_for_warp_size_vIXT1_EEEvE4typeEPT_S5_S4_.has_dyn_sized_stack, 0
	.set _Z26warp_exclusive_scan_kernelI12hip_bfloat16Lj64ELj8EENSt9enable_ifIXsr10test_utilsE35device_test_enabled_for_warp_size_vIXT1_EEEvE4typeEPT_S5_S4_.has_recursion, 0
	.set _Z26warp_exclusive_scan_kernelI12hip_bfloat16Lj64ELj8EENSt9enable_ifIXsr10test_utilsE35device_test_enabled_for_warp_size_vIXT1_EEEvE4typeEPT_S5_S4_.has_indirect_call, 0
	.section	.AMDGPU.csdata,"",@progbits
; Kernel info:
; codeLenInByte = 632
; TotalNumSgprs: 13
; NumVgprs: 9
; ScratchSize: 0
; MemoryBound: 0
; FloatMode: 240
; IeeeMode: 1
; LDSByteSize: 0 bytes/workgroup (compile time only)
; SGPRBlocks: 1
; VGPRBlocks: 2
; NumSGPRsForWavesPerEU: 13
; NumVGPRsForWavesPerEU: 9
; Occupancy: 10
; WaveLimiterHint : 0
; COMPUTE_PGM_RSRC2:SCRATCH_EN: 0
; COMPUTE_PGM_RSRC2:USER_SGPR: 6
; COMPUTE_PGM_RSRC2:TRAP_HANDLER: 0
; COMPUTE_PGM_RSRC2:TGID_X_EN: 1
; COMPUTE_PGM_RSRC2:TGID_Y_EN: 0
; COMPUTE_PGM_RSRC2:TGID_Z_EN: 0
; COMPUTE_PGM_RSRC2:TIDIG_COMP_CNT: 0
	.section	.text._Z26warp_exclusive_scan_kernelI12hip_bfloat16Lj32ELj4EENSt9enable_ifIXsr10test_utilsE35device_test_enabled_for_warp_size_vIXT1_EEEvE4typeEPT_S5_S4_,"axG",@progbits,_Z26warp_exclusive_scan_kernelI12hip_bfloat16Lj32ELj4EENSt9enable_ifIXsr10test_utilsE35device_test_enabled_for_warp_size_vIXT1_EEEvE4typeEPT_S5_S4_,comdat
	.protected	_Z26warp_exclusive_scan_kernelI12hip_bfloat16Lj32ELj4EENSt9enable_ifIXsr10test_utilsE35device_test_enabled_for_warp_size_vIXT1_EEEvE4typeEPT_S5_S4_ ; -- Begin function _Z26warp_exclusive_scan_kernelI12hip_bfloat16Lj32ELj4EENSt9enable_ifIXsr10test_utilsE35device_test_enabled_for_warp_size_vIXT1_EEEvE4typeEPT_S5_S4_
	.globl	_Z26warp_exclusive_scan_kernelI12hip_bfloat16Lj32ELj4EENSt9enable_ifIXsr10test_utilsE35device_test_enabled_for_warp_size_vIXT1_EEEvE4typeEPT_S5_S4_
	.p2align	8
	.type	_Z26warp_exclusive_scan_kernelI12hip_bfloat16Lj32ELj4EENSt9enable_ifIXsr10test_utilsE35device_test_enabled_for_warp_size_vIXT1_EEEvE4typeEPT_S5_S4_,@function
_Z26warp_exclusive_scan_kernelI12hip_bfloat16Lj32ELj4EENSt9enable_ifIXsr10test_utilsE35device_test_enabled_for_warp_size_vIXT1_EEEvE4typeEPT_S5_S4_: ; @_Z26warp_exclusive_scan_kernelI12hip_bfloat16Lj32ELj4EENSt9enable_ifIXsr10test_utilsE35device_test_enabled_for_warp_size_vIXT1_EEEvE4typeEPT_S5_S4_
; %bb.0:
	s_load_dword s7, s[4:5], 0x24
	s_load_dwordx4 s[0:3], s[4:5], 0x0
	v_mov_b32_e32 v1, 0
                                        ; implicit-def: $vgpr6
	s_waitcnt lgkmcnt(0)
	s_and_b32 s7, s7, 0xffff
	s_mul_i32 s6, s6, s7
	v_add_u32_e32 v0, s6, v0
	v_lshlrev_b64 v[0:1], 1, v[0:1]
	v_mov_b32_e32 v3, s1
	v_add_co_u32_e32 v2, vcc, s0, v0
	v_addc_co_u32_e32 v3, vcc, v3, v1, vcc
	global_load_ushort v3, v[2:3], off
	s_mov_b32 s0, 0x7f800000
	s_waitcnt vmcnt(0)
	v_lshlrev_b32_e32 v5, 16, v3
	v_mov_b32_dpp v2, v3 row_shr:1 row_mask:0xf bank_mask:0xf
	v_lshlrev_b32_e32 v2, 16, v2
	v_add_f32_e32 v2, v5, v2
	v_and_b32_e32 v4, 0x7f800000, v2
	v_cmp_ne_u32_e32 vcc, s0, v4
	s_and_saveexec_b64 s[0:1], vcc
	s_xor_b64 s[0:1], exec, s[0:1]
; %bb.1:
	v_bfe_u32 v4, v2, 16, 1
	s_movk_i32 s6, 0x7fff
	v_add3_u32 v6, v2, v4, s6
                                        ; implicit-def: $vgpr2
; %bb.2:
	s_andn2_saveexec_b64 s[0:1], s[0:1]
; %bb.3:
	v_mov_b32_e32 v4, 0
	v_or_b32_e32 v6, 0x10000, v2
	v_cmp_eq_u32_sdwa vcc, v2, v4 src0_sel:WORD_0 src1_sel:DWORD
	v_cndmask_b32_e32 v6, v6, v2, vcc
; %bb.4:
	s_or_b64 exec, exec, s[0:1]
	v_mbcnt_lo_u32_b32 v2, -1, 0
	v_mbcnt_hi_u32_b32 v2, -1, v2
	v_and_b32_e32 v4, 3, v2
	v_and_b32_e32 v7, 0xffff0000, v6
	v_lshrrev_b32_e32 v6, 16, v6
	v_cmp_eq_u32_e64 s[0:1], 0, v4
	v_cndmask_b32_e64 v3, v6, v3, s[0:1]
	v_cndmask_b32_e64 v5, v7, v5, s[0:1]
	s_mov_b32 s6, 0x7f800000
	v_mov_b32_dpp v6, v3 row_shr:2 row_mask:0xf bank_mask:0xf
	v_lshlrev_b32_e32 v6, 16, v6
	v_add_f32_e32 v5, v5, v6
	v_and_b32_e32 v6, 0x7f800000, v5
	v_cmp_ne_u32_e32 vcc, s6, v6
                                        ; implicit-def: $vgpr6
	s_and_saveexec_b64 s[6:7], vcc
	s_xor_b64 s[6:7], exec, s[6:7]
; %bb.5:
	v_bfe_u32 v6, v5, 16, 1
	s_movk_i32 s8, 0x7fff
	v_add3_u32 v6, v5, v6, s8
                                        ; implicit-def: $vgpr5
; %bb.6:
	s_andn2_saveexec_b64 s[6:7], s[6:7]
; %bb.7:
	v_mov_b32_e32 v6, 0
	v_or_b32_e32 v7, 0x10000, v5
	v_cmp_eq_u32_sdwa vcc, v5, v6 src0_sel:WORD_0 src1_sel:DWORD
	v_cndmask_b32_e32 v6, v7, v5, vcc
; %bb.8:
	s_or_b64 exec, exec, s[6:7]
	s_load_dword s6, s[4:5], 0x10
	v_cmp_lt_u32_e32 vcc, 1, v4
	v_cndmask_b32_sdwa v3, v3, v6, vcc dst_sel:WORD_1 dst_unused:UNUSED_PAD src0_sel:DWORD src1_sel:WORD_1
	s_waitcnt lgkmcnt(0)
	s_lshl_b32 s4, s6, 16
	v_add_f32_e32 v3, s4, v3
	s_mov_b32 s4, 0x7f800000
	v_and_b32_e32 v4, 0x7f800000, v3
	v_cmp_ne_u32_e32 vcc, s4, v4
                                        ; implicit-def: $vgpr4
	s_and_saveexec_b64 s[4:5], vcc
	s_xor_b64 s[4:5], exec, s[4:5]
; %bb.9:
	v_bfe_u32 v4, v3, 16, 1
	s_movk_i32 s7, 0x7fff
	v_add3_u32 v4, v3, v4, s7
                                        ; implicit-def: $vgpr3
; %bb.10:
	s_andn2_saveexec_b64 s[4:5], s[4:5]
; %bb.11:
	v_mov_b32_e32 v4, 0
	v_or_b32_e32 v5, 0x10000, v3
	v_cmp_eq_u32_sdwa vcc, v3, v4 src0_sel:WORD_0 src1_sel:DWORD
	v_cndmask_b32_e32 v4, v5, v3, vcc
; %bb.12:
	s_or_b64 exec, exec, s[4:5]
	v_lshrrev_b32_e32 v3, 16, v4
	v_add_u32_e32 v4, -1, v2
	v_and_b32_e32 v5, 0x7c, v2
	v_cmp_lt_i32_e32 vcc, v4, v5
	v_cndmask_b32_e32 v2, v4, v2, vcc
	v_lshlrev_b32_e32 v2, 2, v2
	ds_bpermute_b32 v2, v2, v3
	v_mov_b32_e32 v3, s6
	v_add_co_u32_e32 v0, vcc, s2, v0
	s_waitcnt lgkmcnt(0)
	v_cndmask_b32_e64 v2, v2, v3, s[0:1]
	v_mov_b32_e32 v3, s3
	v_addc_co_u32_e32 v1, vcc, v3, v1, vcc
	global_store_short v[0:1], v2, off
	s_endpgm
	.section	.rodata,"a",@progbits
	.p2align	6, 0x0
	.amdhsa_kernel _Z26warp_exclusive_scan_kernelI12hip_bfloat16Lj32ELj4EENSt9enable_ifIXsr10test_utilsE35device_test_enabled_for_warp_size_vIXT1_EEEvE4typeEPT_S5_S4_
		.amdhsa_group_segment_fixed_size 0
		.amdhsa_private_segment_fixed_size 0
		.amdhsa_kernarg_size 280
		.amdhsa_user_sgpr_count 6
		.amdhsa_user_sgpr_private_segment_buffer 1
		.amdhsa_user_sgpr_dispatch_ptr 0
		.amdhsa_user_sgpr_queue_ptr 0
		.amdhsa_user_sgpr_kernarg_segment_ptr 1
		.amdhsa_user_sgpr_dispatch_id 0
		.amdhsa_user_sgpr_flat_scratch_init 0
		.amdhsa_user_sgpr_private_segment_size 0
		.amdhsa_uses_dynamic_stack 0
		.amdhsa_system_sgpr_private_segment_wavefront_offset 0
		.amdhsa_system_sgpr_workgroup_id_x 1
		.amdhsa_system_sgpr_workgroup_id_y 0
		.amdhsa_system_sgpr_workgroup_id_z 0
		.amdhsa_system_sgpr_workgroup_info 0
		.amdhsa_system_vgpr_workitem_id 0
		.amdhsa_next_free_vgpr 8
		.amdhsa_next_free_sgpr 9
		.amdhsa_reserve_vcc 1
		.amdhsa_reserve_flat_scratch 0
		.amdhsa_float_round_mode_32 0
		.amdhsa_float_round_mode_16_64 0
		.amdhsa_float_denorm_mode_32 3
		.amdhsa_float_denorm_mode_16_64 3
		.amdhsa_dx10_clamp 1
		.amdhsa_ieee_mode 1
		.amdhsa_fp16_overflow 0
		.amdhsa_exception_fp_ieee_invalid_op 0
		.amdhsa_exception_fp_denorm_src 0
		.amdhsa_exception_fp_ieee_div_zero 0
		.amdhsa_exception_fp_ieee_overflow 0
		.amdhsa_exception_fp_ieee_underflow 0
		.amdhsa_exception_fp_ieee_inexact 0
		.amdhsa_exception_int_div_zero 0
	.end_amdhsa_kernel
	.section	.text._Z26warp_exclusive_scan_kernelI12hip_bfloat16Lj32ELj4EENSt9enable_ifIXsr10test_utilsE35device_test_enabled_for_warp_size_vIXT1_EEEvE4typeEPT_S5_S4_,"axG",@progbits,_Z26warp_exclusive_scan_kernelI12hip_bfloat16Lj32ELj4EENSt9enable_ifIXsr10test_utilsE35device_test_enabled_for_warp_size_vIXT1_EEEvE4typeEPT_S5_S4_,comdat
.Lfunc_end137:
	.size	_Z26warp_exclusive_scan_kernelI12hip_bfloat16Lj32ELj4EENSt9enable_ifIXsr10test_utilsE35device_test_enabled_for_warp_size_vIXT1_EEEvE4typeEPT_S5_S4_, .Lfunc_end137-_Z26warp_exclusive_scan_kernelI12hip_bfloat16Lj32ELj4EENSt9enable_ifIXsr10test_utilsE35device_test_enabled_for_warp_size_vIXT1_EEEvE4typeEPT_S5_S4_
                                        ; -- End function
	.set _Z26warp_exclusive_scan_kernelI12hip_bfloat16Lj32ELj4EENSt9enable_ifIXsr10test_utilsE35device_test_enabled_for_warp_size_vIXT1_EEEvE4typeEPT_S5_S4_.num_vgpr, 8
	.set _Z26warp_exclusive_scan_kernelI12hip_bfloat16Lj32ELj4EENSt9enable_ifIXsr10test_utilsE35device_test_enabled_for_warp_size_vIXT1_EEEvE4typeEPT_S5_S4_.num_agpr, 0
	.set _Z26warp_exclusive_scan_kernelI12hip_bfloat16Lj32ELj4EENSt9enable_ifIXsr10test_utilsE35device_test_enabled_for_warp_size_vIXT1_EEEvE4typeEPT_S5_S4_.numbered_sgpr, 9
	.set _Z26warp_exclusive_scan_kernelI12hip_bfloat16Lj32ELj4EENSt9enable_ifIXsr10test_utilsE35device_test_enabled_for_warp_size_vIXT1_EEEvE4typeEPT_S5_S4_.num_named_barrier, 0
	.set _Z26warp_exclusive_scan_kernelI12hip_bfloat16Lj32ELj4EENSt9enable_ifIXsr10test_utilsE35device_test_enabled_for_warp_size_vIXT1_EEEvE4typeEPT_S5_S4_.private_seg_size, 0
	.set _Z26warp_exclusive_scan_kernelI12hip_bfloat16Lj32ELj4EENSt9enable_ifIXsr10test_utilsE35device_test_enabled_for_warp_size_vIXT1_EEEvE4typeEPT_S5_S4_.uses_vcc, 1
	.set _Z26warp_exclusive_scan_kernelI12hip_bfloat16Lj32ELj4EENSt9enable_ifIXsr10test_utilsE35device_test_enabled_for_warp_size_vIXT1_EEEvE4typeEPT_S5_S4_.uses_flat_scratch, 0
	.set _Z26warp_exclusive_scan_kernelI12hip_bfloat16Lj32ELj4EENSt9enable_ifIXsr10test_utilsE35device_test_enabled_for_warp_size_vIXT1_EEEvE4typeEPT_S5_S4_.has_dyn_sized_stack, 0
	.set _Z26warp_exclusive_scan_kernelI12hip_bfloat16Lj32ELj4EENSt9enable_ifIXsr10test_utilsE35device_test_enabled_for_warp_size_vIXT1_EEEvE4typeEPT_S5_S4_.has_recursion, 0
	.set _Z26warp_exclusive_scan_kernelI12hip_bfloat16Lj32ELj4EENSt9enable_ifIXsr10test_utilsE35device_test_enabled_for_warp_size_vIXT1_EEEvE4typeEPT_S5_S4_.has_indirect_call, 0
	.section	.AMDGPU.csdata,"",@progbits
; Kernel info:
; codeLenInByte = 512
; TotalNumSgprs: 13
; NumVgprs: 8
; ScratchSize: 0
; MemoryBound: 0
; FloatMode: 240
; IeeeMode: 1
; LDSByteSize: 0 bytes/workgroup (compile time only)
; SGPRBlocks: 1
; VGPRBlocks: 1
; NumSGPRsForWavesPerEU: 13
; NumVGPRsForWavesPerEU: 8
; Occupancy: 10
; WaveLimiterHint : 0
; COMPUTE_PGM_RSRC2:SCRATCH_EN: 0
; COMPUTE_PGM_RSRC2:USER_SGPR: 6
; COMPUTE_PGM_RSRC2:TRAP_HANDLER: 0
; COMPUTE_PGM_RSRC2:TGID_X_EN: 1
; COMPUTE_PGM_RSRC2:TGID_Y_EN: 0
; COMPUTE_PGM_RSRC2:TGID_Z_EN: 0
; COMPUTE_PGM_RSRC2:TIDIG_COMP_CNT: 0
	.section	.text._Z26warp_exclusive_scan_kernelI12hip_bfloat16Lj64ELj4EENSt9enable_ifIXsr10test_utilsE35device_test_enabled_for_warp_size_vIXT1_EEEvE4typeEPT_S5_S4_,"axG",@progbits,_Z26warp_exclusive_scan_kernelI12hip_bfloat16Lj64ELj4EENSt9enable_ifIXsr10test_utilsE35device_test_enabled_for_warp_size_vIXT1_EEEvE4typeEPT_S5_S4_,comdat
	.protected	_Z26warp_exclusive_scan_kernelI12hip_bfloat16Lj64ELj4EENSt9enable_ifIXsr10test_utilsE35device_test_enabled_for_warp_size_vIXT1_EEEvE4typeEPT_S5_S4_ ; -- Begin function _Z26warp_exclusive_scan_kernelI12hip_bfloat16Lj64ELj4EENSt9enable_ifIXsr10test_utilsE35device_test_enabled_for_warp_size_vIXT1_EEEvE4typeEPT_S5_S4_
	.globl	_Z26warp_exclusive_scan_kernelI12hip_bfloat16Lj64ELj4EENSt9enable_ifIXsr10test_utilsE35device_test_enabled_for_warp_size_vIXT1_EEEvE4typeEPT_S5_S4_
	.p2align	8
	.type	_Z26warp_exclusive_scan_kernelI12hip_bfloat16Lj64ELj4EENSt9enable_ifIXsr10test_utilsE35device_test_enabled_for_warp_size_vIXT1_EEEvE4typeEPT_S5_S4_,@function
_Z26warp_exclusive_scan_kernelI12hip_bfloat16Lj64ELj4EENSt9enable_ifIXsr10test_utilsE35device_test_enabled_for_warp_size_vIXT1_EEEvE4typeEPT_S5_S4_: ; @_Z26warp_exclusive_scan_kernelI12hip_bfloat16Lj64ELj4EENSt9enable_ifIXsr10test_utilsE35device_test_enabled_for_warp_size_vIXT1_EEEvE4typeEPT_S5_S4_
; %bb.0:
	s_load_dword s7, s[4:5], 0x24
	s_load_dwordx4 s[0:3], s[4:5], 0x0
	v_mov_b32_e32 v1, 0
                                        ; implicit-def: $vgpr6
	s_waitcnt lgkmcnt(0)
	s_and_b32 s7, s7, 0xffff
	s_mul_i32 s6, s6, s7
	v_add_u32_e32 v0, s6, v0
	v_lshlrev_b64 v[0:1], 1, v[0:1]
	v_mov_b32_e32 v3, s1
	v_add_co_u32_e32 v2, vcc, s0, v0
	v_addc_co_u32_e32 v3, vcc, v3, v1, vcc
	global_load_ushort v3, v[2:3], off
	s_mov_b32 s0, 0x7f800000
	s_waitcnt vmcnt(0)
	v_lshlrev_b32_e32 v5, 16, v3
	v_mov_b32_dpp v2, v3 row_shr:1 row_mask:0xf bank_mask:0xf
	v_lshlrev_b32_e32 v2, 16, v2
	v_add_f32_e32 v2, v5, v2
	v_and_b32_e32 v4, 0x7f800000, v2
	v_cmp_ne_u32_e32 vcc, s0, v4
	s_and_saveexec_b64 s[0:1], vcc
	s_xor_b64 s[0:1], exec, s[0:1]
; %bb.1:
	v_bfe_u32 v4, v2, 16, 1
	s_movk_i32 s6, 0x7fff
	v_add3_u32 v6, v2, v4, s6
                                        ; implicit-def: $vgpr2
; %bb.2:
	s_andn2_saveexec_b64 s[0:1], s[0:1]
; %bb.3:
	v_mov_b32_e32 v4, 0
	v_or_b32_e32 v6, 0x10000, v2
	v_cmp_eq_u32_sdwa vcc, v2, v4 src0_sel:WORD_0 src1_sel:DWORD
	v_cndmask_b32_e32 v6, v6, v2, vcc
; %bb.4:
	s_or_b64 exec, exec, s[0:1]
	v_mbcnt_lo_u32_b32 v2, -1, 0
	v_mbcnt_hi_u32_b32 v2, -1, v2
	v_and_b32_e32 v4, 3, v2
	v_and_b32_e32 v7, 0xffff0000, v6
	v_lshrrev_b32_e32 v6, 16, v6
	v_cmp_eq_u32_e64 s[0:1], 0, v4
	v_cndmask_b32_e64 v3, v6, v3, s[0:1]
	v_cndmask_b32_e64 v5, v7, v5, s[0:1]
	s_mov_b32 s6, 0x7f800000
	v_mov_b32_dpp v6, v3 row_shr:2 row_mask:0xf bank_mask:0xf
	v_lshlrev_b32_e32 v6, 16, v6
	v_add_f32_e32 v5, v5, v6
	v_and_b32_e32 v6, 0x7f800000, v5
	v_cmp_ne_u32_e32 vcc, s6, v6
                                        ; implicit-def: $vgpr6
	s_and_saveexec_b64 s[6:7], vcc
	s_xor_b64 s[6:7], exec, s[6:7]
; %bb.5:
	v_bfe_u32 v6, v5, 16, 1
	s_movk_i32 s8, 0x7fff
	v_add3_u32 v6, v5, v6, s8
                                        ; implicit-def: $vgpr5
; %bb.6:
	s_andn2_saveexec_b64 s[6:7], s[6:7]
; %bb.7:
	v_mov_b32_e32 v6, 0
	v_or_b32_e32 v7, 0x10000, v5
	v_cmp_eq_u32_sdwa vcc, v5, v6 src0_sel:WORD_0 src1_sel:DWORD
	v_cndmask_b32_e32 v6, v7, v5, vcc
; %bb.8:
	s_or_b64 exec, exec, s[6:7]
	s_load_dword s6, s[4:5], 0x10
	v_cmp_lt_u32_e32 vcc, 1, v4
	v_cndmask_b32_sdwa v3, v3, v6, vcc dst_sel:WORD_1 dst_unused:UNUSED_PAD src0_sel:DWORD src1_sel:WORD_1
	s_waitcnt lgkmcnt(0)
	s_lshl_b32 s4, s6, 16
	v_add_f32_e32 v3, s4, v3
	s_mov_b32 s4, 0x7f800000
	v_and_b32_e32 v4, 0x7f800000, v3
	v_cmp_ne_u32_e32 vcc, s4, v4
                                        ; implicit-def: $vgpr4
	s_and_saveexec_b64 s[4:5], vcc
	s_xor_b64 s[4:5], exec, s[4:5]
; %bb.9:
	v_bfe_u32 v4, v3, 16, 1
	s_movk_i32 s7, 0x7fff
	v_add3_u32 v4, v3, v4, s7
                                        ; implicit-def: $vgpr3
; %bb.10:
	s_andn2_saveexec_b64 s[4:5], s[4:5]
; %bb.11:
	v_mov_b32_e32 v4, 0
	v_or_b32_e32 v5, 0x10000, v3
	v_cmp_eq_u32_sdwa vcc, v3, v4 src0_sel:WORD_0 src1_sel:DWORD
	v_cndmask_b32_e32 v4, v5, v3, vcc
; %bb.12:
	s_or_b64 exec, exec, s[4:5]
	v_lshrrev_b32_e32 v3, 16, v4
	v_add_u32_e32 v4, -1, v2
	v_and_b32_e32 v5, 0x7c, v2
	v_cmp_lt_i32_e32 vcc, v4, v5
	v_cndmask_b32_e32 v2, v4, v2, vcc
	v_lshlrev_b32_e32 v2, 2, v2
	ds_bpermute_b32 v2, v2, v3
	v_mov_b32_e32 v3, s6
	v_add_co_u32_e32 v0, vcc, s2, v0
	s_waitcnt lgkmcnt(0)
	v_cndmask_b32_e64 v2, v2, v3, s[0:1]
	v_mov_b32_e32 v3, s3
	v_addc_co_u32_e32 v1, vcc, v3, v1, vcc
	global_store_short v[0:1], v2, off
	s_endpgm
	.section	.rodata,"a",@progbits
	.p2align	6, 0x0
	.amdhsa_kernel _Z26warp_exclusive_scan_kernelI12hip_bfloat16Lj64ELj4EENSt9enable_ifIXsr10test_utilsE35device_test_enabled_for_warp_size_vIXT1_EEEvE4typeEPT_S5_S4_
		.amdhsa_group_segment_fixed_size 0
		.amdhsa_private_segment_fixed_size 0
		.amdhsa_kernarg_size 280
		.amdhsa_user_sgpr_count 6
		.amdhsa_user_sgpr_private_segment_buffer 1
		.amdhsa_user_sgpr_dispatch_ptr 0
		.amdhsa_user_sgpr_queue_ptr 0
		.amdhsa_user_sgpr_kernarg_segment_ptr 1
		.amdhsa_user_sgpr_dispatch_id 0
		.amdhsa_user_sgpr_flat_scratch_init 0
		.amdhsa_user_sgpr_private_segment_size 0
		.amdhsa_uses_dynamic_stack 0
		.amdhsa_system_sgpr_private_segment_wavefront_offset 0
		.amdhsa_system_sgpr_workgroup_id_x 1
		.amdhsa_system_sgpr_workgroup_id_y 0
		.amdhsa_system_sgpr_workgroup_id_z 0
		.amdhsa_system_sgpr_workgroup_info 0
		.amdhsa_system_vgpr_workitem_id 0
		.amdhsa_next_free_vgpr 8
		.amdhsa_next_free_sgpr 9
		.amdhsa_reserve_vcc 1
		.amdhsa_reserve_flat_scratch 0
		.amdhsa_float_round_mode_32 0
		.amdhsa_float_round_mode_16_64 0
		.amdhsa_float_denorm_mode_32 3
		.amdhsa_float_denorm_mode_16_64 3
		.amdhsa_dx10_clamp 1
		.amdhsa_ieee_mode 1
		.amdhsa_fp16_overflow 0
		.amdhsa_exception_fp_ieee_invalid_op 0
		.amdhsa_exception_fp_denorm_src 0
		.amdhsa_exception_fp_ieee_div_zero 0
		.amdhsa_exception_fp_ieee_overflow 0
		.amdhsa_exception_fp_ieee_underflow 0
		.amdhsa_exception_fp_ieee_inexact 0
		.amdhsa_exception_int_div_zero 0
	.end_amdhsa_kernel
	.section	.text._Z26warp_exclusive_scan_kernelI12hip_bfloat16Lj64ELj4EENSt9enable_ifIXsr10test_utilsE35device_test_enabled_for_warp_size_vIXT1_EEEvE4typeEPT_S5_S4_,"axG",@progbits,_Z26warp_exclusive_scan_kernelI12hip_bfloat16Lj64ELj4EENSt9enable_ifIXsr10test_utilsE35device_test_enabled_for_warp_size_vIXT1_EEEvE4typeEPT_S5_S4_,comdat
.Lfunc_end138:
	.size	_Z26warp_exclusive_scan_kernelI12hip_bfloat16Lj64ELj4EENSt9enable_ifIXsr10test_utilsE35device_test_enabled_for_warp_size_vIXT1_EEEvE4typeEPT_S5_S4_, .Lfunc_end138-_Z26warp_exclusive_scan_kernelI12hip_bfloat16Lj64ELj4EENSt9enable_ifIXsr10test_utilsE35device_test_enabled_for_warp_size_vIXT1_EEEvE4typeEPT_S5_S4_
                                        ; -- End function
	.set _Z26warp_exclusive_scan_kernelI12hip_bfloat16Lj64ELj4EENSt9enable_ifIXsr10test_utilsE35device_test_enabled_for_warp_size_vIXT1_EEEvE4typeEPT_S5_S4_.num_vgpr, 8
	.set _Z26warp_exclusive_scan_kernelI12hip_bfloat16Lj64ELj4EENSt9enable_ifIXsr10test_utilsE35device_test_enabled_for_warp_size_vIXT1_EEEvE4typeEPT_S5_S4_.num_agpr, 0
	.set _Z26warp_exclusive_scan_kernelI12hip_bfloat16Lj64ELj4EENSt9enable_ifIXsr10test_utilsE35device_test_enabled_for_warp_size_vIXT1_EEEvE4typeEPT_S5_S4_.numbered_sgpr, 9
	.set _Z26warp_exclusive_scan_kernelI12hip_bfloat16Lj64ELj4EENSt9enable_ifIXsr10test_utilsE35device_test_enabled_for_warp_size_vIXT1_EEEvE4typeEPT_S5_S4_.num_named_barrier, 0
	.set _Z26warp_exclusive_scan_kernelI12hip_bfloat16Lj64ELj4EENSt9enable_ifIXsr10test_utilsE35device_test_enabled_for_warp_size_vIXT1_EEEvE4typeEPT_S5_S4_.private_seg_size, 0
	.set _Z26warp_exclusive_scan_kernelI12hip_bfloat16Lj64ELj4EENSt9enable_ifIXsr10test_utilsE35device_test_enabled_for_warp_size_vIXT1_EEEvE4typeEPT_S5_S4_.uses_vcc, 1
	.set _Z26warp_exclusive_scan_kernelI12hip_bfloat16Lj64ELj4EENSt9enable_ifIXsr10test_utilsE35device_test_enabled_for_warp_size_vIXT1_EEEvE4typeEPT_S5_S4_.uses_flat_scratch, 0
	.set _Z26warp_exclusive_scan_kernelI12hip_bfloat16Lj64ELj4EENSt9enable_ifIXsr10test_utilsE35device_test_enabled_for_warp_size_vIXT1_EEEvE4typeEPT_S5_S4_.has_dyn_sized_stack, 0
	.set _Z26warp_exclusive_scan_kernelI12hip_bfloat16Lj64ELj4EENSt9enable_ifIXsr10test_utilsE35device_test_enabled_for_warp_size_vIXT1_EEEvE4typeEPT_S5_S4_.has_recursion, 0
	.set _Z26warp_exclusive_scan_kernelI12hip_bfloat16Lj64ELj4EENSt9enable_ifIXsr10test_utilsE35device_test_enabled_for_warp_size_vIXT1_EEEvE4typeEPT_S5_S4_.has_indirect_call, 0
	.section	.AMDGPU.csdata,"",@progbits
; Kernel info:
; codeLenInByte = 512
; TotalNumSgprs: 13
; NumVgprs: 8
; ScratchSize: 0
; MemoryBound: 0
; FloatMode: 240
; IeeeMode: 1
; LDSByteSize: 0 bytes/workgroup (compile time only)
; SGPRBlocks: 1
; VGPRBlocks: 1
; NumSGPRsForWavesPerEU: 13
; NumVGPRsForWavesPerEU: 8
; Occupancy: 10
; WaveLimiterHint : 0
; COMPUTE_PGM_RSRC2:SCRATCH_EN: 0
; COMPUTE_PGM_RSRC2:USER_SGPR: 6
; COMPUTE_PGM_RSRC2:TRAP_HANDLER: 0
; COMPUTE_PGM_RSRC2:TGID_X_EN: 1
; COMPUTE_PGM_RSRC2:TGID_Y_EN: 0
; COMPUTE_PGM_RSRC2:TGID_Z_EN: 0
; COMPUTE_PGM_RSRC2:TIDIG_COMP_CNT: 0
	.section	.text._Z26warp_exclusive_scan_kernelI12hip_bfloat16Lj32ELj2EENSt9enable_ifIXsr10test_utilsE35device_test_enabled_for_warp_size_vIXT1_EEEvE4typeEPT_S5_S4_,"axG",@progbits,_Z26warp_exclusive_scan_kernelI12hip_bfloat16Lj32ELj2EENSt9enable_ifIXsr10test_utilsE35device_test_enabled_for_warp_size_vIXT1_EEEvE4typeEPT_S5_S4_,comdat
	.protected	_Z26warp_exclusive_scan_kernelI12hip_bfloat16Lj32ELj2EENSt9enable_ifIXsr10test_utilsE35device_test_enabled_for_warp_size_vIXT1_EEEvE4typeEPT_S5_S4_ ; -- Begin function _Z26warp_exclusive_scan_kernelI12hip_bfloat16Lj32ELj2EENSt9enable_ifIXsr10test_utilsE35device_test_enabled_for_warp_size_vIXT1_EEEvE4typeEPT_S5_S4_
	.globl	_Z26warp_exclusive_scan_kernelI12hip_bfloat16Lj32ELj2EENSt9enable_ifIXsr10test_utilsE35device_test_enabled_for_warp_size_vIXT1_EEEvE4typeEPT_S5_S4_
	.p2align	8
	.type	_Z26warp_exclusive_scan_kernelI12hip_bfloat16Lj32ELj2EENSt9enable_ifIXsr10test_utilsE35device_test_enabled_for_warp_size_vIXT1_EEEvE4typeEPT_S5_S4_,@function
_Z26warp_exclusive_scan_kernelI12hip_bfloat16Lj32ELj2EENSt9enable_ifIXsr10test_utilsE35device_test_enabled_for_warp_size_vIXT1_EEEvE4typeEPT_S5_S4_: ; @_Z26warp_exclusive_scan_kernelI12hip_bfloat16Lj32ELj2EENSt9enable_ifIXsr10test_utilsE35device_test_enabled_for_warp_size_vIXT1_EEEvE4typeEPT_S5_S4_
; %bb.0:
	s_load_dword s7, s[4:5], 0x24
	s_load_dwordx4 s[0:3], s[4:5], 0x0
	v_mov_b32_e32 v1, 0
	s_waitcnt lgkmcnt(0)
	s_and_b32 s7, s7, 0xffff
	s_mul_i32 s6, s6, s7
	v_add_u32_e32 v0, s6, v0
	v_lshlrev_b64 v[0:1], 1, v[0:1]
	v_mov_b32_e32 v3, s1
	v_add_co_u32_e32 v2, vcc, s0, v0
	v_addc_co_u32_e32 v3, vcc, v3, v1, vcc
	global_load_ushort v2, v[2:3], off
	s_mov_b32 s0, 0x7f800000
	s_waitcnt vmcnt(0)
	v_lshlrev_b32_e32 v3, 16, v2
	v_mov_b32_dpp v4, v2 row_shr:1 row_mask:0xf bank_mask:0xf
	v_lshlrev_b32_e32 v2, 16, v4
	v_add_f32_e32 v2, v3, v2
	v_and_b32_e32 v4, 0x7f800000, v2
	v_cmp_ne_u32_e32 vcc, s0, v4
                                        ; implicit-def: $vgpr4
	s_and_saveexec_b64 s[0:1], vcc
	s_xor_b64 s[0:1], exec, s[0:1]
; %bb.1:
	v_bfe_u32 v4, v2, 16, 1
	s_movk_i32 s6, 0x7fff
	v_add3_u32 v4, v2, v4, s6
                                        ; implicit-def: $vgpr2
; %bb.2:
	s_andn2_saveexec_b64 s[0:1], s[0:1]
; %bb.3:
	v_mov_b32_e32 v4, 0
	v_or_b32_e32 v5, 0x10000, v2
	v_cmp_eq_u32_sdwa vcc, v2, v4 src0_sel:WORD_0 src1_sel:DWORD
	v_cndmask_b32_e32 v4, v5, v2, vcc
; %bb.4:
	s_or_b64 exec, exec, s[0:1]
	s_load_dword s6, s[4:5], 0x10
	v_mbcnt_lo_u32_b32 v2, -1, 0
	v_mbcnt_hi_u32_b32 v2, -1, v2
	v_and_b32_e32 v5, 1, v2
	v_and_b32_e32 v4, 0xffff0000, v4
	v_cmp_eq_u32_e32 vcc, 0, v5
	v_cndmask_b32_e32 v3, v4, v3, vcc
	s_waitcnt lgkmcnt(0)
	s_lshl_b32 s0, s6, 16
	v_add_f32_e32 v3, s0, v3
	s_mov_b32 s0, 0x7f800000
	v_and_b32_e32 v4, 0x7f800000, v3
	v_cmp_ne_u32_e64 s[0:1], s0, v4
                                        ; implicit-def: $vgpr4
	s_and_saveexec_b64 s[4:5], s[0:1]
	s_xor_b64 s[0:1], exec, s[4:5]
; %bb.5:
	v_bfe_u32 v4, v3, 16, 1
	s_movk_i32 s4, 0x7fff
	v_add3_u32 v4, v3, v4, s4
                                        ; implicit-def: $vgpr3
; %bb.6:
	s_andn2_saveexec_b64 s[4:5], s[0:1]
; %bb.7:
	v_mov_b32_e32 v4, 0
	v_or_b32_e32 v5, 0x10000, v3
	v_cmp_eq_u32_sdwa s[0:1], v3, v4 src0_sel:WORD_0 src1_sel:DWORD
	v_cndmask_b32_e64 v4, v5, v3, s[0:1]
; %bb.8:
	s_or_b64 exec, exec, s[4:5]
	v_lshrrev_b32_e32 v3, 16, v4
	v_add_u32_e32 v4, -1, v2
	v_and_b32_e32 v5, 0x7e, v2
	v_cmp_lt_i32_e64 s[0:1], v4, v5
	v_cndmask_b32_e64 v2, v4, v2, s[0:1]
	v_lshlrev_b32_e32 v2, 2, v2
	ds_bpermute_b32 v2, v2, v3
	v_mov_b32_e32 v3, s6
	s_waitcnt lgkmcnt(0)
	v_cndmask_b32_e32 v2, v2, v3, vcc
	v_mov_b32_e32 v3, s3
	v_add_co_u32_e32 v0, vcc, s2, v0
	v_addc_co_u32_e32 v1, vcc, v3, v1, vcc
	global_store_short v[0:1], v2, off
	s_endpgm
	.section	.rodata,"a",@progbits
	.p2align	6, 0x0
	.amdhsa_kernel _Z26warp_exclusive_scan_kernelI12hip_bfloat16Lj32ELj2EENSt9enable_ifIXsr10test_utilsE35device_test_enabled_for_warp_size_vIXT1_EEEvE4typeEPT_S5_S4_
		.amdhsa_group_segment_fixed_size 0
		.amdhsa_private_segment_fixed_size 0
		.amdhsa_kernarg_size 280
		.amdhsa_user_sgpr_count 6
		.amdhsa_user_sgpr_private_segment_buffer 1
		.amdhsa_user_sgpr_dispatch_ptr 0
		.amdhsa_user_sgpr_queue_ptr 0
		.amdhsa_user_sgpr_kernarg_segment_ptr 1
		.amdhsa_user_sgpr_dispatch_id 0
		.amdhsa_user_sgpr_flat_scratch_init 0
		.amdhsa_user_sgpr_private_segment_size 0
		.amdhsa_uses_dynamic_stack 0
		.amdhsa_system_sgpr_private_segment_wavefront_offset 0
		.amdhsa_system_sgpr_workgroup_id_x 1
		.amdhsa_system_sgpr_workgroup_id_y 0
		.amdhsa_system_sgpr_workgroup_id_z 0
		.amdhsa_system_sgpr_workgroup_info 0
		.amdhsa_system_vgpr_workitem_id 0
		.amdhsa_next_free_vgpr 6
		.amdhsa_next_free_sgpr 8
		.amdhsa_reserve_vcc 1
		.amdhsa_reserve_flat_scratch 0
		.amdhsa_float_round_mode_32 0
		.amdhsa_float_round_mode_16_64 0
		.amdhsa_float_denorm_mode_32 3
		.amdhsa_float_denorm_mode_16_64 3
		.amdhsa_dx10_clamp 1
		.amdhsa_ieee_mode 1
		.amdhsa_fp16_overflow 0
		.amdhsa_exception_fp_ieee_invalid_op 0
		.amdhsa_exception_fp_denorm_src 0
		.amdhsa_exception_fp_ieee_div_zero 0
		.amdhsa_exception_fp_ieee_overflow 0
		.amdhsa_exception_fp_ieee_underflow 0
		.amdhsa_exception_fp_ieee_inexact 0
		.amdhsa_exception_int_div_zero 0
	.end_amdhsa_kernel
	.section	.text._Z26warp_exclusive_scan_kernelI12hip_bfloat16Lj32ELj2EENSt9enable_ifIXsr10test_utilsE35device_test_enabled_for_warp_size_vIXT1_EEEvE4typeEPT_S5_S4_,"axG",@progbits,_Z26warp_exclusive_scan_kernelI12hip_bfloat16Lj32ELj2EENSt9enable_ifIXsr10test_utilsE35device_test_enabled_for_warp_size_vIXT1_EEEvE4typeEPT_S5_S4_,comdat
.Lfunc_end139:
	.size	_Z26warp_exclusive_scan_kernelI12hip_bfloat16Lj32ELj2EENSt9enable_ifIXsr10test_utilsE35device_test_enabled_for_warp_size_vIXT1_EEEvE4typeEPT_S5_S4_, .Lfunc_end139-_Z26warp_exclusive_scan_kernelI12hip_bfloat16Lj32ELj2EENSt9enable_ifIXsr10test_utilsE35device_test_enabled_for_warp_size_vIXT1_EEEvE4typeEPT_S5_S4_
                                        ; -- End function
	.set _Z26warp_exclusive_scan_kernelI12hip_bfloat16Lj32ELj2EENSt9enable_ifIXsr10test_utilsE35device_test_enabled_for_warp_size_vIXT1_EEEvE4typeEPT_S5_S4_.num_vgpr, 6
	.set _Z26warp_exclusive_scan_kernelI12hip_bfloat16Lj32ELj2EENSt9enable_ifIXsr10test_utilsE35device_test_enabled_for_warp_size_vIXT1_EEEvE4typeEPT_S5_S4_.num_agpr, 0
	.set _Z26warp_exclusive_scan_kernelI12hip_bfloat16Lj32ELj2EENSt9enable_ifIXsr10test_utilsE35device_test_enabled_for_warp_size_vIXT1_EEEvE4typeEPT_S5_S4_.numbered_sgpr, 8
	.set _Z26warp_exclusive_scan_kernelI12hip_bfloat16Lj32ELj2EENSt9enable_ifIXsr10test_utilsE35device_test_enabled_for_warp_size_vIXT1_EEEvE4typeEPT_S5_S4_.num_named_barrier, 0
	.set _Z26warp_exclusive_scan_kernelI12hip_bfloat16Lj32ELj2EENSt9enable_ifIXsr10test_utilsE35device_test_enabled_for_warp_size_vIXT1_EEEvE4typeEPT_S5_S4_.private_seg_size, 0
	.set _Z26warp_exclusive_scan_kernelI12hip_bfloat16Lj32ELj2EENSt9enable_ifIXsr10test_utilsE35device_test_enabled_for_warp_size_vIXT1_EEEvE4typeEPT_S5_S4_.uses_vcc, 1
	.set _Z26warp_exclusive_scan_kernelI12hip_bfloat16Lj32ELj2EENSt9enable_ifIXsr10test_utilsE35device_test_enabled_for_warp_size_vIXT1_EEEvE4typeEPT_S5_S4_.uses_flat_scratch, 0
	.set _Z26warp_exclusive_scan_kernelI12hip_bfloat16Lj32ELj2EENSt9enable_ifIXsr10test_utilsE35device_test_enabled_for_warp_size_vIXT1_EEEvE4typeEPT_S5_S4_.has_dyn_sized_stack, 0
	.set _Z26warp_exclusive_scan_kernelI12hip_bfloat16Lj32ELj2EENSt9enable_ifIXsr10test_utilsE35device_test_enabled_for_warp_size_vIXT1_EEEvE4typeEPT_S5_S4_.has_recursion, 0
	.set _Z26warp_exclusive_scan_kernelI12hip_bfloat16Lj32ELj2EENSt9enable_ifIXsr10test_utilsE35device_test_enabled_for_warp_size_vIXT1_EEEvE4typeEPT_S5_S4_.has_indirect_call, 0
	.section	.AMDGPU.csdata,"",@progbits
; Kernel info:
; codeLenInByte = 396
; TotalNumSgprs: 12
; NumVgprs: 6
; ScratchSize: 0
; MemoryBound: 0
; FloatMode: 240
; IeeeMode: 1
; LDSByteSize: 0 bytes/workgroup (compile time only)
; SGPRBlocks: 1
; VGPRBlocks: 1
; NumSGPRsForWavesPerEU: 12
; NumVGPRsForWavesPerEU: 6
; Occupancy: 10
; WaveLimiterHint : 0
; COMPUTE_PGM_RSRC2:SCRATCH_EN: 0
; COMPUTE_PGM_RSRC2:USER_SGPR: 6
; COMPUTE_PGM_RSRC2:TRAP_HANDLER: 0
; COMPUTE_PGM_RSRC2:TGID_X_EN: 1
; COMPUTE_PGM_RSRC2:TGID_Y_EN: 0
; COMPUTE_PGM_RSRC2:TGID_Z_EN: 0
; COMPUTE_PGM_RSRC2:TIDIG_COMP_CNT: 0
	.section	.text._Z26warp_exclusive_scan_kernelI12hip_bfloat16Lj64ELj2EENSt9enable_ifIXsr10test_utilsE35device_test_enabled_for_warp_size_vIXT1_EEEvE4typeEPT_S5_S4_,"axG",@progbits,_Z26warp_exclusive_scan_kernelI12hip_bfloat16Lj64ELj2EENSt9enable_ifIXsr10test_utilsE35device_test_enabled_for_warp_size_vIXT1_EEEvE4typeEPT_S5_S4_,comdat
	.protected	_Z26warp_exclusive_scan_kernelI12hip_bfloat16Lj64ELj2EENSt9enable_ifIXsr10test_utilsE35device_test_enabled_for_warp_size_vIXT1_EEEvE4typeEPT_S5_S4_ ; -- Begin function _Z26warp_exclusive_scan_kernelI12hip_bfloat16Lj64ELj2EENSt9enable_ifIXsr10test_utilsE35device_test_enabled_for_warp_size_vIXT1_EEEvE4typeEPT_S5_S4_
	.globl	_Z26warp_exclusive_scan_kernelI12hip_bfloat16Lj64ELj2EENSt9enable_ifIXsr10test_utilsE35device_test_enabled_for_warp_size_vIXT1_EEEvE4typeEPT_S5_S4_
	.p2align	8
	.type	_Z26warp_exclusive_scan_kernelI12hip_bfloat16Lj64ELj2EENSt9enable_ifIXsr10test_utilsE35device_test_enabled_for_warp_size_vIXT1_EEEvE4typeEPT_S5_S4_,@function
_Z26warp_exclusive_scan_kernelI12hip_bfloat16Lj64ELj2EENSt9enable_ifIXsr10test_utilsE35device_test_enabled_for_warp_size_vIXT1_EEEvE4typeEPT_S5_S4_: ; @_Z26warp_exclusive_scan_kernelI12hip_bfloat16Lj64ELj2EENSt9enable_ifIXsr10test_utilsE35device_test_enabled_for_warp_size_vIXT1_EEEvE4typeEPT_S5_S4_
; %bb.0:
	s_load_dword s7, s[4:5], 0x24
	s_load_dwordx4 s[0:3], s[4:5], 0x0
	v_mov_b32_e32 v1, 0
	s_waitcnt lgkmcnt(0)
	s_and_b32 s7, s7, 0xffff
	s_mul_i32 s6, s6, s7
	v_add_u32_e32 v0, s6, v0
	v_lshlrev_b64 v[0:1], 1, v[0:1]
	v_mov_b32_e32 v3, s1
	v_add_co_u32_e32 v2, vcc, s0, v0
	v_addc_co_u32_e32 v3, vcc, v3, v1, vcc
	global_load_ushort v2, v[2:3], off
	s_mov_b32 s0, 0x7f800000
	s_waitcnt vmcnt(0)
	v_lshlrev_b32_e32 v3, 16, v2
	v_mov_b32_dpp v4, v2 row_shr:1 row_mask:0xf bank_mask:0xf
	v_lshlrev_b32_e32 v2, 16, v4
	v_add_f32_e32 v2, v3, v2
	v_and_b32_e32 v4, 0x7f800000, v2
	v_cmp_ne_u32_e32 vcc, s0, v4
                                        ; implicit-def: $vgpr4
	s_and_saveexec_b64 s[0:1], vcc
	s_xor_b64 s[0:1], exec, s[0:1]
; %bb.1:
	v_bfe_u32 v4, v2, 16, 1
	s_movk_i32 s6, 0x7fff
	v_add3_u32 v4, v2, v4, s6
                                        ; implicit-def: $vgpr2
; %bb.2:
	s_andn2_saveexec_b64 s[0:1], s[0:1]
; %bb.3:
	v_mov_b32_e32 v4, 0
	v_or_b32_e32 v5, 0x10000, v2
	v_cmp_eq_u32_sdwa vcc, v2, v4 src0_sel:WORD_0 src1_sel:DWORD
	v_cndmask_b32_e32 v4, v5, v2, vcc
; %bb.4:
	s_or_b64 exec, exec, s[0:1]
	s_load_dword s6, s[4:5], 0x10
	v_mbcnt_lo_u32_b32 v2, -1, 0
	v_mbcnt_hi_u32_b32 v2, -1, v2
	v_and_b32_e32 v5, 1, v2
	v_and_b32_e32 v4, 0xffff0000, v4
	v_cmp_eq_u32_e32 vcc, 0, v5
	v_cndmask_b32_e32 v3, v4, v3, vcc
	s_waitcnt lgkmcnt(0)
	s_lshl_b32 s0, s6, 16
	v_add_f32_e32 v3, s0, v3
	s_mov_b32 s0, 0x7f800000
	v_and_b32_e32 v4, 0x7f800000, v3
	v_cmp_ne_u32_e64 s[0:1], s0, v4
                                        ; implicit-def: $vgpr4
	s_and_saveexec_b64 s[4:5], s[0:1]
	s_xor_b64 s[0:1], exec, s[4:5]
; %bb.5:
	v_bfe_u32 v4, v3, 16, 1
	s_movk_i32 s4, 0x7fff
	v_add3_u32 v4, v3, v4, s4
                                        ; implicit-def: $vgpr3
; %bb.6:
	s_andn2_saveexec_b64 s[4:5], s[0:1]
; %bb.7:
	v_mov_b32_e32 v4, 0
	v_or_b32_e32 v5, 0x10000, v3
	v_cmp_eq_u32_sdwa s[0:1], v3, v4 src0_sel:WORD_0 src1_sel:DWORD
	v_cndmask_b32_e64 v4, v5, v3, s[0:1]
; %bb.8:
	s_or_b64 exec, exec, s[4:5]
	v_lshrrev_b32_e32 v3, 16, v4
	v_add_u32_e32 v4, -1, v2
	v_and_b32_e32 v5, 0x7e, v2
	v_cmp_lt_i32_e64 s[0:1], v4, v5
	v_cndmask_b32_e64 v2, v4, v2, s[0:1]
	v_lshlrev_b32_e32 v2, 2, v2
	ds_bpermute_b32 v2, v2, v3
	v_mov_b32_e32 v3, s6
	s_waitcnt lgkmcnt(0)
	v_cndmask_b32_e32 v2, v2, v3, vcc
	v_mov_b32_e32 v3, s3
	v_add_co_u32_e32 v0, vcc, s2, v0
	v_addc_co_u32_e32 v1, vcc, v3, v1, vcc
	global_store_short v[0:1], v2, off
	s_endpgm
	.section	.rodata,"a",@progbits
	.p2align	6, 0x0
	.amdhsa_kernel _Z26warp_exclusive_scan_kernelI12hip_bfloat16Lj64ELj2EENSt9enable_ifIXsr10test_utilsE35device_test_enabled_for_warp_size_vIXT1_EEEvE4typeEPT_S5_S4_
		.amdhsa_group_segment_fixed_size 0
		.amdhsa_private_segment_fixed_size 0
		.amdhsa_kernarg_size 280
		.amdhsa_user_sgpr_count 6
		.amdhsa_user_sgpr_private_segment_buffer 1
		.amdhsa_user_sgpr_dispatch_ptr 0
		.amdhsa_user_sgpr_queue_ptr 0
		.amdhsa_user_sgpr_kernarg_segment_ptr 1
		.amdhsa_user_sgpr_dispatch_id 0
		.amdhsa_user_sgpr_flat_scratch_init 0
		.amdhsa_user_sgpr_private_segment_size 0
		.amdhsa_uses_dynamic_stack 0
		.amdhsa_system_sgpr_private_segment_wavefront_offset 0
		.amdhsa_system_sgpr_workgroup_id_x 1
		.amdhsa_system_sgpr_workgroup_id_y 0
		.amdhsa_system_sgpr_workgroup_id_z 0
		.amdhsa_system_sgpr_workgroup_info 0
		.amdhsa_system_vgpr_workitem_id 0
		.amdhsa_next_free_vgpr 6
		.amdhsa_next_free_sgpr 8
		.amdhsa_reserve_vcc 1
		.amdhsa_reserve_flat_scratch 0
		.amdhsa_float_round_mode_32 0
		.amdhsa_float_round_mode_16_64 0
		.amdhsa_float_denorm_mode_32 3
		.amdhsa_float_denorm_mode_16_64 3
		.amdhsa_dx10_clamp 1
		.amdhsa_ieee_mode 1
		.amdhsa_fp16_overflow 0
		.amdhsa_exception_fp_ieee_invalid_op 0
		.amdhsa_exception_fp_denorm_src 0
		.amdhsa_exception_fp_ieee_div_zero 0
		.amdhsa_exception_fp_ieee_overflow 0
		.amdhsa_exception_fp_ieee_underflow 0
		.amdhsa_exception_fp_ieee_inexact 0
		.amdhsa_exception_int_div_zero 0
	.end_amdhsa_kernel
	.section	.text._Z26warp_exclusive_scan_kernelI12hip_bfloat16Lj64ELj2EENSt9enable_ifIXsr10test_utilsE35device_test_enabled_for_warp_size_vIXT1_EEEvE4typeEPT_S5_S4_,"axG",@progbits,_Z26warp_exclusive_scan_kernelI12hip_bfloat16Lj64ELj2EENSt9enable_ifIXsr10test_utilsE35device_test_enabled_for_warp_size_vIXT1_EEEvE4typeEPT_S5_S4_,comdat
.Lfunc_end140:
	.size	_Z26warp_exclusive_scan_kernelI12hip_bfloat16Lj64ELj2EENSt9enable_ifIXsr10test_utilsE35device_test_enabled_for_warp_size_vIXT1_EEEvE4typeEPT_S5_S4_, .Lfunc_end140-_Z26warp_exclusive_scan_kernelI12hip_bfloat16Lj64ELj2EENSt9enable_ifIXsr10test_utilsE35device_test_enabled_for_warp_size_vIXT1_EEEvE4typeEPT_S5_S4_
                                        ; -- End function
	.set _Z26warp_exclusive_scan_kernelI12hip_bfloat16Lj64ELj2EENSt9enable_ifIXsr10test_utilsE35device_test_enabled_for_warp_size_vIXT1_EEEvE4typeEPT_S5_S4_.num_vgpr, 6
	.set _Z26warp_exclusive_scan_kernelI12hip_bfloat16Lj64ELj2EENSt9enable_ifIXsr10test_utilsE35device_test_enabled_for_warp_size_vIXT1_EEEvE4typeEPT_S5_S4_.num_agpr, 0
	.set _Z26warp_exclusive_scan_kernelI12hip_bfloat16Lj64ELj2EENSt9enable_ifIXsr10test_utilsE35device_test_enabled_for_warp_size_vIXT1_EEEvE4typeEPT_S5_S4_.numbered_sgpr, 8
	.set _Z26warp_exclusive_scan_kernelI12hip_bfloat16Lj64ELj2EENSt9enable_ifIXsr10test_utilsE35device_test_enabled_for_warp_size_vIXT1_EEEvE4typeEPT_S5_S4_.num_named_barrier, 0
	.set _Z26warp_exclusive_scan_kernelI12hip_bfloat16Lj64ELj2EENSt9enable_ifIXsr10test_utilsE35device_test_enabled_for_warp_size_vIXT1_EEEvE4typeEPT_S5_S4_.private_seg_size, 0
	.set _Z26warp_exclusive_scan_kernelI12hip_bfloat16Lj64ELj2EENSt9enable_ifIXsr10test_utilsE35device_test_enabled_for_warp_size_vIXT1_EEEvE4typeEPT_S5_S4_.uses_vcc, 1
	.set _Z26warp_exclusive_scan_kernelI12hip_bfloat16Lj64ELj2EENSt9enable_ifIXsr10test_utilsE35device_test_enabled_for_warp_size_vIXT1_EEEvE4typeEPT_S5_S4_.uses_flat_scratch, 0
	.set _Z26warp_exclusive_scan_kernelI12hip_bfloat16Lj64ELj2EENSt9enable_ifIXsr10test_utilsE35device_test_enabled_for_warp_size_vIXT1_EEEvE4typeEPT_S5_S4_.has_dyn_sized_stack, 0
	.set _Z26warp_exclusive_scan_kernelI12hip_bfloat16Lj64ELj2EENSt9enable_ifIXsr10test_utilsE35device_test_enabled_for_warp_size_vIXT1_EEEvE4typeEPT_S5_S4_.has_recursion, 0
	.set _Z26warp_exclusive_scan_kernelI12hip_bfloat16Lj64ELj2EENSt9enable_ifIXsr10test_utilsE35device_test_enabled_for_warp_size_vIXT1_EEEvE4typeEPT_S5_S4_.has_indirect_call, 0
	.section	.AMDGPU.csdata,"",@progbits
; Kernel info:
; codeLenInByte = 396
; TotalNumSgprs: 12
; NumVgprs: 6
; ScratchSize: 0
; MemoryBound: 0
; FloatMode: 240
; IeeeMode: 1
; LDSByteSize: 0 bytes/workgroup (compile time only)
; SGPRBlocks: 1
; VGPRBlocks: 1
; NumSGPRsForWavesPerEU: 12
; NumVGPRsForWavesPerEU: 6
; Occupancy: 10
; WaveLimiterHint : 0
; COMPUTE_PGM_RSRC2:SCRATCH_EN: 0
; COMPUTE_PGM_RSRC2:USER_SGPR: 6
; COMPUTE_PGM_RSRC2:TRAP_HANDLER: 0
; COMPUTE_PGM_RSRC2:TGID_X_EN: 1
; COMPUTE_PGM_RSRC2:TGID_Y_EN: 0
; COMPUTE_PGM_RSRC2:TGID_Z_EN: 0
; COMPUTE_PGM_RSRC2:TIDIG_COMP_CNT: 0
	.section	.text._Z26warp_exclusive_scan_kernelI6__halfLj256ELj64EENSt9enable_ifIXsr10test_utilsE35device_test_enabled_for_warp_size_vIXT1_EEEvE4typeEPT_S5_S4_,"axG",@progbits,_Z26warp_exclusive_scan_kernelI6__halfLj256ELj64EENSt9enable_ifIXsr10test_utilsE35device_test_enabled_for_warp_size_vIXT1_EEEvE4typeEPT_S5_S4_,comdat
	.protected	_Z26warp_exclusive_scan_kernelI6__halfLj256ELj64EENSt9enable_ifIXsr10test_utilsE35device_test_enabled_for_warp_size_vIXT1_EEEvE4typeEPT_S5_S4_ ; -- Begin function _Z26warp_exclusive_scan_kernelI6__halfLj256ELj64EENSt9enable_ifIXsr10test_utilsE35device_test_enabled_for_warp_size_vIXT1_EEEvE4typeEPT_S5_S4_
	.globl	_Z26warp_exclusive_scan_kernelI6__halfLj256ELj64EENSt9enable_ifIXsr10test_utilsE35device_test_enabled_for_warp_size_vIXT1_EEEvE4typeEPT_S5_S4_
	.p2align	8
	.type	_Z26warp_exclusive_scan_kernelI6__halfLj256ELj64EENSt9enable_ifIXsr10test_utilsE35device_test_enabled_for_warp_size_vIXT1_EEEvE4typeEPT_S5_S4_,@function
_Z26warp_exclusive_scan_kernelI6__halfLj256ELj64EENSt9enable_ifIXsr10test_utilsE35device_test_enabled_for_warp_size_vIXT1_EEEvE4typeEPT_S5_S4_: ; @_Z26warp_exclusive_scan_kernelI6__halfLj256ELj64EENSt9enable_ifIXsr10test_utilsE35device_test_enabled_for_warp_size_vIXT1_EEEvE4typeEPT_S5_S4_
; %bb.0:
	s_load_dword s7, s[4:5], 0x24
	s_load_dwordx4 s[0:3], s[4:5], 0x0
	s_load_dword s8, s[4:5], 0x10
	v_mov_b32_e32 v1, 0
	s_waitcnt lgkmcnt(0)
	s_and_b32 s4, s7, 0xffff
	s_mul_i32 s6, s6, s4
	v_add_u32_e32 v0, s6, v0
	v_lshlrev_b64 v[0:1], 1, v[0:1]
	v_mov_b32_e32 v3, s1
	v_add_co_u32_e32 v2, vcc, s0, v0
	v_addc_co_u32_e32 v3, vcc, v3, v1, vcc
	global_load_ushort v2, v[2:3], off
	v_mbcnt_lo_u32_b32 v3, -1, 0
	v_mbcnt_hi_u32_b32 v3, -1, v3
	v_and_b32_e32 v6, 64, v3
	v_subrev_co_u32_e32 v8, vcc, 1, v3
	v_cmp_lt_i32_e64 s[0:1], v8, v6
	v_cndmask_b32_e64 v6, v8, v3, s[0:1]
	v_and_b32_e32 v4, 15, v3
	v_cmp_eq_u32_e64 s[0:1], 0, v4
	v_and_b32_e32 v5, 16, v3
	v_lshlrev_b32_e32 v6, 2, v6
	v_mov_b32_e32 v7, s8
	s_waitcnt vmcnt(0)
	v_and_b32_e32 v8, 0xffff, v2
	s_nop 1
	v_mov_b32_dpp v8, v8 row_shr:1 row_mask:0xf bank_mask:0xf
	v_add_f16_e32 v8, v2, v8
	v_cndmask_b32_e64 v2, v8, v2, s[0:1]
	v_and_b32_e32 v8, 0xffff, v2
	v_cmp_lt_u32_e64 s[0:1], 1, v4
	s_nop 0
	v_mov_b32_dpp v8, v8 row_shr:2 row_mask:0xf bank_mask:0xf
	v_add_f16_e32 v8, v2, v8
	v_cndmask_b32_e64 v2, v2, v8, s[0:1]
	v_and_b32_e32 v8, 0xffff, v2
	v_cmp_lt_u32_e64 s[0:1], 3, v4
	;; [unrolled: 6-line block ×3, first 2 shown]
	s_nop 0
	v_mov_b32_dpp v8, v8 row_shr:8 row_mask:0xf bank_mask:0xf
	v_add_f16_e32 v8, v2, v8
	v_cndmask_b32_e64 v2, v2, v8, s[0:1]
	v_and_b32_e32 v4, 0xffff, v2
	v_cmp_eq_u32_e64 s[0:1], 0, v5
	s_nop 0
	v_mov_b32_dpp v4, v4 row_bcast:15 row_mask:0xf bank_mask:0xf
	v_add_f16_e32 v4, v2, v4
	v_cndmask_b32_e64 v2, v4, v2, s[0:1]
	v_and_b32_e32 v4, 0xffff, v2
	v_cmp_lt_u32_e64 s[0:1], 31, v3
	v_mov_b32_e32 v3, s3
	v_mov_b32_dpp v4, v4 row_bcast:31 row_mask:0xf bank_mask:0xf
	v_add_f16_e32 v4, v2, v4
	v_cndmask_b32_e64 v2, v2, v4, s[0:1]
	v_add_f16_e32 v2, s8, v2
	ds_bpermute_b32 v2, v6, v2
	s_waitcnt lgkmcnt(0)
	v_cndmask_b32_e32 v2, v2, v7, vcc
	v_add_co_u32_e32 v0, vcc, s2, v0
	v_addc_co_u32_e32 v1, vcc, v3, v1, vcc
	global_store_short v[0:1], v2, off
	s_endpgm
	.section	.rodata,"a",@progbits
	.p2align	6, 0x0
	.amdhsa_kernel _Z26warp_exclusive_scan_kernelI6__halfLj256ELj64EENSt9enable_ifIXsr10test_utilsE35device_test_enabled_for_warp_size_vIXT1_EEEvE4typeEPT_S5_S4_
		.amdhsa_group_segment_fixed_size 0
		.amdhsa_private_segment_fixed_size 0
		.amdhsa_kernarg_size 280
		.amdhsa_user_sgpr_count 6
		.amdhsa_user_sgpr_private_segment_buffer 1
		.amdhsa_user_sgpr_dispatch_ptr 0
		.amdhsa_user_sgpr_queue_ptr 0
		.amdhsa_user_sgpr_kernarg_segment_ptr 1
		.amdhsa_user_sgpr_dispatch_id 0
		.amdhsa_user_sgpr_flat_scratch_init 0
		.amdhsa_user_sgpr_private_segment_size 0
		.amdhsa_uses_dynamic_stack 0
		.amdhsa_system_sgpr_private_segment_wavefront_offset 0
		.amdhsa_system_sgpr_workgroup_id_x 1
		.amdhsa_system_sgpr_workgroup_id_y 0
		.amdhsa_system_sgpr_workgroup_id_z 0
		.amdhsa_system_sgpr_workgroup_info 0
		.amdhsa_system_vgpr_workitem_id 0
		.amdhsa_next_free_vgpr 9
		.amdhsa_next_free_sgpr 9
		.amdhsa_reserve_vcc 1
		.amdhsa_reserve_flat_scratch 0
		.amdhsa_float_round_mode_32 0
		.amdhsa_float_round_mode_16_64 0
		.amdhsa_float_denorm_mode_32 3
		.amdhsa_float_denorm_mode_16_64 3
		.amdhsa_dx10_clamp 1
		.amdhsa_ieee_mode 1
		.amdhsa_fp16_overflow 0
		.amdhsa_exception_fp_ieee_invalid_op 0
		.amdhsa_exception_fp_denorm_src 0
		.amdhsa_exception_fp_ieee_div_zero 0
		.amdhsa_exception_fp_ieee_overflow 0
		.amdhsa_exception_fp_ieee_underflow 0
		.amdhsa_exception_fp_ieee_inexact 0
		.amdhsa_exception_int_div_zero 0
	.end_amdhsa_kernel
	.section	.text._Z26warp_exclusive_scan_kernelI6__halfLj256ELj64EENSt9enable_ifIXsr10test_utilsE35device_test_enabled_for_warp_size_vIXT1_EEEvE4typeEPT_S5_S4_,"axG",@progbits,_Z26warp_exclusive_scan_kernelI6__halfLj256ELj64EENSt9enable_ifIXsr10test_utilsE35device_test_enabled_for_warp_size_vIXT1_EEEvE4typeEPT_S5_S4_,comdat
.Lfunc_end141:
	.size	_Z26warp_exclusive_scan_kernelI6__halfLj256ELj64EENSt9enable_ifIXsr10test_utilsE35device_test_enabled_for_warp_size_vIXT1_EEEvE4typeEPT_S5_S4_, .Lfunc_end141-_Z26warp_exclusive_scan_kernelI6__halfLj256ELj64EENSt9enable_ifIXsr10test_utilsE35device_test_enabled_for_warp_size_vIXT1_EEEvE4typeEPT_S5_S4_
                                        ; -- End function
	.set _Z26warp_exclusive_scan_kernelI6__halfLj256ELj64EENSt9enable_ifIXsr10test_utilsE35device_test_enabled_for_warp_size_vIXT1_EEEvE4typeEPT_S5_S4_.num_vgpr, 9
	.set _Z26warp_exclusive_scan_kernelI6__halfLj256ELj64EENSt9enable_ifIXsr10test_utilsE35device_test_enabled_for_warp_size_vIXT1_EEEvE4typeEPT_S5_S4_.num_agpr, 0
	.set _Z26warp_exclusive_scan_kernelI6__halfLj256ELj64EENSt9enable_ifIXsr10test_utilsE35device_test_enabled_for_warp_size_vIXT1_EEEvE4typeEPT_S5_S4_.numbered_sgpr, 9
	.set _Z26warp_exclusive_scan_kernelI6__halfLj256ELj64EENSt9enable_ifIXsr10test_utilsE35device_test_enabled_for_warp_size_vIXT1_EEEvE4typeEPT_S5_S4_.num_named_barrier, 0
	.set _Z26warp_exclusive_scan_kernelI6__halfLj256ELj64EENSt9enable_ifIXsr10test_utilsE35device_test_enabled_for_warp_size_vIXT1_EEEvE4typeEPT_S5_S4_.private_seg_size, 0
	.set _Z26warp_exclusive_scan_kernelI6__halfLj256ELj64EENSt9enable_ifIXsr10test_utilsE35device_test_enabled_for_warp_size_vIXT1_EEEvE4typeEPT_S5_S4_.uses_vcc, 1
	.set _Z26warp_exclusive_scan_kernelI6__halfLj256ELj64EENSt9enable_ifIXsr10test_utilsE35device_test_enabled_for_warp_size_vIXT1_EEEvE4typeEPT_S5_S4_.uses_flat_scratch, 0
	.set _Z26warp_exclusive_scan_kernelI6__halfLj256ELj64EENSt9enable_ifIXsr10test_utilsE35device_test_enabled_for_warp_size_vIXT1_EEEvE4typeEPT_S5_S4_.has_dyn_sized_stack, 0
	.set _Z26warp_exclusive_scan_kernelI6__halfLj256ELj64EENSt9enable_ifIXsr10test_utilsE35device_test_enabled_for_warp_size_vIXT1_EEEvE4typeEPT_S5_S4_.has_recursion, 0
	.set _Z26warp_exclusive_scan_kernelI6__halfLj256ELj64EENSt9enable_ifIXsr10test_utilsE35device_test_enabled_for_warp_size_vIXT1_EEEvE4typeEPT_S5_S4_.has_indirect_call, 0
	.section	.AMDGPU.csdata,"",@progbits
; Kernel info:
; codeLenInByte = 416
; TotalNumSgprs: 13
; NumVgprs: 9
; ScratchSize: 0
; MemoryBound: 0
; FloatMode: 240
; IeeeMode: 1
; LDSByteSize: 0 bytes/workgroup (compile time only)
; SGPRBlocks: 1
; VGPRBlocks: 2
; NumSGPRsForWavesPerEU: 13
; NumVGPRsForWavesPerEU: 9
; Occupancy: 10
; WaveLimiterHint : 0
; COMPUTE_PGM_RSRC2:SCRATCH_EN: 0
; COMPUTE_PGM_RSRC2:USER_SGPR: 6
; COMPUTE_PGM_RSRC2:TRAP_HANDLER: 0
; COMPUTE_PGM_RSRC2:TGID_X_EN: 1
; COMPUTE_PGM_RSRC2:TGID_Y_EN: 0
; COMPUTE_PGM_RSRC2:TGID_Z_EN: 0
; COMPUTE_PGM_RSRC2:TIDIG_COMP_CNT: 0
	.section	.text._Z26warp_exclusive_scan_kernelI6__halfLj128ELj32EENSt9enable_ifIXsr10test_utilsE35device_test_enabled_for_warp_size_vIXT1_EEEvE4typeEPT_S5_S4_,"axG",@progbits,_Z26warp_exclusive_scan_kernelI6__halfLj128ELj32EENSt9enable_ifIXsr10test_utilsE35device_test_enabled_for_warp_size_vIXT1_EEEvE4typeEPT_S5_S4_,comdat
	.protected	_Z26warp_exclusive_scan_kernelI6__halfLj128ELj32EENSt9enable_ifIXsr10test_utilsE35device_test_enabled_for_warp_size_vIXT1_EEEvE4typeEPT_S5_S4_ ; -- Begin function _Z26warp_exclusive_scan_kernelI6__halfLj128ELj32EENSt9enable_ifIXsr10test_utilsE35device_test_enabled_for_warp_size_vIXT1_EEEvE4typeEPT_S5_S4_
	.globl	_Z26warp_exclusive_scan_kernelI6__halfLj128ELj32EENSt9enable_ifIXsr10test_utilsE35device_test_enabled_for_warp_size_vIXT1_EEEvE4typeEPT_S5_S4_
	.p2align	8
	.type	_Z26warp_exclusive_scan_kernelI6__halfLj128ELj32EENSt9enable_ifIXsr10test_utilsE35device_test_enabled_for_warp_size_vIXT1_EEEvE4typeEPT_S5_S4_,@function
_Z26warp_exclusive_scan_kernelI6__halfLj128ELj32EENSt9enable_ifIXsr10test_utilsE35device_test_enabled_for_warp_size_vIXT1_EEEvE4typeEPT_S5_S4_: ; @_Z26warp_exclusive_scan_kernelI6__halfLj128ELj32EENSt9enable_ifIXsr10test_utilsE35device_test_enabled_for_warp_size_vIXT1_EEEvE4typeEPT_S5_S4_
; %bb.0:
	s_load_dword s7, s[4:5], 0x24
	s_load_dwordx4 s[0:3], s[4:5], 0x0
	s_load_dword s8, s[4:5], 0x10
	v_mov_b32_e32 v1, 0
	s_waitcnt lgkmcnt(0)
	s_and_b32 s4, s7, 0xffff
	s_mul_i32 s6, s6, s4
	v_add_u32_e32 v0, s6, v0
	v_lshlrev_b64 v[0:1], 1, v[0:1]
	v_mov_b32_e32 v3, s1
	v_add_co_u32_e32 v2, vcc, s0, v0
	v_addc_co_u32_e32 v3, vcc, v3, v1, vcc
	global_load_ushort v2, v[2:3], off
	v_mbcnt_lo_u32_b32 v3, -1, 0
	v_mbcnt_hi_u32_b32 v3, -1, v3
	v_add_u32_e32 v6, -1, v3
	v_and_b32_e32 v7, 0x60, v3
	v_cmp_lt_i32_e32 vcc, v6, v7
	v_and_b32_e32 v4, 15, v3
	v_cndmask_b32_e32 v6, v6, v3, vcc
	v_cmp_eq_u32_e32 vcc, 0, v4
	v_and_b32_e32 v5, 16, v3
	v_lshlrev_b32_e32 v6, 2, v6
	v_and_b32_e32 v3, 31, v3
	s_waitcnt vmcnt(0)
	v_and_b32_e32 v7, 0xffff, v2
	s_nop 1
	v_mov_b32_dpp v7, v7 row_shr:1 row_mask:0xf bank_mask:0xf
	v_add_f16_e32 v7, v2, v7
	v_cndmask_b32_e32 v2, v7, v2, vcc
	v_and_b32_e32 v7, 0xffff, v2
	v_cmp_lt_u32_e32 vcc, 1, v4
	s_nop 0
	v_mov_b32_dpp v7, v7 row_shr:2 row_mask:0xf bank_mask:0xf
	v_add_f16_e32 v7, v2, v7
	v_cndmask_b32_e32 v2, v2, v7, vcc
	v_and_b32_e32 v7, 0xffff, v2
	v_cmp_lt_u32_e32 vcc, 3, v4
	;; [unrolled: 6-line block ×3, first 2 shown]
	s_nop 0
	v_mov_b32_dpp v7, v7 row_shr:8 row_mask:0xf bank_mask:0xf
	v_add_f16_e32 v7, v2, v7
	v_cndmask_b32_e32 v2, v2, v7, vcc
	v_and_b32_e32 v4, 0xffff, v2
	v_cmp_eq_u32_e32 vcc, 0, v5
	v_mov_b32_e32 v5, s3
	v_mov_b32_dpp v4, v4 row_bcast:15 row_mask:0xf bank_mask:0xf
	v_add_f16_e32 v4, v2, v4
	v_cndmask_b32_e32 v2, v4, v2, vcc
	v_add_f16_e32 v2, s8, v2
	ds_bpermute_b32 v2, v6, v2
	v_mov_b32_e32 v4, s8
	v_cmp_eq_u32_e32 vcc, 0, v3
	s_waitcnt lgkmcnt(0)
	v_cndmask_b32_e32 v2, v2, v4, vcc
	v_add_co_u32_e32 v0, vcc, s2, v0
	v_addc_co_u32_e32 v1, vcc, v5, v1, vcc
	global_store_short v[0:1], v2, off
	s_endpgm
	.section	.rodata,"a",@progbits
	.p2align	6, 0x0
	.amdhsa_kernel _Z26warp_exclusive_scan_kernelI6__halfLj128ELj32EENSt9enable_ifIXsr10test_utilsE35device_test_enabled_for_warp_size_vIXT1_EEEvE4typeEPT_S5_S4_
		.amdhsa_group_segment_fixed_size 0
		.amdhsa_private_segment_fixed_size 0
		.amdhsa_kernarg_size 280
		.amdhsa_user_sgpr_count 6
		.amdhsa_user_sgpr_private_segment_buffer 1
		.amdhsa_user_sgpr_dispatch_ptr 0
		.amdhsa_user_sgpr_queue_ptr 0
		.amdhsa_user_sgpr_kernarg_segment_ptr 1
		.amdhsa_user_sgpr_dispatch_id 0
		.amdhsa_user_sgpr_flat_scratch_init 0
		.amdhsa_user_sgpr_private_segment_size 0
		.amdhsa_uses_dynamic_stack 0
		.amdhsa_system_sgpr_private_segment_wavefront_offset 0
		.amdhsa_system_sgpr_workgroup_id_x 1
		.amdhsa_system_sgpr_workgroup_id_y 0
		.amdhsa_system_sgpr_workgroup_id_z 0
		.amdhsa_system_sgpr_workgroup_info 0
		.amdhsa_system_vgpr_workitem_id 0
		.amdhsa_next_free_vgpr 8
		.amdhsa_next_free_sgpr 9
		.amdhsa_reserve_vcc 1
		.amdhsa_reserve_flat_scratch 0
		.amdhsa_float_round_mode_32 0
		.amdhsa_float_round_mode_16_64 0
		.amdhsa_float_denorm_mode_32 3
		.amdhsa_float_denorm_mode_16_64 3
		.amdhsa_dx10_clamp 1
		.amdhsa_ieee_mode 1
		.amdhsa_fp16_overflow 0
		.amdhsa_exception_fp_ieee_invalid_op 0
		.amdhsa_exception_fp_denorm_src 0
		.amdhsa_exception_fp_ieee_div_zero 0
		.amdhsa_exception_fp_ieee_overflow 0
		.amdhsa_exception_fp_ieee_underflow 0
		.amdhsa_exception_fp_ieee_inexact 0
		.amdhsa_exception_int_div_zero 0
	.end_amdhsa_kernel
	.section	.text._Z26warp_exclusive_scan_kernelI6__halfLj128ELj32EENSt9enable_ifIXsr10test_utilsE35device_test_enabled_for_warp_size_vIXT1_EEEvE4typeEPT_S5_S4_,"axG",@progbits,_Z26warp_exclusive_scan_kernelI6__halfLj128ELj32EENSt9enable_ifIXsr10test_utilsE35device_test_enabled_for_warp_size_vIXT1_EEEvE4typeEPT_S5_S4_,comdat
.Lfunc_end142:
	.size	_Z26warp_exclusive_scan_kernelI6__halfLj128ELj32EENSt9enable_ifIXsr10test_utilsE35device_test_enabled_for_warp_size_vIXT1_EEEvE4typeEPT_S5_S4_, .Lfunc_end142-_Z26warp_exclusive_scan_kernelI6__halfLj128ELj32EENSt9enable_ifIXsr10test_utilsE35device_test_enabled_for_warp_size_vIXT1_EEEvE4typeEPT_S5_S4_
                                        ; -- End function
	.set _Z26warp_exclusive_scan_kernelI6__halfLj128ELj32EENSt9enable_ifIXsr10test_utilsE35device_test_enabled_for_warp_size_vIXT1_EEEvE4typeEPT_S5_S4_.num_vgpr, 8
	.set _Z26warp_exclusive_scan_kernelI6__halfLj128ELj32EENSt9enable_ifIXsr10test_utilsE35device_test_enabled_for_warp_size_vIXT1_EEEvE4typeEPT_S5_S4_.num_agpr, 0
	.set _Z26warp_exclusive_scan_kernelI6__halfLj128ELj32EENSt9enable_ifIXsr10test_utilsE35device_test_enabled_for_warp_size_vIXT1_EEEvE4typeEPT_S5_S4_.numbered_sgpr, 9
	.set _Z26warp_exclusive_scan_kernelI6__halfLj128ELj32EENSt9enable_ifIXsr10test_utilsE35device_test_enabled_for_warp_size_vIXT1_EEEvE4typeEPT_S5_S4_.num_named_barrier, 0
	.set _Z26warp_exclusive_scan_kernelI6__halfLj128ELj32EENSt9enable_ifIXsr10test_utilsE35device_test_enabled_for_warp_size_vIXT1_EEEvE4typeEPT_S5_S4_.private_seg_size, 0
	.set _Z26warp_exclusive_scan_kernelI6__halfLj128ELj32EENSt9enable_ifIXsr10test_utilsE35device_test_enabled_for_warp_size_vIXT1_EEEvE4typeEPT_S5_S4_.uses_vcc, 1
	.set _Z26warp_exclusive_scan_kernelI6__halfLj128ELj32EENSt9enable_ifIXsr10test_utilsE35device_test_enabled_for_warp_size_vIXT1_EEEvE4typeEPT_S5_S4_.uses_flat_scratch, 0
	.set _Z26warp_exclusive_scan_kernelI6__halfLj128ELj32EENSt9enable_ifIXsr10test_utilsE35device_test_enabled_for_warp_size_vIXT1_EEEvE4typeEPT_S5_S4_.has_dyn_sized_stack, 0
	.set _Z26warp_exclusive_scan_kernelI6__halfLj128ELj32EENSt9enable_ifIXsr10test_utilsE35device_test_enabled_for_warp_size_vIXT1_EEEvE4typeEPT_S5_S4_.has_recursion, 0
	.set _Z26warp_exclusive_scan_kernelI6__halfLj128ELj32EENSt9enable_ifIXsr10test_utilsE35device_test_enabled_for_warp_size_vIXT1_EEEvE4typeEPT_S5_S4_.has_indirect_call, 0
	.section	.AMDGPU.csdata,"",@progbits
; Kernel info:
; codeLenInByte = 340
; TotalNumSgprs: 13
; NumVgprs: 8
; ScratchSize: 0
; MemoryBound: 0
; FloatMode: 240
; IeeeMode: 1
; LDSByteSize: 0 bytes/workgroup (compile time only)
; SGPRBlocks: 1
; VGPRBlocks: 1
; NumSGPRsForWavesPerEU: 13
; NumVGPRsForWavesPerEU: 8
; Occupancy: 10
; WaveLimiterHint : 0
; COMPUTE_PGM_RSRC2:SCRATCH_EN: 0
; COMPUTE_PGM_RSRC2:USER_SGPR: 6
; COMPUTE_PGM_RSRC2:TRAP_HANDLER: 0
; COMPUTE_PGM_RSRC2:TGID_X_EN: 1
; COMPUTE_PGM_RSRC2:TGID_Y_EN: 0
; COMPUTE_PGM_RSRC2:TGID_Z_EN: 0
; COMPUTE_PGM_RSRC2:TIDIG_COMP_CNT: 0
	.section	.text._Z26warp_exclusive_scan_kernelI6__halfLj64ELj16EENSt9enable_ifIXsr10test_utilsE35device_test_enabled_for_warp_size_vIXT1_EEEvE4typeEPT_S5_S4_,"axG",@progbits,_Z26warp_exclusive_scan_kernelI6__halfLj64ELj16EENSt9enable_ifIXsr10test_utilsE35device_test_enabled_for_warp_size_vIXT1_EEEvE4typeEPT_S5_S4_,comdat
	.protected	_Z26warp_exclusive_scan_kernelI6__halfLj64ELj16EENSt9enable_ifIXsr10test_utilsE35device_test_enabled_for_warp_size_vIXT1_EEEvE4typeEPT_S5_S4_ ; -- Begin function _Z26warp_exclusive_scan_kernelI6__halfLj64ELj16EENSt9enable_ifIXsr10test_utilsE35device_test_enabled_for_warp_size_vIXT1_EEEvE4typeEPT_S5_S4_
	.globl	_Z26warp_exclusive_scan_kernelI6__halfLj64ELj16EENSt9enable_ifIXsr10test_utilsE35device_test_enabled_for_warp_size_vIXT1_EEEvE4typeEPT_S5_S4_
	.p2align	8
	.type	_Z26warp_exclusive_scan_kernelI6__halfLj64ELj16EENSt9enable_ifIXsr10test_utilsE35device_test_enabled_for_warp_size_vIXT1_EEEvE4typeEPT_S5_S4_,@function
_Z26warp_exclusive_scan_kernelI6__halfLj64ELj16EENSt9enable_ifIXsr10test_utilsE35device_test_enabled_for_warp_size_vIXT1_EEEvE4typeEPT_S5_S4_: ; @_Z26warp_exclusive_scan_kernelI6__halfLj64ELj16EENSt9enable_ifIXsr10test_utilsE35device_test_enabled_for_warp_size_vIXT1_EEEvE4typeEPT_S5_S4_
; %bb.0:
	s_load_dword s7, s[4:5], 0x24
	s_load_dwordx4 s[0:3], s[4:5], 0x0
	s_load_dword s8, s[4:5], 0x10
	v_mov_b32_e32 v1, 0
	s_waitcnt lgkmcnt(0)
	s_and_b32 s4, s7, 0xffff
	s_mul_i32 s6, s6, s4
	v_add_u32_e32 v0, s6, v0
	v_lshlrev_b64 v[0:1], 1, v[0:1]
	v_mov_b32_e32 v3, s1
	v_add_co_u32_e32 v2, vcc, s0, v0
	v_addc_co_u32_e32 v3, vcc, v3, v1, vcc
	global_load_ushort v2, v[2:3], off
	v_mbcnt_lo_u32_b32 v3, -1, 0
	v_mbcnt_hi_u32_b32 v3, -1, v3
	v_add_u32_e32 v5, -1, v3
	v_and_b32_e32 v6, 0x70, v3
	v_cmp_lt_i32_e32 vcc, v5, v6
	v_and_b32_e32 v4, 15, v3
	v_cndmask_b32_e32 v3, v5, v3, vcc
	v_cmp_eq_u32_e32 vcc, 0, v4
	v_cmp_lt_u32_e64 s[0:1], 1, v4
	v_lshlrev_b32_e32 v3, 2, v3
	s_waitcnt vmcnt(0)
	v_and_b32_e32 v5, 0xffff, v2
	s_nop 1
	v_mov_b32_dpp v5, v5 row_shr:1 row_mask:0xf bank_mask:0xf
	v_add_f16_e32 v5, v2, v5
	v_cndmask_b32_e32 v2, v5, v2, vcc
	v_and_b32_e32 v5, 0xffff, v2
	s_nop 1
	v_mov_b32_dpp v5, v5 row_shr:2 row_mask:0xf bank_mask:0xf
	v_add_f16_e32 v5, v2, v5
	v_cndmask_b32_e64 v2, v2, v5, s[0:1]
	v_and_b32_e32 v5, 0xffff, v2
	v_cmp_lt_u32_e64 s[0:1], 3, v4
	s_nop 0
	v_mov_b32_dpp v5, v5 row_shr:4 row_mask:0xf bank_mask:0xf
	v_add_f16_e32 v5, v2, v5
	v_cndmask_b32_e64 v2, v2, v5, s[0:1]
	v_and_b32_e32 v5, 0xffff, v2
	v_cmp_lt_u32_e64 s[0:1], 7, v4
	v_mov_b32_e32 v4, s3
	v_mov_b32_dpp v5, v5 row_shr:8 row_mask:0xf bank_mask:0xf
	v_add_f16_e32 v5, v2, v5
	v_cndmask_b32_e64 v2, v2, v5, s[0:1]
	v_add_f16_e32 v2, s8, v2
	ds_bpermute_b32 v2, v3, v2
	v_mov_b32_e32 v3, s8
	s_waitcnt lgkmcnt(0)
	v_cndmask_b32_e32 v2, v2, v3, vcc
	v_add_co_u32_e32 v0, vcc, s2, v0
	v_addc_co_u32_e32 v1, vcc, v4, v1, vcc
	global_store_short v[0:1], v2, off
	s_endpgm
	.section	.rodata,"a",@progbits
	.p2align	6, 0x0
	.amdhsa_kernel _Z26warp_exclusive_scan_kernelI6__halfLj64ELj16EENSt9enable_ifIXsr10test_utilsE35device_test_enabled_for_warp_size_vIXT1_EEEvE4typeEPT_S5_S4_
		.amdhsa_group_segment_fixed_size 0
		.amdhsa_private_segment_fixed_size 0
		.amdhsa_kernarg_size 280
		.amdhsa_user_sgpr_count 6
		.amdhsa_user_sgpr_private_segment_buffer 1
		.amdhsa_user_sgpr_dispatch_ptr 0
		.amdhsa_user_sgpr_queue_ptr 0
		.amdhsa_user_sgpr_kernarg_segment_ptr 1
		.amdhsa_user_sgpr_dispatch_id 0
		.amdhsa_user_sgpr_flat_scratch_init 0
		.amdhsa_user_sgpr_private_segment_size 0
		.amdhsa_uses_dynamic_stack 0
		.amdhsa_system_sgpr_private_segment_wavefront_offset 0
		.amdhsa_system_sgpr_workgroup_id_x 1
		.amdhsa_system_sgpr_workgroup_id_y 0
		.amdhsa_system_sgpr_workgroup_id_z 0
		.amdhsa_system_sgpr_workgroup_info 0
		.amdhsa_system_vgpr_workitem_id 0
		.amdhsa_next_free_vgpr 7
		.amdhsa_next_free_sgpr 9
		.amdhsa_reserve_vcc 1
		.amdhsa_reserve_flat_scratch 0
		.amdhsa_float_round_mode_32 0
		.amdhsa_float_round_mode_16_64 0
		.amdhsa_float_denorm_mode_32 3
		.amdhsa_float_denorm_mode_16_64 3
		.amdhsa_dx10_clamp 1
		.amdhsa_ieee_mode 1
		.amdhsa_fp16_overflow 0
		.amdhsa_exception_fp_ieee_invalid_op 0
		.amdhsa_exception_fp_denorm_src 0
		.amdhsa_exception_fp_ieee_div_zero 0
		.amdhsa_exception_fp_ieee_overflow 0
		.amdhsa_exception_fp_ieee_underflow 0
		.amdhsa_exception_fp_ieee_inexact 0
		.amdhsa_exception_int_div_zero 0
	.end_amdhsa_kernel
	.section	.text._Z26warp_exclusive_scan_kernelI6__halfLj64ELj16EENSt9enable_ifIXsr10test_utilsE35device_test_enabled_for_warp_size_vIXT1_EEEvE4typeEPT_S5_S4_,"axG",@progbits,_Z26warp_exclusive_scan_kernelI6__halfLj64ELj16EENSt9enable_ifIXsr10test_utilsE35device_test_enabled_for_warp_size_vIXT1_EEEvE4typeEPT_S5_S4_,comdat
.Lfunc_end143:
	.size	_Z26warp_exclusive_scan_kernelI6__halfLj64ELj16EENSt9enable_ifIXsr10test_utilsE35device_test_enabled_for_warp_size_vIXT1_EEEvE4typeEPT_S5_S4_, .Lfunc_end143-_Z26warp_exclusive_scan_kernelI6__halfLj64ELj16EENSt9enable_ifIXsr10test_utilsE35device_test_enabled_for_warp_size_vIXT1_EEEvE4typeEPT_S5_S4_
                                        ; -- End function
	.set _Z26warp_exclusive_scan_kernelI6__halfLj64ELj16EENSt9enable_ifIXsr10test_utilsE35device_test_enabled_for_warp_size_vIXT1_EEEvE4typeEPT_S5_S4_.num_vgpr, 7
	.set _Z26warp_exclusive_scan_kernelI6__halfLj64ELj16EENSt9enable_ifIXsr10test_utilsE35device_test_enabled_for_warp_size_vIXT1_EEEvE4typeEPT_S5_S4_.num_agpr, 0
	.set _Z26warp_exclusive_scan_kernelI6__halfLj64ELj16EENSt9enable_ifIXsr10test_utilsE35device_test_enabled_for_warp_size_vIXT1_EEEvE4typeEPT_S5_S4_.numbered_sgpr, 9
	.set _Z26warp_exclusive_scan_kernelI6__halfLj64ELj16EENSt9enable_ifIXsr10test_utilsE35device_test_enabled_for_warp_size_vIXT1_EEEvE4typeEPT_S5_S4_.num_named_barrier, 0
	.set _Z26warp_exclusive_scan_kernelI6__halfLj64ELj16EENSt9enable_ifIXsr10test_utilsE35device_test_enabled_for_warp_size_vIXT1_EEEvE4typeEPT_S5_S4_.private_seg_size, 0
	.set _Z26warp_exclusive_scan_kernelI6__halfLj64ELj16EENSt9enable_ifIXsr10test_utilsE35device_test_enabled_for_warp_size_vIXT1_EEEvE4typeEPT_S5_S4_.uses_vcc, 1
	.set _Z26warp_exclusive_scan_kernelI6__halfLj64ELj16EENSt9enable_ifIXsr10test_utilsE35device_test_enabled_for_warp_size_vIXT1_EEEvE4typeEPT_S5_S4_.uses_flat_scratch, 0
	.set _Z26warp_exclusive_scan_kernelI6__halfLj64ELj16EENSt9enable_ifIXsr10test_utilsE35device_test_enabled_for_warp_size_vIXT1_EEEvE4typeEPT_S5_S4_.has_dyn_sized_stack, 0
	.set _Z26warp_exclusive_scan_kernelI6__halfLj64ELj16EENSt9enable_ifIXsr10test_utilsE35device_test_enabled_for_warp_size_vIXT1_EEEvE4typeEPT_S5_S4_.has_recursion, 0
	.set _Z26warp_exclusive_scan_kernelI6__halfLj64ELj16EENSt9enable_ifIXsr10test_utilsE35device_test_enabled_for_warp_size_vIXT1_EEEvE4typeEPT_S5_S4_.has_indirect_call, 0
	.section	.AMDGPU.csdata,"",@progbits
; Kernel info:
; codeLenInByte = 320
; TotalNumSgprs: 13
; NumVgprs: 7
; ScratchSize: 0
; MemoryBound: 0
; FloatMode: 240
; IeeeMode: 1
; LDSByteSize: 0 bytes/workgroup (compile time only)
; SGPRBlocks: 1
; VGPRBlocks: 1
; NumSGPRsForWavesPerEU: 13
; NumVGPRsForWavesPerEU: 7
; Occupancy: 10
; WaveLimiterHint : 0
; COMPUTE_PGM_RSRC2:SCRATCH_EN: 0
; COMPUTE_PGM_RSRC2:USER_SGPR: 6
; COMPUTE_PGM_RSRC2:TRAP_HANDLER: 0
; COMPUTE_PGM_RSRC2:TGID_X_EN: 1
; COMPUTE_PGM_RSRC2:TGID_Y_EN: 0
; COMPUTE_PGM_RSRC2:TGID_Z_EN: 0
; COMPUTE_PGM_RSRC2:TIDIG_COMP_CNT: 0
	.section	.text._Z26warp_exclusive_scan_kernelI6__halfLj32ELj8EENSt9enable_ifIXsr10test_utilsE35device_test_enabled_for_warp_size_vIXT1_EEEvE4typeEPT_S5_S4_,"axG",@progbits,_Z26warp_exclusive_scan_kernelI6__halfLj32ELj8EENSt9enable_ifIXsr10test_utilsE35device_test_enabled_for_warp_size_vIXT1_EEEvE4typeEPT_S5_S4_,comdat
	.protected	_Z26warp_exclusive_scan_kernelI6__halfLj32ELj8EENSt9enable_ifIXsr10test_utilsE35device_test_enabled_for_warp_size_vIXT1_EEEvE4typeEPT_S5_S4_ ; -- Begin function _Z26warp_exclusive_scan_kernelI6__halfLj32ELj8EENSt9enable_ifIXsr10test_utilsE35device_test_enabled_for_warp_size_vIXT1_EEEvE4typeEPT_S5_S4_
	.globl	_Z26warp_exclusive_scan_kernelI6__halfLj32ELj8EENSt9enable_ifIXsr10test_utilsE35device_test_enabled_for_warp_size_vIXT1_EEEvE4typeEPT_S5_S4_
	.p2align	8
	.type	_Z26warp_exclusive_scan_kernelI6__halfLj32ELj8EENSt9enable_ifIXsr10test_utilsE35device_test_enabled_for_warp_size_vIXT1_EEEvE4typeEPT_S5_S4_,@function
_Z26warp_exclusive_scan_kernelI6__halfLj32ELj8EENSt9enable_ifIXsr10test_utilsE35device_test_enabled_for_warp_size_vIXT1_EEEvE4typeEPT_S5_S4_: ; @_Z26warp_exclusive_scan_kernelI6__halfLj32ELj8EENSt9enable_ifIXsr10test_utilsE35device_test_enabled_for_warp_size_vIXT1_EEEvE4typeEPT_S5_S4_
; %bb.0:
	s_load_dword s7, s[4:5], 0x24
	s_load_dwordx4 s[0:3], s[4:5], 0x0
	s_load_dword s8, s[4:5], 0x10
	v_mov_b32_e32 v1, 0
	s_waitcnt lgkmcnt(0)
	s_and_b32 s4, s7, 0xffff
	s_mul_i32 s6, s6, s4
	v_add_u32_e32 v0, s6, v0
	v_lshlrev_b64 v[0:1], 1, v[0:1]
	v_mov_b32_e32 v3, s1
	v_add_co_u32_e32 v2, vcc, s0, v0
	v_addc_co_u32_e32 v3, vcc, v3, v1, vcc
	global_load_ushort v2, v[2:3], off
	v_mbcnt_lo_u32_b32 v3, -1, 0
	v_mbcnt_hi_u32_b32 v3, -1, v3
	v_add_u32_e32 v5, -1, v3
	v_and_b32_e32 v6, 0x78, v3
	v_cmp_lt_i32_e32 vcc, v5, v6
	v_and_b32_e32 v4, 7, v3
	v_cndmask_b32_e32 v3, v5, v3, vcc
	v_cmp_eq_u32_e32 vcc, 0, v4
	v_cmp_lt_u32_e64 s[0:1], 1, v4
	v_lshlrev_b32_e32 v3, 2, v3
	s_waitcnt vmcnt(0)
	v_and_b32_e32 v5, 0xffff, v2
	s_nop 1
	v_mov_b32_dpp v5, v5 row_shr:1 row_mask:0xf bank_mask:0xf
	v_add_f16_e32 v5, v2, v5
	v_cndmask_b32_e32 v2, v5, v2, vcc
	v_and_b32_e32 v5, 0xffff, v2
	s_nop 1
	v_mov_b32_dpp v5, v5 row_shr:2 row_mask:0xf bank_mask:0xf
	v_add_f16_e32 v5, v2, v5
	v_cndmask_b32_e64 v2, v2, v5, s[0:1]
	v_and_b32_e32 v5, 0xffff, v2
	v_cmp_lt_u32_e64 s[0:1], 3, v4
	v_mov_b32_e32 v4, s3
	v_mov_b32_dpp v5, v5 row_shr:4 row_mask:0xf bank_mask:0xf
	v_add_f16_e32 v5, v2, v5
	v_cndmask_b32_e64 v2, v2, v5, s[0:1]
	v_add_f16_e32 v2, s8, v2
	ds_bpermute_b32 v2, v3, v2
	v_mov_b32_e32 v3, s8
	s_waitcnt lgkmcnt(0)
	v_cndmask_b32_e32 v2, v2, v3, vcc
	v_add_co_u32_e32 v0, vcc, s2, v0
	v_addc_co_u32_e32 v1, vcc, v4, v1, vcc
	global_store_short v[0:1], v2, off
	s_endpgm
	.section	.rodata,"a",@progbits
	.p2align	6, 0x0
	.amdhsa_kernel _Z26warp_exclusive_scan_kernelI6__halfLj32ELj8EENSt9enable_ifIXsr10test_utilsE35device_test_enabled_for_warp_size_vIXT1_EEEvE4typeEPT_S5_S4_
		.amdhsa_group_segment_fixed_size 0
		.amdhsa_private_segment_fixed_size 0
		.amdhsa_kernarg_size 280
		.amdhsa_user_sgpr_count 6
		.amdhsa_user_sgpr_private_segment_buffer 1
		.amdhsa_user_sgpr_dispatch_ptr 0
		.amdhsa_user_sgpr_queue_ptr 0
		.amdhsa_user_sgpr_kernarg_segment_ptr 1
		.amdhsa_user_sgpr_dispatch_id 0
		.amdhsa_user_sgpr_flat_scratch_init 0
		.amdhsa_user_sgpr_private_segment_size 0
		.amdhsa_uses_dynamic_stack 0
		.amdhsa_system_sgpr_private_segment_wavefront_offset 0
		.amdhsa_system_sgpr_workgroup_id_x 1
		.amdhsa_system_sgpr_workgroup_id_y 0
		.amdhsa_system_sgpr_workgroup_id_z 0
		.amdhsa_system_sgpr_workgroup_info 0
		.amdhsa_system_vgpr_workitem_id 0
		.amdhsa_next_free_vgpr 7
		.amdhsa_next_free_sgpr 9
		.amdhsa_reserve_vcc 1
		.amdhsa_reserve_flat_scratch 0
		.amdhsa_float_round_mode_32 0
		.amdhsa_float_round_mode_16_64 0
		.amdhsa_float_denorm_mode_32 3
		.amdhsa_float_denorm_mode_16_64 3
		.amdhsa_dx10_clamp 1
		.amdhsa_ieee_mode 1
		.amdhsa_fp16_overflow 0
		.amdhsa_exception_fp_ieee_invalid_op 0
		.amdhsa_exception_fp_denorm_src 0
		.amdhsa_exception_fp_ieee_div_zero 0
		.amdhsa_exception_fp_ieee_overflow 0
		.amdhsa_exception_fp_ieee_underflow 0
		.amdhsa_exception_fp_ieee_inexact 0
		.amdhsa_exception_int_div_zero 0
	.end_amdhsa_kernel
	.section	.text._Z26warp_exclusive_scan_kernelI6__halfLj32ELj8EENSt9enable_ifIXsr10test_utilsE35device_test_enabled_for_warp_size_vIXT1_EEEvE4typeEPT_S5_S4_,"axG",@progbits,_Z26warp_exclusive_scan_kernelI6__halfLj32ELj8EENSt9enable_ifIXsr10test_utilsE35device_test_enabled_for_warp_size_vIXT1_EEEvE4typeEPT_S5_S4_,comdat
.Lfunc_end144:
	.size	_Z26warp_exclusive_scan_kernelI6__halfLj32ELj8EENSt9enable_ifIXsr10test_utilsE35device_test_enabled_for_warp_size_vIXT1_EEEvE4typeEPT_S5_S4_, .Lfunc_end144-_Z26warp_exclusive_scan_kernelI6__halfLj32ELj8EENSt9enable_ifIXsr10test_utilsE35device_test_enabled_for_warp_size_vIXT1_EEEvE4typeEPT_S5_S4_
                                        ; -- End function
	.set _Z26warp_exclusive_scan_kernelI6__halfLj32ELj8EENSt9enable_ifIXsr10test_utilsE35device_test_enabled_for_warp_size_vIXT1_EEEvE4typeEPT_S5_S4_.num_vgpr, 7
	.set _Z26warp_exclusive_scan_kernelI6__halfLj32ELj8EENSt9enable_ifIXsr10test_utilsE35device_test_enabled_for_warp_size_vIXT1_EEEvE4typeEPT_S5_S4_.num_agpr, 0
	.set _Z26warp_exclusive_scan_kernelI6__halfLj32ELj8EENSt9enable_ifIXsr10test_utilsE35device_test_enabled_for_warp_size_vIXT1_EEEvE4typeEPT_S5_S4_.numbered_sgpr, 9
	.set _Z26warp_exclusive_scan_kernelI6__halfLj32ELj8EENSt9enable_ifIXsr10test_utilsE35device_test_enabled_for_warp_size_vIXT1_EEEvE4typeEPT_S5_S4_.num_named_barrier, 0
	.set _Z26warp_exclusive_scan_kernelI6__halfLj32ELj8EENSt9enable_ifIXsr10test_utilsE35device_test_enabled_for_warp_size_vIXT1_EEEvE4typeEPT_S5_S4_.private_seg_size, 0
	.set _Z26warp_exclusive_scan_kernelI6__halfLj32ELj8EENSt9enable_ifIXsr10test_utilsE35device_test_enabled_for_warp_size_vIXT1_EEEvE4typeEPT_S5_S4_.uses_vcc, 1
	.set _Z26warp_exclusive_scan_kernelI6__halfLj32ELj8EENSt9enable_ifIXsr10test_utilsE35device_test_enabled_for_warp_size_vIXT1_EEEvE4typeEPT_S5_S4_.uses_flat_scratch, 0
	.set _Z26warp_exclusive_scan_kernelI6__halfLj32ELj8EENSt9enable_ifIXsr10test_utilsE35device_test_enabled_for_warp_size_vIXT1_EEEvE4typeEPT_S5_S4_.has_dyn_sized_stack, 0
	.set _Z26warp_exclusive_scan_kernelI6__halfLj32ELj8EENSt9enable_ifIXsr10test_utilsE35device_test_enabled_for_warp_size_vIXT1_EEEvE4typeEPT_S5_S4_.has_recursion, 0
	.set _Z26warp_exclusive_scan_kernelI6__halfLj32ELj8EENSt9enable_ifIXsr10test_utilsE35device_test_enabled_for_warp_size_vIXT1_EEEvE4typeEPT_S5_S4_.has_indirect_call, 0
	.section	.AMDGPU.csdata,"",@progbits
; Kernel info:
; codeLenInByte = 280
; TotalNumSgprs: 13
; NumVgprs: 7
; ScratchSize: 0
; MemoryBound: 0
; FloatMode: 240
; IeeeMode: 1
; LDSByteSize: 0 bytes/workgroup (compile time only)
; SGPRBlocks: 1
; VGPRBlocks: 1
; NumSGPRsForWavesPerEU: 13
; NumVGPRsForWavesPerEU: 7
; Occupancy: 10
; WaveLimiterHint : 0
; COMPUTE_PGM_RSRC2:SCRATCH_EN: 0
; COMPUTE_PGM_RSRC2:USER_SGPR: 6
; COMPUTE_PGM_RSRC2:TRAP_HANDLER: 0
; COMPUTE_PGM_RSRC2:TGID_X_EN: 1
; COMPUTE_PGM_RSRC2:TGID_Y_EN: 0
; COMPUTE_PGM_RSRC2:TGID_Z_EN: 0
; COMPUTE_PGM_RSRC2:TIDIG_COMP_CNT: 0
	.section	.text._Z26warp_exclusive_scan_kernelI6__halfLj64ELj8EENSt9enable_ifIXsr10test_utilsE35device_test_enabled_for_warp_size_vIXT1_EEEvE4typeEPT_S5_S4_,"axG",@progbits,_Z26warp_exclusive_scan_kernelI6__halfLj64ELj8EENSt9enable_ifIXsr10test_utilsE35device_test_enabled_for_warp_size_vIXT1_EEEvE4typeEPT_S5_S4_,comdat
	.protected	_Z26warp_exclusive_scan_kernelI6__halfLj64ELj8EENSt9enable_ifIXsr10test_utilsE35device_test_enabled_for_warp_size_vIXT1_EEEvE4typeEPT_S5_S4_ ; -- Begin function _Z26warp_exclusive_scan_kernelI6__halfLj64ELj8EENSt9enable_ifIXsr10test_utilsE35device_test_enabled_for_warp_size_vIXT1_EEEvE4typeEPT_S5_S4_
	.globl	_Z26warp_exclusive_scan_kernelI6__halfLj64ELj8EENSt9enable_ifIXsr10test_utilsE35device_test_enabled_for_warp_size_vIXT1_EEEvE4typeEPT_S5_S4_
	.p2align	8
	.type	_Z26warp_exclusive_scan_kernelI6__halfLj64ELj8EENSt9enable_ifIXsr10test_utilsE35device_test_enabled_for_warp_size_vIXT1_EEEvE4typeEPT_S5_S4_,@function
_Z26warp_exclusive_scan_kernelI6__halfLj64ELj8EENSt9enable_ifIXsr10test_utilsE35device_test_enabled_for_warp_size_vIXT1_EEEvE4typeEPT_S5_S4_: ; @_Z26warp_exclusive_scan_kernelI6__halfLj64ELj8EENSt9enable_ifIXsr10test_utilsE35device_test_enabled_for_warp_size_vIXT1_EEEvE4typeEPT_S5_S4_
; %bb.0:
	s_load_dword s7, s[4:5], 0x24
	s_load_dwordx4 s[0:3], s[4:5], 0x0
	s_load_dword s8, s[4:5], 0x10
	v_mov_b32_e32 v1, 0
	s_waitcnt lgkmcnt(0)
	s_and_b32 s4, s7, 0xffff
	s_mul_i32 s6, s6, s4
	v_add_u32_e32 v0, s6, v0
	v_lshlrev_b64 v[0:1], 1, v[0:1]
	v_mov_b32_e32 v3, s1
	v_add_co_u32_e32 v2, vcc, s0, v0
	v_addc_co_u32_e32 v3, vcc, v3, v1, vcc
	global_load_ushort v2, v[2:3], off
	v_mbcnt_lo_u32_b32 v3, -1, 0
	v_mbcnt_hi_u32_b32 v3, -1, v3
	v_add_u32_e32 v5, -1, v3
	v_and_b32_e32 v6, 0x78, v3
	v_cmp_lt_i32_e32 vcc, v5, v6
	v_and_b32_e32 v4, 7, v3
	v_cndmask_b32_e32 v3, v5, v3, vcc
	v_cmp_eq_u32_e32 vcc, 0, v4
	v_cmp_lt_u32_e64 s[0:1], 1, v4
	v_lshlrev_b32_e32 v3, 2, v3
	s_waitcnt vmcnt(0)
	v_and_b32_e32 v5, 0xffff, v2
	s_nop 1
	v_mov_b32_dpp v5, v5 row_shr:1 row_mask:0xf bank_mask:0xf
	v_add_f16_e32 v5, v2, v5
	v_cndmask_b32_e32 v2, v5, v2, vcc
	v_and_b32_e32 v5, 0xffff, v2
	s_nop 1
	v_mov_b32_dpp v5, v5 row_shr:2 row_mask:0xf bank_mask:0xf
	v_add_f16_e32 v5, v2, v5
	v_cndmask_b32_e64 v2, v2, v5, s[0:1]
	v_and_b32_e32 v5, 0xffff, v2
	v_cmp_lt_u32_e64 s[0:1], 3, v4
	v_mov_b32_e32 v4, s3
	v_mov_b32_dpp v5, v5 row_shr:4 row_mask:0xf bank_mask:0xf
	v_add_f16_e32 v5, v2, v5
	v_cndmask_b32_e64 v2, v2, v5, s[0:1]
	v_add_f16_e32 v2, s8, v2
	ds_bpermute_b32 v2, v3, v2
	v_mov_b32_e32 v3, s8
	s_waitcnt lgkmcnt(0)
	v_cndmask_b32_e32 v2, v2, v3, vcc
	v_add_co_u32_e32 v0, vcc, s2, v0
	v_addc_co_u32_e32 v1, vcc, v4, v1, vcc
	global_store_short v[0:1], v2, off
	s_endpgm
	.section	.rodata,"a",@progbits
	.p2align	6, 0x0
	.amdhsa_kernel _Z26warp_exclusive_scan_kernelI6__halfLj64ELj8EENSt9enable_ifIXsr10test_utilsE35device_test_enabled_for_warp_size_vIXT1_EEEvE4typeEPT_S5_S4_
		.amdhsa_group_segment_fixed_size 0
		.amdhsa_private_segment_fixed_size 0
		.amdhsa_kernarg_size 280
		.amdhsa_user_sgpr_count 6
		.amdhsa_user_sgpr_private_segment_buffer 1
		.amdhsa_user_sgpr_dispatch_ptr 0
		.amdhsa_user_sgpr_queue_ptr 0
		.amdhsa_user_sgpr_kernarg_segment_ptr 1
		.amdhsa_user_sgpr_dispatch_id 0
		.amdhsa_user_sgpr_flat_scratch_init 0
		.amdhsa_user_sgpr_private_segment_size 0
		.amdhsa_uses_dynamic_stack 0
		.amdhsa_system_sgpr_private_segment_wavefront_offset 0
		.amdhsa_system_sgpr_workgroup_id_x 1
		.amdhsa_system_sgpr_workgroup_id_y 0
		.amdhsa_system_sgpr_workgroup_id_z 0
		.amdhsa_system_sgpr_workgroup_info 0
		.amdhsa_system_vgpr_workitem_id 0
		.amdhsa_next_free_vgpr 7
		.amdhsa_next_free_sgpr 9
		.amdhsa_reserve_vcc 1
		.amdhsa_reserve_flat_scratch 0
		.amdhsa_float_round_mode_32 0
		.amdhsa_float_round_mode_16_64 0
		.amdhsa_float_denorm_mode_32 3
		.amdhsa_float_denorm_mode_16_64 3
		.amdhsa_dx10_clamp 1
		.amdhsa_ieee_mode 1
		.amdhsa_fp16_overflow 0
		.amdhsa_exception_fp_ieee_invalid_op 0
		.amdhsa_exception_fp_denorm_src 0
		.amdhsa_exception_fp_ieee_div_zero 0
		.amdhsa_exception_fp_ieee_overflow 0
		.amdhsa_exception_fp_ieee_underflow 0
		.amdhsa_exception_fp_ieee_inexact 0
		.amdhsa_exception_int_div_zero 0
	.end_amdhsa_kernel
	.section	.text._Z26warp_exclusive_scan_kernelI6__halfLj64ELj8EENSt9enable_ifIXsr10test_utilsE35device_test_enabled_for_warp_size_vIXT1_EEEvE4typeEPT_S5_S4_,"axG",@progbits,_Z26warp_exclusive_scan_kernelI6__halfLj64ELj8EENSt9enable_ifIXsr10test_utilsE35device_test_enabled_for_warp_size_vIXT1_EEEvE4typeEPT_S5_S4_,comdat
.Lfunc_end145:
	.size	_Z26warp_exclusive_scan_kernelI6__halfLj64ELj8EENSt9enable_ifIXsr10test_utilsE35device_test_enabled_for_warp_size_vIXT1_EEEvE4typeEPT_S5_S4_, .Lfunc_end145-_Z26warp_exclusive_scan_kernelI6__halfLj64ELj8EENSt9enable_ifIXsr10test_utilsE35device_test_enabled_for_warp_size_vIXT1_EEEvE4typeEPT_S5_S4_
                                        ; -- End function
	.set _Z26warp_exclusive_scan_kernelI6__halfLj64ELj8EENSt9enable_ifIXsr10test_utilsE35device_test_enabled_for_warp_size_vIXT1_EEEvE4typeEPT_S5_S4_.num_vgpr, 7
	.set _Z26warp_exclusive_scan_kernelI6__halfLj64ELj8EENSt9enable_ifIXsr10test_utilsE35device_test_enabled_for_warp_size_vIXT1_EEEvE4typeEPT_S5_S4_.num_agpr, 0
	.set _Z26warp_exclusive_scan_kernelI6__halfLj64ELj8EENSt9enable_ifIXsr10test_utilsE35device_test_enabled_for_warp_size_vIXT1_EEEvE4typeEPT_S5_S4_.numbered_sgpr, 9
	.set _Z26warp_exclusive_scan_kernelI6__halfLj64ELj8EENSt9enable_ifIXsr10test_utilsE35device_test_enabled_for_warp_size_vIXT1_EEEvE4typeEPT_S5_S4_.num_named_barrier, 0
	.set _Z26warp_exclusive_scan_kernelI6__halfLj64ELj8EENSt9enable_ifIXsr10test_utilsE35device_test_enabled_for_warp_size_vIXT1_EEEvE4typeEPT_S5_S4_.private_seg_size, 0
	.set _Z26warp_exclusive_scan_kernelI6__halfLj64ELj8EENSt9enable_ifIXsr10test_utilsE35device_test_enabled_for_warp_size_vIXT1_EEEvE4typeEPT_S5_S4_.uses_vcc, 1
	.set _Z26warp_exclusive_scan_kernelI6__halfLj64ELj8EENSt9enable_ifIXsr10test_utilsE35device_test_enabled_for_warp_size_vIXT1_EEEvE4typeEPT_S5_S4_.uses_flat_scratch, 0
	.set _Z26warp_exclusive_scan_kernelI6__halfLj64ELj8EENSt9enable_ifIXsr10test_utilsE35device_test_enabled_for_warp_size_vIXT1_EEEvE4typeEPT_S5_S4_.has_dyn_sized_stack, 0
	.set _Z26warp_exclusive_scan_kernelI6__halfLj64ELj8EENSt9enable_ifIXsr10test_utilsE35device_test_enabled_for_warp_size_vIXT1_EEEvE4typeEPT_S5_S4_.has_recursion, 0
	.set _Z26warp_exclusive_scan_kernelI6__halfLj64ELj8EENSt9enable_ifIXsr10test_utilsE35device_test_enabled_for_warp_size_vIXT1_EEEvE4typeEPT_S5_S4_.has_indirect_call, 0
	.section	.AMDGPU.csdata,"",@progbits
; Kernel info:
; codeLenInByte = 280
; TotalNumSgprs: 13
; NumVgprs: 7
; ScratchSize: 0
; MemoryBound: 0
; FloatMode: 240
; IeeeMode: 1
; LDSByteSize: 0 bytes/workgroup (compile time only)
; SGPRBlocks: 1
; VGPRBlocks: 1
; NumSGPRsForWavesPerEU: 13
; NumVGPRsForWavesPerEU: 7
; Occupancy: 10
; WaveLimiterHint : 0
; COMPUTE_PGM_RSRC2:SCRATCH_EN: 0
; COMPUTE_PGM_RSRC2:USER_SGPR: 6
; COMPUTE_PGM_RSRC2:TRAP_HANDLER: 0
; COMPUTE_PGM_RSRC2:TGID_X_EN: 1
; COMPUTE_PGM_RSRC2:TGID_Y_EN: 0
; COMPUTE_PGM_RSRC2:TGID_Z_EN: 0
; COMPUTE_PGM_RSRC2:TIDIG_COMP_CNT: 0
	.section	.text._Z26warp_exclusive_scan_kernelI6__halfLj32ELj4EENSt9enable_ifIXsr10test_utilsE35device_test_enabled_for_warp_size_vIXT1_EEEvE4typeEPT_S5_S4_,"axG",@progbits,_Z26warp_exclusive_scan_kernelI6__halfLj32ELj4EENSt9enable_ifIXsr10test_utilsE35device_test_enabled_for_warp_size_vIXT1_EEEvE4typeEPT_S5_S4_,comdat
	.protected	_Z26warp_exclusive_scan_kernelI6__halfLj32ELj4EENSt9enable_ifIXsr10test_utilsE35device_test_enabled_for_warp_size_vIXT1_EEEvE4typeEPT_S5_S4_ ; -- Begin function _Z26warp_exclusive_scan_kernelI6__halfLj32ELj4EENSt9enable_ifIXsr10test_utilsE35device_test_enabled_for_warp_size_vIXT1_EEEvE4typeEPT_S5_S4_
	.globl	_Z26warp_exclusive_scan_kernelI6__halfLj32ELj4EENSt9enable_ifIXsr10test_utilsE35device_test_enabled_for_warp_size_vIXT1_EEEvE4typeEPT_S5_S4_
	.p2align	8
	.type	_Z26warp_exclusive_scan_kernelI6__halfLj32ELj4EENSt9enable_ifIXsr10test_utilsE35device_test_enabled_for_warp_size_vIXT1_EEEvE4typeEPT_S5_S4_,@function
_Z26warp_exclusive_scan_kernelI6__halfLj32ELj4EENSt9enable_ifIXsr10test_utilsE35device_test_enabled_for_warp_size_vIXT1_EEEvE4typeEPT_S5_S4_: ; @_Z26warp_exclusive_scan_kernelI6__halfLj32ELj4EENSt9enable_ifIXsr10test_utilsE35device_test_enabled_for_warp_size_vIXT1_EEEvE4typeEPT_S5_S4_
; %bb.0:
	s_load_dword s7, s[4:5], 0x24
	s_load_dwordx4 s[0:3], s[4:5], 0x0
	s_load_dword s8, s[4:5], 0x10
	v_mov_b32_e32 v1, 0
	s_waitcnt lgkmcnt(0)
	s_and_b32 s4, s7, 0xffff
	s_mul_i32 s6, s6, s4
	v_add_u32_e32 v0, s6, v0
	v_lshlrev_b64 v[0:1], 1, v[0:1]
	v_mov_b32_e32 v3, s1
	v_add_co_u32_e32 v2, vcc, s0, v0
	v_addc_co_u32_e32 v3, vcc, v3, v1, vcc
	global_load_ushort v2, v[2:3], off
	v_mbcnt_lo_u32_b32 v3, -1, 0
	v_mbcnt_hi_u32_b32 v3, -1, v3
	v_add_u32_e32 v5, -1, v3
	v_and_b32_e32 v6, 0x7c, v3
	v_cmp_lt_i32_e32 vcc, v5, v6
	v_and_b32_e32 v4, 3, v3
	v_cndmask_b32_e32 v3, v5, v3, vcc
	v_cmp_eq_u32_e32 vcc, 0, v4
	v_cmp_lt_u32_e64 s[0:1], 1, v4
	v_lshlrev_b32_e32 v3, 2, v3
	v_mov_b32_e32 v4, s3
	s_waitcnt vmcnt(0)
	v_and_b32_e32 v5, 0xffff, v2
	s_nop 1
	v_mov_b32_dpp v5, v5 row_shr:1 row_mask:0xf bank_mask:0xf
	v_add_f16_e32 v5, v2, v5
	v_cndmask_b32_e32 v2, v5, v2, vcc
	v_and_b32_e32 v5, 0xffff, v2
	s_nop 1
	v_mov_b32_dpp v5, v5 row_shr:2 row_mask:0xf bank_mask:0xf
	v_add_f16_e32 v5, v2, v5
	v_cndmask_b32_e64 v2, v2, v5, s[0:1]
	v_add_f16_e32 v2, s8, v2
	ds_bpermute_b32 v2, v3, v2
	v_mov_b32_e32 v3, s8
	s_waitcnt lgkmcnt(0)
	v_cndmask_b32_e32 v2, v2, v3, vcc
	v_add_co_u32_e32 v0, vcc, s2, v0
	v_addc_co_u32_e32 v1, vcc, v4, v1, vcc
	global_store_short v[0:1], v2, off
	s_endpgm
	.section	.rodata,"a",@progbits
	.p2align	6, 0x0
	.amdhsa_kernel _Z26warp_exclusive_scan_kernelI6__halfLj32ELj4EENSt9enable_ifIXsr10test_utilsE35device_test_enabled_for_warp_size_vIXT1_EEEvE4typeEPT_S5_S4_
		.amdhsa_group_segment_fixed_size 0
		.amdhsa_private_segment_fixed_size 0
		.amdhsa_kernarg_size 280
		.amdhsa_user_sgpr_count 6
		.amdhsa_user_sgpr_private_segment_buffer 1
		.amdhsa_user_sgpr_dispatch_ptr 0
		.amdhsa_user_sgpr_queue_ptr 0
		.amdhsa_user_sgpr_kernarg_segment_ptr 1
		.amdhsa_user_sgpr_dispatch_id 0
		.amdhsa_user_sgpr_flat_scratch_init 0
		.amdhsa_user_sgpr_private_segment_size 0
		.amdhsa_uses_dynamic_stack 0
		.amdhsa_system_sgpr_private_segment_wavefront_offset 0
		.amdhsa_system_sgpr_workgroup_id_x 1
		.amdhsa_system_sgpr_workgroup_id_y 0
		.amdhsa_system_sgpr_workgroup_id_z 0
		.amdhsa_system_sgpr_workgroup_info 0
		.amdhsa_system_vgpr_workitem_id 0
		.amdhsa_next_free_vgpr 7
		.amdhsa_next_free_sgpr 9
		.amdhsa_reserve_vcc 1
		.amdhsa_reserve_flat_scratch 0
		.amdhsa_float_round_mode_32 0
		.amdhsa_float_round_mode_16_64 0
		.amdhsa_float_denorm_mode_32 3
		.amdhsa_float_denorm_mode_16_64 3
		.amdhsa_dx10_clamp 1
		.amdhsa_ieee_mode 1
		.amdhsa_fp16_overflow 0
		.amdhsa_exception_fp_ieee_invalid_op 0
		.amdhsa_exception_fp_denorm_src 0
		.amdhsa_exception_fp_ieee_div_zero 0
		.amdhsa_exception_fp_ieee_overflow 0
		.amdhsa_exception_fp_ieee_underflow 0
		.amdhsa_exception_fp_ieee_inexact 0
		.amdhsa_exception_int_div_zero 0
	.end_amdhsa_kernel
	.section	.text._Z26warp_exclusive_scan_kernelI6__halfLj32ELj4EENSt9enable_ifIXsr10test_utilsE35device_test_enabled_for_warp_size_vIXT1_EEEvE4typeEPT_S5_S4_,"axG",@progbits,_Z26warp_exclusive_scan_kernelI6__halfLj32ELj4EENSt9enable_ifIXsr10test_utilsE35device_test_enabled_for_warp_size_vIXT1_EEEvE4typeEPT_S5_S4_,comdat
.Lfunc_end146:
	.size	_Z26warp_exclusive_scan_kernelI6__halfLj32ELj4EENSt9enable_ifIXsr10test_utilsE35device_test_enabled_for_warp_size_vIXT1_EEEvE4typeEPT_S5_S4_, .Lfunc_end146-_Z26warp_exclusive_scan_kernelI6__halfLj32ELj4EENSt9enable_ifIXsr10test_utilsE35device_test_enabled_for_warp_size_vIXT1_EEEvE4typeEPT_S5_S4_
                                        ; -- End function
	.set _Z26warp_exclusive_scan_kernelI6__halfLj32ELj4EENSt9enable_ifIXsr10test_utilsE35device_test_enabled_for_warp_size_vIXT1_EEEvE4typeEPT_S5_S4_.num_vgpr, 7
	.set _Z26warp_exclusive_scan_kernelI6__halfLj32ELj4EENSt9enable_ifIXsr10test_utilsE35device_test_enabled_for_warp_size_vIXT1_EEEvE4typeEPT_S5_S4_.num_agpr, 0
	.set _Z26warp_exclusive_scan_kernelI6__halfLj32ELj4EENSt9enable_ifIXsr10test_utilsE35device_test_enabled_for_warp_size_vIXT1_EEEvE4typeEPT_S5_S4_.numbered_sgpr, 9
	.set _Z26warp_exclusive_scan_kernelI6__halfLj32ELj4EENSt9enable_ifIXsr10test_utilsE35device_test_enabled_for_warp_size_vIXT1_EEEvE4typeEPT_S5_S4_.num_named_barrier, 0
	.set _Z26warp_exclusive_scan_kernelI6__halfLj32ELj4EENSt9enable_ifIXsr10test_utilsE35device_test_enabled_for_warp_size_vIXT1_EEEvE4typeEPT_S5_S4_.private_seg_size, 0
	.set _Z26warp_exclusive_scan_kernelI6__halfLj32ELj4EENSt9enable_ifIXsr10test_utilsE35device_test_enabled_for_warp_size_vIXT1_EEEvE4typeEPT_S5_S4_.uses_vcc, 1
	.set _Z26warp_exclusive_scan_kernelI6__halfLj32ELj4EENSt9enable_ifIXsr10test_utilsE35device_test_enabled_for_warp_size_vIXT1_EEEvE4typeEPT_S5_S4_.uses_flat_scratch, 0
	.set _Z26warp_exclusive_scan_kernelI6__halfLj32ELj4EENSt9enable_ifIXsr10test_utilsE35device_test_enabled_for_warp_size_vIXT1_EEEvE4typeEPT_S5_S4_.has_dyn_sized_stack, 0
	.set _Z26warp_exclusive_scan_kernelI6__halfLj32ELj4EENSt9enable_ifIXsr10test_utilsE35device_test_enabled_for_warp_size_vIXT1_EEEvE4typeEPT_S5_S4_.has_recursion, 0
	.set _Z26warp_exclusive_scan_kernelI6__halfLj32ELj4EENSt9enable_ifIXsr10test_utilsE35device_test_enabled_for_warp_size_vIXT1_EEEvE4typeEPT_S5_S4_.has_indirect_call, 0
	.section	.AMDGPU.csdata,"",@progbits
; Kernel info:
; codeLenInByte = 244
; TotalNumSgprs: 13
; NumVgprs: 7
; ScratchSize: 0
; MemoryBound: 0
; FloatMode: 240
; IeeeMode: 1
; LDSByteSize: 0 bytes/workgroup (compile time only)
; SGPRBlocks: 1
; VGPRBlocks: 1
; NumSGPRsForWavesPerEU: 13
; NumVGPRsForWavesPerEU: 7
; Occupancy: 10
; WaveLimiterHint : 0
; COMPUTE_PGM_RSRC2:SCRATCH_EN: 0
; COMPUTE_PGM_RSRC2:USER_SGPR: 6
; COMPUTE_PGM_RSRC2:TRAP_HANDLER: 0
; COMPUTE_PGM_RSRC2:TGID_X_EN: 1
; COMPUTE_PGM_RSRC2:TGID_Y_EN: 0
; COMPUTE_PGM_RSRC2:TGID_Z_EN: 0
; COMPUTE_PGM_RSRC2:TIDIG_COMP_CNT: 0
	.section	.text._Z26warp_exclusive_scan_kernelI6__halfLj64ELj4EENSt9enable_ifIXsr10test_utilsE35device_test_enabled_for_warp_size_vIXT1_EEEvE4typeEPT_S5_S4_,"axG",@progbits,_Z26warp_exclusive_scan_kernelI6__halfLj64ELj4EENSt9enable_ifIXsr10test_utilsE35device_test_enabled_for_warp_size_vIXT1_EEEvE4typeEPT_S5_S4_,comdat
	.protected	_Z26warp_exclusive_scan_kernelI6__halfLj64ELj4EENSt9enable_ifIXsr10test_utilsE35device_test_enabled_for_warp_size_vIXT1_EEEvE4typeEPT_S5_S4_ ; -- Begin function _Z26warp_exclusive_scan_kernelI6__halfLj64ELj4EENSt9enable_ifIXsr10test_utilsE35device_test_enabled_for_warp_size_vIXT1_EEEvE4typeEPT_S5_S4_
	.globl	_Z26warp_exclusive_scan_kernelI6__halfLj64ELj4EENSt9enable_ifIXsr10test_utilsE35device_test_enabled_for_warp_size_vIXT1_EEEvE4typeEPT_S5_S4_
	.p2align	8
	.type	_Z26warp_exclusive_scan_kernelI6__halfLj64ELj4EENSt9enable_ifIXsr10test_utilsE35device_test_enabled_for_warp_size_vIXT1_EEEvE4typeEPT_S5_S4_,@function
_Z26warp_exclusive_scan_kernelI6__halfLj64ELj4EENSt9enable_ifIXsr10test_utilsE35device_test_enabled_for_warp_size_vIXT1_EEEvE4typeEPT_S5_S4_: ; @_Z26warp_exclusive_scan_kernelI6__halfLj64ELj4EENSt9enable_ifIXsr10test_utilsE35device_test_enabled_for_warp_size_vIXT1_EEEvE4typeEPT_S5_S4_
; %bb.0:
	s_load_dword s7, s[4:5], 0x24
	s_load_dwordx4 s[0:3], s[4:5], 0x0
	s_load_dword s8, s[4:5], 0x10
	v_mov_b32_e32 v1, 0
	s_waitcnt lgkmcnt(0)
	s_and_b32 s4, s7, 0xffff
	s_mul_i32 s6, s6, s4
	v_add_u32_e32 v0, s6, v0
	v_lshlrev_b64 v[0:1], 1, v[0:1]
	v_mov_b32_e32 v3, s1
	v_add_co_u32_e32 v2, vcc, s0, v0
	v_addc_co_u32_e32 v3, vcc, v3, v1, vcc
	global_load_ushort v2, v[2:3], off
	v_mbcnt_lo_u32_b32 v3, -1, 0
	v_mbcnt_hi_u32_b32 v3, -1, v3
	v_add_u32_e32 v5, -1, v3
	v_and_b32_e32 v6, 0x7c, v3
	v_cmp_lt_i32_e32 vcc, v5, v6
	v_and_b32_e32 v4, 3, v3
	v_cndmask_b32_e32 v3, v5, v3, vcc
	v_cmp_eq_u32_e32 vcc, 0, v4
	v_cmp_lt_u32_e64 s[0:1], 1, v4
	v_lshlrev_b32_e32 v3, 2, v3
	v_mov_b32_e32 v4, s3
	s_waitcnt vmcnt(0)
	v_and_b32_e32 v5, 0xffff, v2
	s_nop 1
	v_mov_b32_dpp v5, v5 row_shr:1 row_mask:0xf bank_mask:0xf
	v_add_f16_e32 v5, v2, v5
	v_cndmask_b32_e32 v2, v5, v2, vcc
	v_and_b32_e32 v5, 0xffff, v2
	s_nop 1
	v_mov_b32_dpp v5, v5 row_shr:2 row_mask:0xf bank_mask:0xf
	v_add_f16_e32 v5, v2, v5
	v_cndmask_b32_e64 v2, v2, v5, s[0:1]
	v_add_f16_e32 v2, s8, v2
	ds_bpermute_b32 v2, v3, v2
	v_mov_b32_e32 v3, s8
	s_waitcnt lgkmcnt(0)
	v_cndmask_b32_e32 v2, v2, v3, vcc
	v_add_co_u32_e32 v0, vcc, s2, v0
	v_addc_co_u32_e32 v1, vcc, v4, v1, vcc
	global_store_short v[0:1], v2, off
	s_endpgm
	.section	.rodata,"a",@progbits
	.p2align	6, 0x0
	.amdhsa_kernel _Z26warp_exclusive_scan_kernelI6__halfLj64ELj4EENSt9enable_ifIXsr10test_utilsE35device_test_enabled_for_warp_size_vIXT1_EEEvE4typeEPT_S5_S4_
		.amdhsa_group_segment_fixed_size 0
		.amdhsa_private_segment_fixed_size 0
		.amdhsa_kernarg_size 280
		.amdhsa_user_sgpr_count 6
		.amdhsa_user_sgpr_private_segment_buffer 1
		.amdhsa_user_sgpr_dispatch_ptr 0
		.amdhsa_user_sgpr_queue_ptr 0
		.amdhsa_user_sgpr_kernarg_segment_ptr 1
		.amdhsa_user_sgpr_dispatch_id 0
		.amdhsa_user_sgpr_flat_scratch_init 0
		.amdhsa_user_sgpr_private_segment_size 0
		.amdhsa_uses_dynamic_stack 0
		.amdhsa_system_sgpr_private_segment_wavefront_offset 0
		.amdhsa_system_sgpr_workgroup_id_x 1
		.amdhsa_system_sgpr_workgroup_id_y 0
		.amdhsa_system_sgpr_workgroup_id_z 0
		.amdhsa_system_sgpr_workgroup_info 0
		.amdhsa_system_vgpr_workitem_id 0
		.amdhsa_next_free_vgpr 7
		.amdhsa_next_free_sgpr 9
		.amdhsa_reserve_vcc 1
		.amdhsa_reserve_flat_scratch 0
		.amdhsa_float_round_mode_32 0
		.amdhsa_float_round_mode_16_64 0
		.amdhsa_float_denorm_mode_32 3
		.amdhsa_float_denorm_mode_16_64 3
		.amdhsa_dx10_clamp 1
		.amdhsa_ieee_mode 1
		.amdhsa_fp16_overflow 0
		.amdhsa_exception_fp_ieee_invalid_op 0
		.amdhsa_exception_fp_denorm_src 0
		.amdhsa_exception_fp_ieee_div_zero 0
		.amdhsa_exception_fp_ieee_overflow 0
		.amdhsa_exception_fp_ieee_underflow 0
		.amdhsa_exception_fp_ieee_inexact 0
		.amdhsa_exception_int_div_zero 0
	.end_amdhsa_kernel
	.section	.text._Z26warp_exclusive_scan_kernelI6__halfLj64ELj4EENSt9enable_ifIXsr10test_utilsE35device_test_enabled_for_warp_size_vIXT1_EEEvE4typeEPT_S5_S4_,"axG",@progbits,_Z26warp_exclusive_scan_kernelI6__halfLj64ELj4EENSt9enable_ifIXsr10test_utilsE35device_test_enabled_for_warp_size_vIXT1_EEEvE4typeEPT_S5_S4_,comdat
.Lfunc_end147:
	.size	_Z26warp_exclusive_scan_kernelI6__halfLj64ELj4EENSt9enable_ifIXsr10test_utilsE35device_test_enabled_for_warp_size_vIXT1_EEEvE4typeEPT_S5_S4_, .Lfunc_end147-_Z26warp_exclusive_scan_kernelI6__halfLj64ELj4EENSt9enable_ifIXsr10test_utilsE35device_test_enabled_for_warp_size_vIXT1_EEEvE4typeEPT_S5_S4_
                                        ; -- End function
	.set _Z26warp_exclusive_scan_kernelI6__halfLj64ELj4EENSt9enable_ifIXsr10test_utilsE35device_test_enabled_for_warp_size_vIXT1_EEEvE4typeEPT_S5_S4_.num_vgpr, 7
	.set _Z26warp_exclusive_scan_kernelI6__halfLj64ELj4EENSt9enable_ifIXsr10test_utilsE35device_test_enabled_for_warp_size_vIXT1_EEEvE4typeEPT_S5_S4_.num_agpr, 0
	.set _Z26warp_exclusive_scan_kernelI6__halfLj64ELj4EENSt9enable_ifIXsr10test_utilsE35device_test_enabled_for_warp_size_vIXT1_EEEvE4typeEPT_S5_S4_.numbered_sgpr, 9
	.set _Z26warp_exclusive_scan_kernelI6__halfLj64ELj4EENSt9enable_ifIXsr10test_utilsE35device_test_enabled_for_warp_size_vIXT1_EEEvE4typeEPT_S5_S4_.num_named_barrier, 0
	.set _Z26warp_exclusive_scan_kernelI6__halfLj64ELj4EENSt9enable_ifIXsr10test_utilsE35device_test_enabled_for_warp_size_vIXT1_EEEvE4typeEPT_S5_S4_.private_seg_size, 0
	.set _Z26warp_exclusive_scan_kernelI6__halfLj64ELj4EENSt9enable_ifIXsr10test_utilsE35device_test_enabled_for_warp_size_vIXT1_EEEvE4typeEPT_S5_S4_.uses_vcc, 1
	.set _Z26warp_exclusive_scan_kernelI6__halfLj64ELj4EENSt9enable_ifIXsr10test_utilsE35device_test_enabled_for_warp_size_vIXT1_EEEvE4typeEPT_S5_S4_.uses_flat_scratch, 0
	.set _Z26warp_exclusive_scan_kernelI6__halfLj64ELj4EENSt9enable_ifIXsr10test_utilsE35device_test_enabled_for_warp_size_vIXT1_EEEvE4typeEPT_S5_S4_.has_dyn_sized_stack, 0
	.set _Z26warp_exclusive_scan_kernelI6__halfLj64ELj4EENSt9enable_ifIXsr10test_utilsE35device_test_enabled_for_warp_size_vIXT1_EEEvE4typeEPT_S5_S4_.has_recursion, 0
	.set _Z26warp_exclusive_scan_kernelI6__halfLj64ELj4EENSt9enable_ifIXsr10test_utilsE35device_test_enabled_for_warp_size_vIXT1_EEEvE4typeEPT_S5_S4_.has_indirect_call, 0
	.section	.AMDGPU.csdata,"",@progbits
; Kernel info:
; codeLenInByte = 244
; TotalNumSgprs: 13
; NumVgprs: 7
; ScratchSize: 0
; MemoryBound: 0
; FloatMode: 240
; IeeeMode: 1
; LDSByteSize: 0 bytes/workgroup (compile time only)
; SGPRBlocks: 1
; VGPRBlocks: 1
; NumSGPRsForWavesPerEU: 13
; NumVGPRsForWavesPerEU: 7
; Occupancy: 10
; WaveLimiterHint : 0
; COMPUTE_PGM_RSRC2:SCRATCH_EN: 0
; COMPUTE_PGM_RSRC2:USER_SGPR: 6
; COMPUTE_PGM_RSRC2:TRAP_HANDLER: 0
; COMPUTE_PGM_RSRC2:TGID_X_EN: 1
; COMPUTE_PGM_RSRC2:TGID_Y_EN: 0
; COMPUTE_PGM_RSRC2:TGID_Z_EN: 0
; COMPUTE_PGM_RSRC2:TIDIG_COMP_CNT: 0
	.section	.text._Z26warp_exclusive_scan_kernelI6__halfLj32ELj2EENSt9enable_ifIXsr10test_utilsE35device_test_enabled_for_warp_size_vIXT1_EEEvE4typeEPT_S5_S4_,"axG",@progbits,_Z26warp_exclusive_scan_kernelI6__halfLj32ELj2EENSt9enable_ifIXsr10test_utilsE35device_test_enabled_for_warp_size_vIXT1_EEEvE4typeEPT_S5_S4_,comdat
	.protected	_Z26warp_exclusive_scan_kernelI6__halfLj32ELj2EENSt9enable_ifIXsr10test_utilsE35device_test_enabled_for_warp_size_vIXT1_EEEvE4typeEPT_S5_S4_ ; -- Begin function _Z26warp_exclusive_scan_kernelI6__halfLj32ELj2EENSt9enable_ifIXsr10test_utilsE35device_test_enabled_for_warp_size_vIXT1_EEEvE4typeEPT_S5_S4_
	.globl	_Z26warp_exclusive_scan_kernelI6__halfLj32ELj2EENSt9enable_ifIXsr10test_utilsE35device_test_enabled_for_warp_size_vIXT1_EEEvE4typeEPT_S5_S4_
	.p2align	8
	.type	_Z26warp_exclusive_scan_kernelI6__halfLj32ELj2EENSt9enable_ifIXsr10test_utilsE35device_test_enabled_for_warp_size_vIXT1_EEEvE4typeEPT_S5_S4_,@function
_Z26warp_exclusive_scan_kernelI6__halfLj32ELj2EENSt9enable_ifIXsr10test_utilsE35device_test_enabled_for_warp_size_vIXT1_EEEvE4typeEPT_S5_S4_: ; @_Z26warp_exclusive_scan_kernelI6__halfLj32ELj2EENSt9enable_ifIXsr10test_utilsE35device_test_enabled_for_warp_size_vIXT1_EEEvE4typeEPT_S5_S4_
; %bb.0:
	s_load_dword s7, s[4:5], 0x24
	s_load_dwordx4 s[0:3], s[4:5], 0x0
	s_load_dword s8, s[4:5], 0x10
	v_mov_b32_e32 v1, 0
	s_waitcnt lgkmcnt(0)
	s_and_b32 s4, s7, 0xffff
	s_mul_i32 s6, s6, s4
	v_add_u32_e32 v0, s6, v0
	v_lshlrev_b64 v[0:1], 1, v[0:1]
	v_mov_b32_e32 v3, s1
	v_add_co_u32_e32 v2, vcc, s0, v0
	v_addc_co_u32_e32 v3, vcc, v3, v1, vcc
	global_load_ushort v2, v[2:3], off
	v_mbcnt_lo_u32_b32 v3, -1, 0
	v_mbcnt_hi_u32_b32 v3, -1, v3
	v_add_u32_e32 v5, -1, v3
	v_and_b32_e32 v6, 0x7e, v3
	v_cmp_lt_i32_e32 vcc, v5, v6
	v_and_b32_e32 v4, 1, v3
	v_cndmask_b32_e32 v3, v5, v3, vcc
	v_cmp_eq_u32_e32 vcc, 0, v4
	v_lshlrev_b32_e32 v3, 2, v3
	v_mov_b32_e32 v4, s3
	s_waitcnt vmcnt(0)
	v_and_b32_e32 v5, 0xffff, v2
	s_nop 1
	v_mov_b32_dpp v5, v5 row_shr:1 row_mask:0xf bank_mask:0xf
	v_add_f16_e32 v5, v2, v5
	v_cndmask_b32_e32 v2, v5, v2, vcc
	v_add_f16_e32 v2, s8, v2
	ds_bpermute_b32 v2, v3, v2
	v_mov_b32_e32 v3, s8
	s_waitcnt lgkmcnt(0)
	v_cndmask_b32_e32 v2, v2, v3, vcc
	v_add_co_u32_e32 v0, vcc, s2, v0
	v_addc_co_u32_e32 v1, vcc, v4, v1, vcc
	global_store_short v[0:1], v2, off
	s_endpgm
	.section	.rodata,"a",@progbits
	.p2align	6, 0x0
	.amdhsa_kernel _Z26warp_exclusive_scan_kernelI6__halfLj32ELj2EENSt9enable_ifIXsr10test_utilsE35device_test_enabled_for_warp_size_vIXT1_EEEvE4typeEPT_S5_S4_
		.amdhsa_group_segment_fixed_size 0
		.amdhsa_private_segment_fixed_size 0
		.amdhsa_kernarg_size 280
		.amdhsa_user_sgpr_count 6
		.amdhsa_user_sgpr_private_segment_buffer 1
		.amdhsa_user_sgpr_dispatch_ptr 0
		.amdhsa_user_sgpr_queue_ptr 0
		.amdhsa_user_sgpr_kernarg_segment_ptr 1
		.amdhsa_user_sgpr_dispatch_id 0
		.amdhsa_user_sgpr_flat_scratch_init 0
		.amdhsa_user_sgpr_private_segment_size 0
		.amdhsa_uses_dynamic_stack 0
		.amdhsa_system_sgpr_private_segment_wavefront_offset 0
		.amdhsa_system_sgpr_workgroup_id_x 1
		.amdhsa_system_sgpr_workgroup_id_y 0
		.amdhsa_system_sgpr_workgroup_id_z 0
		.amdhsa_system_sgpr_workgroup_info 0
		.amdhsa_system_vgpr_workitem_id 0
		.amdhsa_next_free_vgpr 7
		.amdhsa_next_free_sgpr 9
		.amdhsa_reserve_vcc 1
		.amdhsa_reserve_flat_scratch 0
		.amdhsa_float_round_mode_32 0
		.amdhsa_float_round_mode_16_64 0
		.amdhsa_float_denorm_mode_32 3
		.amdhsa_float_denorm_mode_16_64 3
		.amdhsa_dx10_clamp 1
		.amdhsa_ieee_mode 1
		.amdhsa_fp16_overflow 0
		.amdhsa_exception_fp_ieee_invalid_op 0
		.amdhsa_exception_fp_denorm_src 0
		.amdhsa_exception_fp_ieee_div_zero 0
		.amdhsa_exception_fp_ieee_overflow 0
		.amdhsa_exception_fp_ieee_underflow 0
		.amdhsa_exception_fp_ieee_inexact 0
		.amdhsa_exception_int_div_zero 0
	.end_amdhsa_kernel
	.section	.text._Z26warp_exclusive_scan_kernelI6__halfLj32ELj2EENSt9enable_ifIXsr10test_utilsE35device_test_enabled_for_warp_size_vIXT1_EEEvE4typeEPT_S5_S4_,"axG",@progbits,_Z26warp_exclusive_scan_kernelI6__halfLj32ELj2EENSt9enable_ifIXsr10test_utilsE35device_test_enabled_for_warp_size_vIXT1_EEEvE4typeEPT_S5_S4_,comdat
.Lfunc_end148:
	.size	_Z26warp_exclusive_scan_kernelI6__halfLj32ELj2EENSt9enable_ifIXsr10test_utilsE35device_test_enabled_for_warp_size_vIXT1_EEEvE4typeEPT_S5_S4_, .Lfunc_end148-_Z26warp_exclusive_scan_kernelI6__halfLj32ELj2EENSt9enable_ifIXsr10test_utilsE35device_test_enabled_for_warp_size_vIXT1_EEEvE4typeEPT_S5_S4_
                                        ; -- End function
	.set _Z26warp_exclusive_scan_kernelI6__halfLj32ELj2EENSt9enable_ifIXsr10test_utilsE35device_test_enabled_for_warp_size_vIXT1_EEEvE4typeEPT_S5_S4_.num_vgpr, 7
	.set _Z26warp_exclusive_scan_kernelI6__halfLj32ELj2EENSt9enable_ifIXsr10test_utilsE35device_test_enabled_for_warp_size_vIXT1_EEEvE4typeEPT_S5_S4_.num_agpr, 0
	.set _Z26warp_exclusive_scan_kernelI6__halfLj32ELj2EENSt9enable_ifIXsr10test_utilsE35device_test_enabled_for_warp_size_vIXT1_EEEvE4typeEPT_S5_S4_.numbered_sgpr, 9
	.set _Z26warp_exclusive_scan_kernelI6__halfLj32ELj2EENSt9enable_ifIXsr10test_utilsE35device_test_enabled_for_warp_size_vIXT1_EEEvE4typeEPT_S5_S4_.num_named_barrier, 0
	.set _Z26warp_exclusive_scan_kernelI6__halfLj32ELj2EENSt9enable_ifIXsr10test_utilsE35device_test_enabled_for_warp_size_vIXT1_EEEvE4typeEPT_S5_S4_.private_seg_size, 0
	.set _Z26warp_exclusive_scan_kernelI6__halfLj32ELj2EENSt9enable_ifIXsr10test_utilsE35device_test_enabled_for_warp_size_vIXT1_EEEvE4typeEPT_S5_S4_.uses_vcc, 1
	.set _Z26warp_exclusive_scan_kernelI6__halfLj32ELj2EENSt9enable_ifIXsr10test_utilsE35device_test_enabled_for_warp_size_vIXT1_EEEvE4typeEPT_S5_S4_.uses_flat_scratch, 0
	.set _Z26warp_exclusive_scan_kernelI6__halfLj32ELj2EENSt9enable_ifIXsr10test_utilsE35device_test_enabled_for_warp_size_vIXT1_EEEvE4typeEPT_S5_S4_.has_dyn_sized_stack, 0
	.set _Z26warp_exclusive_scan_kernelI6__halfLj32ELj2EENSt9enable_ifIXsr10test_utilsE35device_test_enabled_for_warp_size_vIXT1_EEEvE4typeEPT_S5_S4_.has_recursion, 0
	.set _Z26warp_exclusive_scan_kernelI6__halfLj32ELj2EENSt9enable_ifIXsr10test_utilsE35device_test_enabled_for_warp_size_vIXT1_EEEvE4typeEPT_S5_S4_.has_indirect_call, 0
	.section	.AMDGPU.csdata,"",@progbits
; Kernel info:
; codeLenInByte = 204
; TotalNumSgprs: 13
; NumVgprs: 7
; ScratchSize: 0
; MemoryBound: 0
; FloatMode: 240
; IeeeMode: 1
; LDSByteSize: 0 bytes/workgroup (compile time only)
; SGPRBlocks: 1
; VGPRBlocks: 1
; NumSGPRsForWavesPerEU: 13
; NumVGPRsForWavesPerEU: 7
; Occupancy: 10
; WaveLimiterHint : 0
; COMPUTE_PGM_RSRC2:SCRATCH_EN: 0
; COMPUTE_PGM_RSRC2:USER_SGPR: 6
; COMPUTE_PGM_RSRC2:TRAP_HANDLER: 0
; COMPUTE_PGM_RSRC2:TGID_X_EN: 1
; COMPUTE_PGM_RSRC2:TGID_Y_EN: 0
; COMPUTE_PGM_RSRC2:TGID_Z_EN: 0
; COMPUTE_PGM_RSRC2:TIDIG_COMP_CNT: 0
	.section	.text._Z26warp_exclusive_scan_kernelI6__halfLj64ELj2EENSt9enable_ifIXsr10test_utilsE35device_test_enabled_for_warp_size_vIXT1_EEEvE4typeEPT_S5_S4_,"axG",@progbits,_Z26warp_exclusive_scan_kernelI6__halfLj64ELj2EENSt9enable_ifIXsr10test_utilsE35device_test_enabled_for_warp_size_vIXT1_EEEvE4typeEPT_S5_S4_,comdat
	.protected	_Z26warp_exclusive_scan_kernelI6__halfLj64ELj2EENSt9enable_ifIXsr10test_utilsE35device_test_enabled_for_warp_size_vIXT1_EEEvE4typeEPT_S5_S4_ ; -- Begin function _Z26warp_exclusive_scan_kernelI6__halfLj64ELj2EENSt9enable_ifIXsr10test_utilsE35device_test_enabled_for_warp_size_vIXT1_EEEvE4typeEPT_S5_S4_
	.globl	_Z26warp_exclusive_scan_kernelI6__halfLj64ELj2EENSt9enable_ifIXsr10test_utilsE35device_test_enabled_for_warp_size_vIXT1_EEEvE4typeEPT_S5_S4_
	.p2align	8
	.type	_Z26warp_exclusive_scan_kernelI6__halfLj64ELj2EENSt9enable_ifIXsr10test_utilsE35device_test_enabled_for_warp_size_vIXT1_EEEvE4typeEPT_S5_S4_,@function
_Z26warp_exclusive_scan_kernelI6__halfLj64ELj2EENSt9enable_ifIXsr10test_utilsE35device_test_enabled_for_warp_size_vIXT1_EEEvE4typeEPT_S5_S4_: ; @_Z26warp_exclusive_scan_kernelI6__halfLj64ELj2EENSt9enable_ifIXsr10test_utilsE35device_test_enabled_for_warp_size_vIXT1_EEEvE4typeEPT_S5_S4_
; %bb.0:
	s_load_dword s7, s[4:5], 0x24
	s_load_dwordx4 s[0:3], s[4:5], 0x0
	s_load_dword s8, s[4:5], 0x10
	v_mov_b32_e32 v1, 0
	s_waitcnt lgkmcnt(0)
	s_and_b32 s4, s7, 0xffff
	s_mul_i32 s6, s6, s4
	v_add_u32_e32 v0, s6, v0
	v_lshlrev_b64 v[0:1], 1, v[0:1]
	v_mov_b32_e32 v3, s1
	v_add_co_u32_e32 v2, vcc, s0, v0
	v_addc_co_u32_e32 v3, vcc, v3, v1, vcc
	global_load_ushort v2, v[2:3], off
	v_mbcnt_lo_u32_b32 v3, -1, 0
	v_mbcnt_hi_u32_b32 v3, -1, v3
	v_add_u32_e32 v5, -1, v3
	v_and_b32_e32 v6, 0x7e, v3
	v_cmp_lt_i32_e32 vcc, v5, v6
	v_and_b32_e32 v4, 1, v3
	v_cndmask_b32_e32 v3, v5, v3, vcc
	v_cmp_eq_u32_e32 vcc, 0, v4
	v_lshlrev_b32_e32 v3, 2, v3
	v_mov_b32_e32 v4, s3
	s_waitcnt vmcnt(0)
	v_and_b32_e32 v5, 0xffff, v2
	s_nop 1
	v_mov_b32_dpp v5, v5 row_shr:1 row_mask:0xf bank_mask:0xf
	v_add_f16_e32 v5, v2, v5
	v_cndmask_b32_e32 v2, v5, v2, vcc
	v_add_f16_e32 v2, s8, v2
	ds_bpermute_b32 v2, v3, v2
	v_mov_b32_e32 v3, s8
	s_waitcnt lgkmcnt(0)
	v_cndmask_b32_e32 v2, v2, v3, vcc
	v_add_co_u32_e32 v0, vcc, s2, v0
	v_addc_co_u32_e32 v1, vcc, v4, v1, vcc
	global_store_short v[0:1], v2, off
	s_endpgm
	.section	.rodata,"a",@progbits
	.p2align	6, 0x0
	.amdhsa_kernel _Z26warp_exclusive_scan_kernelI6__halfLj64ELj2EENSt9enable_ifIXsr10test_utilsE35device_test_enabled_for_warp_size_vIXT1_EEEvE4typeEPT_S5_S4_
		.amdhsa_group_segment_fixed_size 0
		.amdhsa_private_segment_fixed_size 0
		.amdhsa_kernarg_size 280
		.amdhsa_user_sgpr_count 6
		.amdhsa_user_sgpr_private_segment_buffer 1
		.amdhsa_user_sgpr_dispatch_ptr 0
		.amdhsa_user_sgpr_queue_ptr 0
		.amdhsa_user_sgpr_kernarg_segment_ptr 1
		.amdhsa_user_sgpr_dispatch_id 0
		.amdhsa_user_sgpr_flat_scratch_init 0
		.amdhsa_user_sgpr_private_segment_size 0
		.amdhsa_uses_dynamic_stack 0
		.amdhsa_system_sgpr_private_segment_wavefront_offset 0
		.amdhsa_system_sgpr_workgroup_id_x 1
		.amdhsa_system_sgpr_workgroup_id_y 0
		.amdhsa_system_sgpr_workgroup_id_z 0
		.amdhsa_system_sgpr_workgroup_info 0
		.amdhsa_system_vgpr_workitem_id 0
		.amdhsa_next_free_vgpr 7
		.amdhsa_next_free_sgpr 9
		.amdhsa_reserve_vcc 1
		.amdhsa_reserve_flat_scratch 0
		.amdhsa_float_round_mode_32 0
		.amdhsa_float_round_mode_16_64 0
		.amdhsa_float_denorm_mode_32 3
		.amdhsa_float_denorm_mode_16_64 3
		.amdhsa_dx10_clamp 1
		.amdhsa_ieee_mode 1
		.amdhsa_fp16_overflow 0
		.amdhsa_exception_fp_ieee_invalid_op 0
		.amdhsa_exception_fp_denorm_src 0
		.amdhsa_exception_fp_ieee_div_zero 0
		.amdhsa_exception_fp_ieee_overflow 0
		.amdhsa_exception_fp_ieee_underflow 0
		.amdhsa_exception_fp_ieee_inexact 0
		.amdhsa_exception_int_div_zero 0
	.end_amdhsa_kernel
	.section	.text._Z26warp_exclusive_scan_kernelI6__halfLj64ELj2EENSt9enable_ifIXsr10test_utilsE35device_test_enabled_for_warp_size_vIXT1_EEEvE4typeEPT_S5_S4_,"axG",@progbits,_Z26warp_exclusive_scan_kernelI6__halfLj64ELj2EENSt9enable_ifIXsr10test_utilsE35device_test_enabled_for_warp_size_vIXT1_EEEvE4typeEPT_S5_S4_,comdat
.Lfunc_end149:
	.size	_Z26warp_exclusive_scan_kernelI6__halfLj64ELj2EENSt9enable_ifIXsr10test_utilsE35device_test_enabled_for_warp_size_vIXT1_EEEvE4typeEPT_S5_S4_, .Lfunc_end149-_Z26warp_exclusive_scan_kernelI6__halfLj64ELj2EENSt9enable_ifIXsr10test_utilsE35device_test_enabled_for_warp_size_vIXT1_EEEvE4typeEPT_S5_S4_
                                        ; -- End function
	.set _Z26warp_exclusive_scan_kernelI6__halfLj64ELj2EENSt9enable_ifIXsr10test_utilsE35device_test_enabled_for_warp_size_vIXT1_EEEvE4typeEPT_S5_S4_.num_vgpr, 7
	.set _Z26warp_exclusive_scan_kernelI6__halfLj64ELj2EENSt9enable_ifIXsr10test_utilsE35device_test_enabled_for_warp_size_vIXT1_EEEvE4typeEPT_S5_S4_.num_agpr, 0
	.set _Z26warp_exclusive_scan_kernelI6__halfLj64ELj2EENSt9enable_ifIXsr10test_utilsE35device_test_enabled_for_warp_size_vIXT1_EEEvE4typeEPT_S5_S4_.numbered_sgpr, 9
	.set _Z26warp_exclusive_scan_kernelI6__halfLj64ELj2EENSt9enable_ifIXsr10test_utilsE35device_test_enabled_for_warp_size_vIXT1_EEEvE4typeEPT_S5_S4_.num_named_barrier, 0
	.set _Z26warp_exclusive_scan_kernelI6__halfLj64ELj2EENSt9enable_ifIXsr10test_utilsE35device_test_enabled_for_warp_size_vIXT1_EEEvE4typeEPT_S5_S4_.private_seg_size, 0
	.set _Z26warp_exclusive_scan_kernelI6__halfLj64ELj2EENSt9enable_ifIXsr10test_utilsE35device_test_enabled_for_warp_size_vIXT1_EEEvE4typeEPT_S5_S4_.uses_vcc, 1
	.set _Z26warp_exclusive_scan_kernelI6__halfLj64ELj2EENSt9enable_ifIXsr10test_utilsE35device_test_enabled_for_warp_size_vIXT1_EEEvE4typeEPT_S5_S4_.uses_flat_scratch, 0
	.set _Z26warp_exclusive_scan_kernelI6__halfLj64ELj2EENSt9enable_ifIXsr10test_utilsE35device_test_enabled_for_warp_size_vIXT1_EEEvE4typeEPT_S5_S4_.has_dyn_sized_stack, 0
	.set _Z26warp_exclusive_scan_kernelI6__halfLj64ELj2EENSt9enable_ifIXsr10test_utilsE35device_test_enabled_for_warp_size_vIXT1_EEEvE4typeEPT_S5_S4_.has_recursion, 0
	.set _Z26warp_exclusive_scan_kernelI6__halfLj64ELj2EENSt9enable_ifIXsr10test_utilsE35device_test_enabled_for_warp_size_vIXT1_EEEvE4typeEPT_S5_S4_.has_indirect_call, 0
	.section	.AMDGPU.csdata,"",@progbits
; Kernel info:
; codeLenInByte = 204
; TotalNumSgprs: 13
; NumVgprs: 7
; ScratchSize: 0
; MemoryBound: 0
; FloatMode: 240
; IeeeMode: 1
; LDSByteSize: 0 bytes/workgroup (compile time only)
; SGPRBlocks: 1
; VGPRBlocks: 1
; NumSGPRsForWavesPerEU: 13
; NumVGPRsForWavesPerEU: 7
; Occupancy: 10
; WaveLimiterHint : 0
; COMPUTE_PGM_RSRC2:SCRATCH_EN: 0
; COMPUTE_PGM_RSRC2:USER_SGPR: 6
; COMPUTE_PGM_RSRC2:TRAP_HANDLER: 0
; COMPUTE_PGM_RSRC2:TGID_X_EN: 1
; COMPUTE_PGM_RSRC2:TGID_Y_EN: 0
; COMPUTE_PGM_RSRC2:TGID_Z_EN: 0
; COMPUTE_PGM_RSRC2:TIDIG_COMP_CNT: 0
	.section	.text._Z26warp_exclusive_scan_kernelIfLj256ELj64EENSt9enable_ifIXsr10test_utilsE35device_test_enabled_for_warp_size_vIXT1_EEEvE4typeEPT_S4_S3_,"axG",@progbits,_Z26warp_exclusive_scan_kernelIfLj256ELj64EENSt9enable_ifIXsr10test_utilsE35device_test_enabled_for_warp_size_vIXT1_EEEvE4typeEPT_S4_S3_,comdat
	.protected	_Z26warp_exclusive_scan_kernelIfLj256ELj64EENSt9enable_ifIXsr10test_utilsE35device_test_enabled_for_warp_size_vIXT1_EEEvE4typeEPT_S4_S3_ ; -- Begin function _Z26warp_exclusive_scan_kernelIfLj256ELj64EENSt9enable_ifIXsr10test_utilsE35device_test_enabled_for_warp_size_vIXT1_EEEvE4typeEPT_S4_S3_
	.globl	_Z26warp_exclusive_scan_kernelIfLj256ELj64EENSt9enable_ifIXsr10test_utilsE35device_test_enabled_for_warp_size_vIXT1_EEEvE4typeEPT_S4_S3_
	.p2align	8
	.type	_Z26warp_exclusive_scan_kernelIfLj256ELj64EENSt9enable_ifIXsr10test_utilsE35device_test_enabled_for_warp_size_vIXT1_EEEvE4typeEPT_S4_S3_,@function
_Z26warp_exclusive_scan_kernelIfLj256ELj64EENSt9enable_ifIXsr10test_utilsE35device_test_enabled_for_warp_size_vIXT1_EEEvE4typeEPT_S4_S3_: ; @_Z26warp_exclusive_scan_kernelIfLj256ELj64EENSt9enable_ifIXsr10test_utilsE35device_test_enabled_for_warp_size_vIXT1_EEEvE4typeEPT_S4_S3_
; %bb.0:
	s_load_dword s7, s[4:5], 0x24
	s_load_dwordx4 s[0:3], s[4:5], 0x0
	s_load_dword s8, s[4:5], 0x10
	v_mov_b32_e32 v1, 0
	s_waitcnt lgkmcnt(0)
	s_and_b32 s4, s7, 0xffff
	s_mul_i32 s6, s6, s4
	v_add_u32_e32 v0, s6, v0
	v_lshlrev_b64 v[0:1], 2, v[0:1]
	v_mov_b32_e32 v3, s1
	v_add_co_u32_e32 v2, vcc, s0, v0
	v_addc_co_u32_e32 v3, vcc, v3, v1, vcc
	global_load_dword v2, v[2:3], off
	v_mbcnt_lo_u32_b32 v3, -1, 0
	v_mbcnt_hi_u32_b32 v3, -1, v3
	v_and_b32_e32 v6, 64, v3
	v_subrev_co_u32_e32 v8, vcc, 1, v3
	v_cmp_lt_i32_e64 s[0:1], v8, v6
	v_and_b32_e32 v4, 15, v3
	v_cndmask_b32_e64 v6, v8, v3, s[0:1]
	v_cmp_eq_u32_e64 s[0:1], 0, v4
	v_and_b32_e32 v5, 16, v3
	v_lshlrev_b32_e32 v6, 2, v6
	v_mov_b32_e32 v7, s8
	s_waitcnt vmcnt(0)
	v_mov_b32_dpp v8, v2 row_shr:1 row_mask:0xf bank_mask:0xf
	v_add_f32_e32 v8, v2, v8
	v_cndmask_b32_e64 v2, v8, v2, s[0:1]
	v_cmp_lt_u32_e64 s[0:1], 1, v4
	s_nop 0
	v_mov_b32_dpp v8, v2 row_shr:2 row_mask:0xf bank_mask:0xf
	v_add_f32_e32 v8, v2, v8
	v_cndmask_b32_e64 v2, v2, v8, s[0:1]
	v_cmp_lt_u32_e64 s[0:1], 3, v4
	s_nop 0
	;; [unrolled: 5-line block ×3, first 2 shown]
	v_mov_b32_dpp v8, v2 row_shr:8 row_mask:0xf bank_mask:0xf
	v_add_f32_e32 v8, v2, v8
	v_cndmask_b32_e64 v2, v2, v8, s[0:1]
	v_cmp_eq_u32_e64 s[0:1], 0, v5
	s_nop 0
	v_mov_b32_dpp v4, v2 row_bcast:15 row_mask:0xf bank_mask:0xf
	v_add_f32_e32 v4, v2, v4
	v_cndmask_b32_e64 v2, v4, v2, s[0:1]
	v_cmp_lt_u32_e64 s[0:1], 31, v3
	v_mov_b32_e32 v3, s3
	v_mov_b32_dpp v4, v2 row_bcast:31 row_mask:0xf bank_mask:0xf
	v_add_f32_e32 v4, v2, v4
	v_cndmask_b32_e64 v2, v2, v4, s[0:1]
	v_add_f32_e32 v2, s8, v2
	ds_bpermute_b32 v2, v6, v2
	s_waitcnt lgkmcnt(0)
	v_cndmask_b32_e32 v2, v2, v7, vcc
	v_add_co_u32_e32 v0, vcc, s2, v0
	v_addc_co_u32_e32 v1, vcc, v3, v1, vcc
	global_store_dword v[0:1], v2, off
	s_endpgm
	.section	.rodata,"a",@progbits
	.p2align	6, 0x0
	.amdhsa_kernel _Z26warp_exclusive_scan_kernelIfLj256ELj64EENSt9enable_ifIXsr10test_utilsE35device_test_enabled_for_warp_size_vIXT1_EEEvE4typeEPT_S4_S3_
		.amdhsa_group_segment_fixed_size 0
		.amdhsa_private_segment_fixed_size 0
		.amdhsa_kernarg_size 280
		.amdhsa_user_sgpr_count 6
		.amdhsa_user_sgpr_private_segment_buffer 1
		.amdhsa_user_sgpr_dispatch_ptr 0
		.amdhsa_user_sgpr_queue_ptr 0
		.amdhsa_user_sgpr_kernarg_segment_ptr 1
		.amdhsa_user_sgpr_dispatch_id 0
		.amdhsa_user_sgpr_flat_scratch_init 0
		.amdhsa_user_sgpr_private_segment_size 0
		.amdhsa_uses_dynamic_stack 0
		.amdhsa_system_sgpr_private_segment_wavefront_offset 0
		.amdhsa_system_sgpr_workgroup_id_x 1
		.amdhsa_system_sgpr_workgroup_id_y 0
		.amdhsa_system_sgpr_workgroup_id_z 0
		.amdhsa_system_sgpr_workgroup_info 0
		.amdhsa_system_vgpr_workitem_id 0
		.amdhsa_next_free_vgpr 9
		.amdhsa_next_free_sgpr 9
		.amdhsa_reserve_vcc 1
		.amdhsa_reserve_flat_scratch 0
		.amdhsa_float_round_mode_32 0
		.amdhsa_float_round_mode_16_64 0
		.amdhsa_float_denorm_mode_32 3
		.amdhsa_float_denorm_mode_16_64 3
		.amdhsa_dx10_clamp 1
		.amdhsa_ieee_mode 1
		.amdhsa_fp16_overflow 0
		.amdhsa_exception_fp_ieee_invalid_op 0
		.amdhsa_exception_fp_denorm_src 0
		.amdhsa_exception_fp_ieee_div_zero 0
		.amdhsa_exception_fp_ieee_overflow 0
		.amdhsa_exception_fp_ieee_underflow 0
		.amdhsa_exception_fp_ieee_inexact 0
		.amdhsa_exception_int_div_zero 0
	.end_amdhsa_kernel
	.section	.text._Z26warp_exclusive_scan_kernelIfLj256ELj64EENSt9enable_ifIXsr10test_utilsE35device_test_enabled_for_warp_size_vIXT1_EEEvE4typeEPT_S4_S3_,"axG",@progbits,_Z26warp_exclusive_scan_kernelIfLj256ELj64EENSt9enable_ifIXsr10test_utilsE35device_test_enabled_for_warp_size_vIXT1_EEEvE4typeEPT_S4_S3_,comdat
.Lfunc_end150:
	.size	_Z26warp_exclusive_scan_kernelIfLj256ELj64EENSt9enable_ifIXsr10test_utilsE35device_test_enabled_for_warp_size_vIXT1_EEEvE4typeEPT_S4_S3_, .Lfunc_end150-_Z26warp_exclusive_scan_kernelIfLj256ELj64EENSt9enable_ifIXsr10test_utilsE35device_test_enabled_for_warp_size_vIXT1_EEEvE4typeEPT_S4_S3_
                                        ; -- End function
	.set _Z26warp_exclusive_scan_kernelIfLj256ELj64EENSt9enable_ifIXsr10test_utilsE35device_test_enabled_for_warp_size_vIXT1_EEEvE4typeEPT_S4_S3_.num_vgpr, 9
	.set _Z26warp_exclusive_scan_kernelIfLj256ELj64EENSt9enable_ifIXsr10test_utilsE35device_test_enabled_for_warp_size_vIXT1_EEEvE4typeEPT_S4_S3_.num_agpr, 0
	.set _Z26warp_exclusive_scan_kernelIfLj256ELj64EENSt9enable_ifIXsr10test_utilsE35device_test_enabled_for_warp_size_vIXT1_EEEvE4typeEPT_S4_S3_.numbered_sgpr, 9
	.set _Z26warp_exclusive_scan_kernelIfLj256ELj64EENSt9enable_ifIXsr10test_utilsE35device_test_enabled_for_warp_size_vIXT1_EEEvE4typeEPT_S4_S3_.num_named_barrier, 0
	.set _Z26warp_exclusive_scan_kernelIfLj256ELj64EENSt9enable_ifIXsr10test_utilsE35device_test_enabled_for_warp_size_vIXT1_EEEvE4typeEPT_S4_S3_.private_seg_size, 0
	.set _Z26warp_exclusive_scan_kernelIfLj256ELj64EENSt9enable_ifIXsr10test_utilsE35device_test_enabled_for_warp_size_vIXT1_EEEvE4typeEPT_S4_S3_.uses_vcc, 1
	.set _Z26warp_exclusive_scan_kernelIfLj256ELj64EENSt9enable_ifIXsr10test_utilsE35device_test_enabled_for_warp_size_vIXT1_EEEvE4typeEPT_S4_S3_.uses_flat_scratch, 0
	.set _Z26warp_exclusive_scan_kernelIfLj256ELj64EENSt9enable_ifIXsr10test_utilsE35device_test_enabled_for_warp_size_vIXT1_EEEvE4typeEPT_S4_S3_.has_dyn_sized_stack, 0
	.set _Z26warp_exclusive_scan_kernelIfLj256ELj64EENSt9enable_ifIXsr10test_utilsE35device_test_enabled_for_warp_size_vIXT1_EEEvE4typeEPT_S4_S3_.has_recursion, 0
	.set _Z26warp_exclusive_scan_kernelIfLj256ELj64EENSt9enable_ifIXsr10test_utilsE35device_test_enabled_for_warp_size_vIXT1_EEEvE4typeEPT_S4_S3_.has_indirect_call, 0
	.section	.AMDGPU.csdata,"",@progbits
; Kernel info:
; codeLenInByte = 364
; TotalNumSgprs: 13
; NumVgprs: 9
; ScratchSize: 0
; MemoryBound: 0
; FloatMode: 240
; IeeeMode: 1
; LDSByteSize: 0 bytes/workgroup (compile time only)
; SGPRBlocks: 1
; VGPRBlocks: 2
; NumSGPRsForWavesPerEU: 13
; NumVGPRsForWavesPerEU: 9
; Occupancy: 10
; WaveLimiterHint : 0
; COMPUTE_PGM_RSRC2:SCRATCH_EN: 0
; COMPUTE_PGM_RSRC2:USER_SGPR: 6
; COMPUTE_PGM_RSRC2:TRAP_HANDLER: 0
; COMPUTE_PGM_RSRC2:TGID_X_EN: 1
; COMPUTE_PGM_RSRC2:TGID_Y_EN: 0
; COMPUTE_PGM_RSRC2:TGID_Z_EN: 0
; COMPUTE_PGM_RSRC2:TIDIG_COMP_CNT: 0
	.section	.text._Z26warp_exclusive_scan_kernelIfLj128ELj32EENSt9enable_ifIXsr10test_utilsE35device_test_enabled_for_warp_size_vIXT1_EEEvE4typeEPT_S4_S3_,"axG",@progbits,_Z26warp_exclusive_scan_kernelIfLj128ELj32EENSt9enable_ifIXsr10test_utilsE35device_test_enabled_for_warp_size_vIXT1_EEEvE4typeEPT_S4_S3_,comdat
	.protected	_Z26warp_exclusive_scan_kernelIfLj128ELj32EENSt9enable_ifIXsr10test_utilsE35device_test_enabled_for_warp_size_vIXT1_EEEvE4typeEPT_S4_S3_ ; -- Begin function _Z26warp_exclusive_scan_kernelIfLj128ELj32EENSt9enable_ifIXsr10test_utilsE35device_test_enabled_for_warp_size_vIXT1_EEEvE4typeEPT_S4_S3_
	.globl	_Z26warp_exclusive_scan_kernelIfLj128ELj32EENSt9enable_ifIXsr10test_utilsE35device_test_enabled_for_warp_size_vIXT1_EEEvE4typeEPT_S4_S3_
	.p2align	8
	.type	_Z26warp_exclusive_scan_kernelIfLj128ELj32EENSt9enable_ifIXsr10test_utilsE35device_test_enabled_for_warp_size_vIXT1_EEEvE4typeEPT_S4_S3_,@function
_Z26warp_exclusive_scan_kernelIfLj128ELj32EENSt9enable_ifIXsr10test_utilsE35device_test_enabled_for_warp_size_vIXT1_EEEvE4typeEPT_S4_S3_: ; @_Z26warp_exclusive_scan_kernelIfLj128ELj32EENSt9enable_ifIXsr10test_utilsE35device_test_enabled_for_warp_size_vIXT1_EEEvE4typeEPT_S4_S3_
; %bb.0:
	s_load_dword s7, s[4:5], 0x24
	s_load_dwordx4 s[0:3], s[4:5], 0x0
	s_load_dword s8, s[4:5], 0x10
	v_mov_b32_e32 v1, 0
	s_waitcnt lgkmcnt(0)
	s_and_b32 s4, s7, 0xffff
	s_mul_i32 s6, s6, s4
	v_add_u32_e32 v0, s6, v0
	v_lshlrev_b64 v[0:1], 2, v[0:1]
	v_mov_b32_e32 v3, s1
	v_add_co_u32_e32 v2, vcc, s0, v0
	v_addc_co_u32_e32 v3, vcc, v3, v1, vcc
	global_load_dword v2, v[2:3], off
	v_mbcnt_lo_u32_b32 v3, -1, 0
	v_mbcnt_hi_u32_b32 v3, -1, v3
	v_add_u32_e32 v6, -1, v3
	v_and_b32_e32 v7, 0x60, v3
	v_and_b32_e32 v4, 15, v3
	v_cmp_lt_i32_e32 vcc, v6, v7
	v_cndmask_b32_e32 v6, v6, v3, vcc
	v_cmp_eq_u32_e32 vcc, 0, v4
	v_and_b32_e32 v5, 16, v3
	v_lshlrev_b32_e32 v6, 2, v6
	v_and_b32_e32 v3, 31, v3
	s_waitcnt vmcnt(0)
	v_mov_b32_dpp v7, v2 row_shr:1 row_mask:0xf bank_mask:0xf
	v_add_f32_e32 v7, v2, v7
	v_cndmask_b32_e32 v2, v7, v2, vcc
	v_cmp_lt_u32_e32 vcc, 1, v4
	s_nop 0
	v_mov_b32_dpp v7, v2 row_shr:2 row_mask:0xf bank_mask:0xf
	v_add_f32_e32 v7, v2, v7
	v_cndmask_b32_e32 v2, v2, v7, vcc
	v_cmp_lt_u32_e32 vcc, 3, v4
	s_nop 0
	;; [unrolled: 5-line block ×3, first 2 shown]
	v_mov_b32_dpp v7, v2 row_shr:8 row_mask:0xf bank_mask:0xf
	v_add_f32_e32 v7, v2, v7
	v_cndmask_b32_e32 v2, v2, v7, vcc
	v_cmp_eq_u32_e32 vcc, 0, v5
	v_mov_b32_e32 v5, s3
	v_mov_b32_dpp v4, v2 row_bcast:15 row_mask:0xf bank_mask:0xf
	v_add_f32_e32 v4, v2, v4
	v_cndmask_b32_e32 v2, v4, v2, vcc
	v_add_f32_e32 v2, s8, v2
	ds_bpermute_b32 v2, v6, v2
	v_mov_b32_e32 v4, s8
	v_cmp_eq_u32_e32 vcc, 0, v3
	s_waitcnt lgkmcnt(0)
	v_cndmask_b32_e32 v2, v2, v4, vcc
	v_add_co_u32_e32 v0, vcc, s2, v0
	v_addc_co_u32_e32 v1, vcc, v5, v1, vcc
	global_store_dword v[0:1], v2, off
	s_endpgm
	.section	.rodata,"a",@progbits
	.p2align	6, 0x0
	.amdhsa_kernel _Z26warp_exclusive_scan_kernelIfLj128ELj32EENSt9enable_ifIXsr10test_utilsE35device_test_enabled_for_warp_size_vIXT1_EEEvE4typeEPT_S4_S3_
		.amdhsa_group_segment_fixed_size 0
		.amdhsa_private_segment_fixed_size 0
		.amdhsa_kernarg_size 280
		.amdhsa_user_sgpr_count 6
		.amdhsa_user_sgpr_private_segment_buffer 1
		.amdhsa_user_sgpr_dispatch_ptr 0
		.amdhsa_user_sgpr_queue_ptr 0
		.amdhsa_user_sgpr_kernarg_segment_ptr 1
		.amdhsa_user_sgpr_dispatch_id 0
		.amdhsa_user_sgpr_flat_scratch_init 0
		.amdhsa_user_sgpr_private_segment_size 0
		.amdhsa_uses_dynamic_stack 0
		.amdhsa_system_sgpr_private_segment_wavefront_offset 0
		.amdhsa_system_sgpr_workgroup_id_x 1
		.amdhsa_system_sgpr_workgroup_id_y 0
		.amdhsa_system_sgpr_workgroup_id_z 0
		.amdhsa_system_sgpr_workgroup_info 0
		.amdhsa_system_vgpr_workitem_id 0
		.amdhsa_next_free_vgpr 8
		.amdhsa_next_free_sgpr 9
		.amdhsa_reserve_vcc 1
		.amdhsa_reserve_flat_scratch 0
		.amdhsa_float_round_mode_32 0
		.amdhsa_float_round_mode_16_64 0
		.amdhsa_float_denorm_mode_32 3
		.amdhsa_float_denorm_mode_16_64 3
		.amdhsa_dx10_clamp 1
		.amdhsa_ieee_mode 1
		.amdhsa_fp16_overflow 0
		.amdhsa_exception_fp_ieee_invalid_op 0
		.amdhsa_exception_fp_denorm_src 0
		.amdhsa_exception_fp_ieee_div_zero 0
		.amdhsa_exception_fp_ieee_overflow 0
		.amdhsa_exception_fp_ieee_underflow 0
		.amdhsa_exception_fp_ieee_inexact 0
		.amdhsa_exception_int_div_zero 0
	.end_amdhsa_kernel
	.section	.text._Z26warp_exclusive_scan_kernelIfLj128ELj32EENSt9enable_ifIXsr10test_utilsE35device_test_enabled_for_warp_size_vIXT1_EEEvE4typeEPT_S4_S3_,"axG",@progbits,_Z26warp_exclusive_scan_kernelIfLj128ELj32EENSt9enable_ifIXsr10test_utilsE35device_test_enabled_for_warp_size_vIXT1_EEEvE4typeEPT_S4_S3_,comdat
.Lfunc_end151:
	.size	_Z26warp_exclusive_scan_kernelIfLj128ELj32EENSt9enable_ifIXsr10test_utilsE35device_test_enabled_for_warp_size_vIXT1_EEEvE4typeEPT_S4_S3_, .Lfunc_end151-_Z26warp_exclusive_scan_kernelIfLj128ELj32EENSt9enable_ifIXsr10test_utilsE35device_test_enabled_for_warp_size_vIXT1_EEEvE4typeEPT_S4_S3_
                                        ; -- End function
	.set _Z26warp_exclusive_scan_kernelIfLj128ELj32EENSt9enable_ifIXsr10test_utilsE35device_test_enabled_for_warp_size_vIXT1_EEEvE4typeEPT_S4_S3_.num_vgpr, 8
	.set _Z26warp_exclusive_scan_kernelIfLj128ELj32EENSt9enable_ifIXsr10test_utilsE35device_test_enabled_for_warp_size_vIXT1_EEEvE4typeEPT_S4_S3_.num_agpr, 0
	.set _Z26warp_exclusive_scan_kernelIfLj128ELj32EENSt9enable_ifIXsr10test_utilsE35device_test_enabled_for_warp_size_vIXT1_EEEvE4typeEPT_S4_S3_.numbered_sgpr, 9
	.set _Z26warp_exclusive_scan_kernelIfLj128ELj32EENSt9enable_ifIXsr10test_utilsE35device_test_enabled_for_warp_size_vIXT1_EEEvE4typeEPT_S4_S3_.num_named_barrier, 0
	.set _Z26warp_exclusive_scan_kernelIfLj128ELj32EENSt9enable_ifIXsr10test_utilsE35device_test_enabled_for_warp_size_vIXT1_EEEvE4typeEPT_S4_S3_.private_seg_size, 0
	.set _Z26warp_exclusive_scan_kernelIfLj128ELj32EENSt9enable_ifIXsr10test_utilsE35device_test_enabled_for_warp_size_vIXT1_EEEvE4typeEPT_S4_S3_.uses_vcc, 1
	.set _Z26warp_exclusive_scan_kernelIfLj128ELj32EENSt9enable_ifIXsr10test_utilsE35device_test_enabled_for_warp_size_vIXT1_EEEvE4typeEPT_S4_S3_.uses_flat_scratch, 0
	.set _Z26warp_exclusive_scan_kernelIfLj128ELj32EENSt9enable_ifIXsr10test_utilsE35device_test_enabled_for_warp_size_vIXT1_EEEvE4typeEPT_S4_S3_.has_dyn_sized_stack, 0
	.set _Z26warp_exclusive_scan_kernelIfLj128ELj32EENSt9enable_ifIXsr10test_utilsE35device_test_enabled_for_warp_size_vIXT1_EEEvE4typeEPT_S4_S3_.has_recursion, 0
	.set _Z26warp_exclusive_scan_kernelIfLj128ELj32EENSt9enable_ifIXsr10test_utilsE35device_test_enabled_for_warp_size_vIXT1_EEEvE4typeEPT_S4_S3_.has_indirect_call, 0
	.section	.AMDGPU.csdata,"",@progbits
; Kernel info:
; codeLenInByte = 296
; TotalNumSgprs: 13
; NumVgprs: 8
; ScratchSize: 0
; MemoryBound: 0
; FloatMode: 240
; IeeeMode: 1
; LDSByteSize: 0 bytes/workgroup (compile time only)
; SGPRBlocks: 1
; VGPRBlocks: 1
; NumSGPRsForWavesPerEU: 13
; NumVGPRsForWavesPerEU: 8
; Occupancy: 10
; WaveLimiterHint : 0
; COMPUTE_PGM_RSRC2:SCRATCH_EN: 0
; COMPUTE_PGM_RSRC2:USER_SGPR: 6
; COMPUTE_PGM_RSRC2:TRAP_HANDLER: 0
; COMPUTE_PGM_RSRC2:TGID_X_EN: 1
; COMPUTE_PGM_RSRC2:TGID_Y_EN: 0
; COMPUTE_PGM_RSRC2:TGID_Z_EN: 0
; COMPUTE_PGM_RSRC2:TIDIG_COMP_CNT: 0
	.section	.text._Z26warp_exclusive_scan_kernelIfLj64ELj16EENSt9enable_ifIXsr10test_utilsE35device_test_enabled_for_warp_size_vIXT1_EEEvE4typeEPT_S4_S3_,"axG",@progbits,_Z26warp_exclusive_scan_kernelIfLj64ELj16EENSt9enable_ifIXsr10test_utilsE35device_test_enabled_for_warp_size_vIXT1_EEEvE4typeEPT_S4_S3_,comdat
	.protected	_Z26warp_exclusive_scan_kernelIfLj64ELj16EENSt9enable_ifIXsr10test_utilsE35device_test_enabled_for_warp_size_vIXT1_EEEvE4typeEPT_S4_S3_ ; -- Begin function _Z26warp_exclusive_scan_kernelIfLj64ELj16EENSt9enable_ifIXsr10test_utilsE35device_test_enabled_for_warp_size_vIXT1_EEEvE4typeEPT_S4_S3_
	.globl	_Z26warp_exclusive_scan_kernelIfLj64ELj16EENSt9enable_ifIXsr10test_utilsE35device_test_enabled_for_warp_size_vIXT1_EEEvE4typeEPT_S4_S3_
	.p2align	8
	.type	_Z26warp_exclusive_scan_kernelIfLj64ELj16EENSt9enable_ifIXsr10test_utilsE35device_test_enabled_for_warp_size_vIXT1_EEEvE4typeEPT_S4_S3_,@function
_Z26warp_exclusive_scan_kernelIfLj64ELj16EENSt9enable_ifIXsr10test_utilsE35device_test_enabled_for_warp_size_vIXT1_EEEvE4typeEPT_S4_S3_: ; @_Z26warp_exclusive_scan_kernelIfLj64ELj16EENSt9enable_ifIXsr10test_utilsE35device_test_enabled_for_warp_size_vIXT1_EEEvE4typeEPT_S4_S3_
; %bb.0:
	s_load_dword s7, s[4:5], 0x24
	s_load_dwordx4 s[0:3], s[4:5], 0x0
	s_load_dword s8, s[4:5], 0x10
	v_mov_b32_e32 v1, 0
	s_waitcnt lgkmcnt(0)
	s_and_b32 s4, s7, 0xffff
	s_mul_i32 s6, s6, s4
	v_add_u32_e32 v0, s6, v0
	v_lshlrev_b64 v[0:1], 2, v[0:1]
	v_mov_b32_e32 v3, s1
	v_add_co_u32_e32 v2, vcc, s0, v0
	v_addc_co_u32_e32 v3, vcc, v3, v1, vcc
	global_load_dword v2, v[2:3], off
	v_mbcnt_lo_u32_b32 v3, -1, 0
	v_mbcnt_hi_u32_b32 v3, -1, v3
	v_add_u32_e32 v5, -1, v3
	v_and_b32_e32 v6, 0x70, v3
	v_cmp_lt_i32_e32 vcc, v5, v6
	v_and_b32_e32 v4, 15, v3
	v_cndmask_b32_e32 v3, v5, v3, vcc
	v_cmp_eq_u32_e32 vcc, 0, v4
	v_cmp_lt_u32_e64 s[0:1], 1, v4
	v_lshlrev_b32_e32 v3, 2, v3
	s_waitcnt vmcnt(0)
	v_mov_b32_dpp v5, v2 row_shr:1 row_mask:0xf bank_mask:0xf
	v_add_f32_e32 v5, v2, v5
	v_cndmask_b32_e32 v2, v5, v2, vcc
	s_nop 1
	v_mov_b32_dpp v5, v2 row_shr:2 row_mask:0xf bank_mask:0xf
	v_add_f32_e32 v5, v2, v5
	v_cndmask_b32_e64 v2, v2, v5, s[0:1]
	v_cmp_lt_u32_e64 s[0:1], 3, v4
	s_nop 0
	v_mov_b32_dpp v5, v2 row_shr:4 row_mask:0xf bank_mask:0xf
	v_add_f32_e32 v5, v2, v5
	v_cndmask_b32_e64 v2, v2, v5, s[0:1]
	v_cmp_lt_u32_e64 s[0:1], 7, v4
	v_mov_b32_e32 v4, s3
	v_mov_b32_dpp v5, v2 row_shr:8 row_mask:0xf bank_mask:0xf
	v_add_f32_e32 v5, v2, v5
	v_cndmask_b32_e64 v2, v2, v5, s[0:1]
	v_add_f32_e32 v2, s8, v2
	ds_bpermute_b32 v2, v3, v2
	v_mov_b32_e32 v3, s8
	s_waitcnt lgkmcnt(0)
	v_cndmask_b32_e32 v2, v2, v3, vcc
	v_add_co_u32_e32 v0, vcc, s2, v0
	v_addc_co_u32_e32 v1, vcc, v4, v1, vcc
	global_store_dword v[0:1], v2, off
	s_endpgm
	.section	.rodata,"a",@progbits
	.p2align	6, 0x0
	.amdhsa_kernel _Z26warp_exclusive_scan_kernelIfLj64ELj16EENSt9enable_ifIXsr10test_utilsE35device_test_enabled_for_warp_size_vIXT1_EEEvE4typeEPT_S4_S3_
		.amdhsa_group_segment_fixed_size 0
		.amdhsa_private_segment_fixed_size 0
		.amdhsa_kernarg_size 280
		.amdhsa_user_sgpr_count 6
		.amdhsa_user_sgpr_private_segment_buffer 1
		.amdhsa_user_sgpr_dispatch_ptr 0
		.amdhsa_user_sgpr_queue_ptr 0
		.amdhsa_user_sgpr_kernarg_segment_ptr 1
		.amdhsa_user_sgpr_dispatch_id 0
		.amdhsa_user_sgpr_flat_scratch_init 0
		.amdhsa_user_sgpr_private_segment_size 0
		.amdhsa_uses_dynamic_stack 0
		.amdhsa_system_sgpr_private_segment_wavefront_offset 0
		.amdhsa_system_sgpr_workgroup_id_x 1
		.amdhsa_system_sgpr_workgroup_id_y 0
		.amdhsa_system_sgpr_workgroup_id_z 0
		.amdhsa_system_sgpr_workgroup_info 0
		.amdhsa_system_vgpr_workitem_id 0
		.amdhsa_next_free_vgpr 7
		.amdhsa_next_free_sgpr 9
		.amdhsa_reserve_vcc 1
		.amdhsa_reserve_flat_scratch 0
		.amdhsa_float_round_mode_32 0
		.amdhsa_float_round_mode_16_64 0
		.amdhsa_float_denorm_mode_32 3
		.amdhsa_float_denorm_mode_16_64 3
		.amdhsa_dx10_clamp 1
		.amdhsa_ieee_mode 1
		.amdhsa_fp16_overflow 0
		.amdhsa_exception_fp_ieee_invalid_op 0
		.amdhsa_exception_fp_denorm_src 0
		.amdhsa_exception_fp_ieee_div_zero 0
		.amdhsa_exception_fp_ieee_overflow 0
		.amdhsa_exception_fp_ieee_underflow 0
		.amdhsa_exception_fp_ieee_inexact 0
		.amdhsa_exception_int_div_zero 0
	.end_amdhsa_kernel
	.section	.text._Z26warp_exclusive_scan_kernelIfLj64ELj16EENSt9enable_ifIXsr10test_utilsE35device_test_enabled_for_warp_size_vIXT1_EEEvE4typeEPT_S4_S3_,"axG",@progbits,_Z26warp_exclusive_scan_kernelIfLj64ELj16EENSt9enable_ifIXsr10test_utilsE35device_test_enabled_for_warp_size_vIXT1_EEEvE4typeEPT_S4_S3_,comdat
.Lfunc_end152:
	.size	_Z26warp_exclusive_scan_kernelIfLj64ELj16EENSt9enable_ifIXsr10test_utilsE35device_test_enabled_for_warp_size_vIXT1_EEEvE4typeEPT_S4_S3_, .Lfunc_end152-_Z26warp_exclusive_scan_kernelIfLj64ELj16EENSt9enable_ifIXsr10test_utilsE35device_test_enabled_for_warp_size_vIXT1_EEEvE4typeEPT_S4_S3_
                                        ; -- End function
	.set _Z26warp_exclusive_scan_kernelIfLj64ELj16EENSt9enable_ifIXsr10test_utilsE35device_test_enabled_for_warp_size_vIXT1_EEEvE4typeEPT_S4_S3_.num_vgpr, 7
	.set _Z26warp_exclusive_scan_kernelIfLj64ELj16EENSt9enable_ifIXsr10test_utilsE35device_test_enabled_for_warp_size_vIXT1_EEEvE4typeEPT_S4_S3_.num_agpr, 0
	.set _Z26warp_exclusive_scan_kernelIfLj64ELj16EENSt9enable_ifIXsr10test_utilsE35device_test_enabled_for_warp_size_vIXT1_EEEvE4typeEPT_S4_S3_.numbered_sgpr, 9
	.set _Z26warp_exclusive_scan_kernelIfLj64ELj16EENSt9enable_ifIXsr10test_utilsE35device_test_enabled_for_warp_size_vIXT1_EEEvE4typeEPT_S4_S3_.num_named_barrier, 0
	.set _Z26warp_exclusive_scan_kernelIfLj64ELj16EENSt9enable_ifIXsr10test_utilsE35device_test_enabled_for_warp_size_vIXT1_EEEvE4typeEPT_S4_S3_.private_seg_size, 0
	.set _Z26warp_exclusive_scan_kernelIfLj64ELj16EENSt9enable_ifIXsr10test_utilsE35device_test_enabled_for_warp_size_vIXT1_EEEvE4typeEPT_S4_S3_.uses_vcc, 1
	.set _Z26warp_exclusive_scan_kernelIfLj64ELj16EENSt9enable_ifIXsr10test_utilsE35device_test_enabled_for_warp_size_vIXT1_EEEvE4typeEPT_S4_S3_.uses_flat_scratch, 0
	.set _Z26warp_exclusive_scan_kernelIfLj64ELj16EENSt9enable_ifIXsr10test_utilsE35device_test_enabled_for_warp_size_vIXT1_EEEvE4typeEPT_S4_S3_.has_dyn_sized_stack, 0
	.set _Z26warp_exclusive_scan_kernelIfLj64ELj16EENSt9enable_ifIXsr10test_utilsE35device_test_enabled_for_warp_size_vIXT1_EEEvE4typeEPT_S4_S3_.has_recursion, 0
	.set _Z26warp_exclusive_scan_kernelIfLj64ELj16EENSt9enable_ifIXsr10test_utilsE35device_test_enabled_for_warp_size_vIXT1_EEEvE4typeEPT_S4_S3_.has_indirect_call, 0
	.section	.AMDGPU.csdata,"",@progbits
; Kernel info:
; codeLenInByte = 284
; TotalNumSgprs: 13
; NumVgprs: 7
; ScratchSize: 0
; MemoryBound: 0
; FloatMode: 240
; IeeeMode: 1
; LDSByteSize: 0 bytes/workgroup (compile time only)
; SGPRBlocks: 1
; VGPRBlocks: 1
; NumSGPRsForWavesPerEU: 13
; NumVGPRsForWavesPerEU: 7
; Occupancy: 10
; WaveLimiterHint : 0
; COMPUTE_PGM_RSRC2:SCRATCH_EN: 0
; COMPUTE_PGM_RSRC2:USER_SGPR: 6
; COMPUTE_PGM_RSRC2:TRAP_HANDLER: 0
; COMPUTE_PGM_RSRC2:TGID_X_EN: 1
; COMPUTE_PGM_RSRC2:TGID_Y_EN: 0
; COMPUTE_PGM_RSRC2:TGID_Z_EN: 0
; COMPUTE_PGM_RSRC2:TIDIG_COMP_CNT: 0
	.section	.text._Z26warp_exclusive_scan_kernelIfLj32ELj8EENSt9enable_ifIXsr10test_utilsE35device_test_enabled_for_warp_size_vIXT1_EEEvE4typeEPT_S4_S3_,"axG",@progbits,_Z26warp_exclusive_scan_kernelIfLj32ELj8EENSt9enable_ifIXsr10test_utilsE35device_test_enabled_for_warp_size_vIXT1_EEEvE4typeEPT_S4_S3_,comdat
	.protected	_Z26warp_exclusive_scan_kernelIfLj32ELj8EENSt9enable_ifIXsr10test_utilsE35device_test_enabled_for_warp_size_vIXT1_EEEvE4typeEPT_S4_S3_ ; -- Begin function _Z26warp_exclusive_scan_kernelIfLj32ELj8EENSt9enable_ifIXsr10test_utilsE35device_test_enabled_for_warp_size_vIXT1_EEEvE4typeEPT_S4_S3_
	.globl	_Z26warp_exclusive_scan_kernelIfLj32ELj8EENSt9enable_ifIXsr10test_utilsE35device_test_enabled_for_warp_size_vIXT1_EEEvE4typeEPT_S4_S3_
	.p2align	8
	.type	_Z26warp_exclusive_scan_kernelIfLj32ELj8EENSt9enable_ifIXsr10test_utilsE35device_test_enabled_for_warp_size_vIXT1_EEEvE4typeEPT_S4_S3_,@function
_Z26warp_exclusive_scan_kernelIfLj32ELj8EENSt9enable_ifIXsr10test_utilsE35device_test_enabled_for_warp_size_vIXT1_EEEvE4typeEPT_S4_S3_: ; @_Z26warp_exclusive_scan_kernelIfLj32ELj8EENSt9enable_ifIXsr10test_utilsE35device_test_enabled_for_warp_size_vIXT1_EEEvE4typeEPT_S4_S3_
; %bb.0:
	s_load_dword s7, s[4:5], 0x24
	s_load_dwordx4 s[0:3], s[4:5], 0x0
	s_load_dword s8, s[4:5], 0x10
	v_mov_b32_e32 v1, 0
	s_waitcnt lgkmcnt(0)
	s_and_b32 s4, s7, 0xffff
	s_mul_i32 s6, s6, s4
	v_add_u32_e32 v0, s6, v0
	v_lshlrev_b64 v[0:1], 2, v[0:1]
	v_mov_b32_e32 v3, s1
	v_add_co_u32_e32 v2, vcc, s0, v0
	v_addc_co_u32_e32 v3, vcc, v3, v1, vcc
	global_load_dword v2, v[2:3], off
	v_mbcnt_lo_u32_b32 v3, -1, 0
	v_mbcnt_hi_u32_b32 v3, -1, v3
	v_add_u32_e32 v5, -1, v3
	v_and_b32_e32 v6, 0x78, v3
	v_cmp_lt_i32_e32 vcc, v5, v6
	v_and_b32_e32 v4, 7, v3
	v_cndmask_b32_e32 v3, v5, v3, vcc
	v_cmp_eq_u32_e32 vcc, 0, v4
	v_cmp_lt_u32_e64 s[0:1], 1, v4
	v_lshlrev_b32_e32 v3, 2, v3
	s_waitcnt vmcnt(0)
	v_mov_b32_dpp v5, v2 row_shr:1 row_mask:0xf bank_mask:0xf
	v_add_f32_e32 v5, v2, v5
	v_cndmask_b32_e32 v2, v5, v2, vcc
	s_nop 1
	v_mov_b32_dpp v5, v2 row_shr:2 row_mask:0xf bank_mask:0xf
	v_add_f32_e32 v5, v2, v5
	v_cndmask_b32_e64 v2, v2, v5, s[0:1]
	v_cmp_lt_u32_e64 s[0:1], 3, v4
	v_mov_b32_e32 v4, s3
	v_mov_b32_dpp v5, v2 row_shr:4 row_mask:0xf bank_mask:0xf
	v_add_f32_e32 v5, v2, v5
	v_cndmask_b32_e64 v2, v2, v5, s[0:1]
	v_add_f32_e32 v2, s8, v2
	ds_bpermute_b32 v2, v3, v2
	v_mov_b32_e32 v3, s8
	s_waitcnt lgkmcnt(0)
	v_cndmask_b32_e32 v2, v2, v3, vcc
	v_add_co_u32_e32 v0, vcc, s2, v0
	v_addc_co_u32_e32 v1, vcc, v4, v1, vcc
	global_store_dword v[0:1], v2, off
	s_endpgm
	.section	.rodata,"a",@progbits
	.p2align	6, 0x0
	.amdhsa_kernel _Z26warp_exclusive_scan_kernelIfLj32ELj8EENSt9enable_ifIXsr10test_utilsE35device_test_enabled_for_warp_size_vIXT1_EEEvE4typeEPT_S4_S3_
		.amdhsa_group_segment_fixed_size 0
		.amdhsa_private_segment_fixed_size 0
		.amdhsa_kernarg_size 280
		.amdhsa_user_sgpr_count 6
		.amdhsa_user_sgpr_private_segment_buffer 1
		.amdhsa_user_sgpr_dispatch_ptr 0
		.amdhsa_user_sgpr_queue_ptr 0
		.amdhsa_user_sgpr_kernarg_segment_ptr 1
		.amdhsa_user_sgpr_dispatch_id 0
		.amdhsa_user_sgpr_flat_scratch_init 0
		.amdhsa_user_sgpr_private_segment_size 0
		.amdhsa_uses_dynamic_stack 0
		.amdhsa_system_sgpr_private_segment_wavefront_offset 0
		.amdhsa_system_sgpr_workgroup_id_x 1
		.amdhsa_system_sgpr_workgroup_id_y 0
		.amdhsa_system_sgpr_workgroup_id_z 0
		.amdhsa_system_sgpr_workgroup_info 0
		.amdhsa_system_vgpr_workitem_id 0
		.amdhsa_next_free_vgpr 7
		.amdhsa_next_free_sgpr 9
		.amdhsa_reserve_vcc 1
		.amdhsa_reserve_flat_scratch 0
		.amdhsa_float_round_mode_32 0
		.amdhsa_float_round_mode_16_64 0
		.amdhsa_float_denorm_mode_32 3
		.amdhsa_float_denorm_mode_16_64 3
		.amdhsa_dx10_clamp 1
		.amdhsa_ieee_mode 1
		.amdhsa_fp16_overflow 0
		.amdhsa_exception_fp_ieee_invalid_op 0
		.amdhsa_exception_fp_denorm_src 0
		.amdhsa_exception_fp_ieee_div_zero 0
		.amdhsa_exception_fp_ieee_overflow 0
		.amdhsa_exception_fp_ieee_underflow 0
		.amdhsa_exception_fp_ieee_inexact 0
		.amdhsa_exception_int_div_zero 0
	.end_amdhsa_kernel
	.section	.text._Z26warp_exclusive_scan_kernelIfLj32ELj8EENSt9enable_ifIXsr10test_utilsE35device_test_enabled_for_warp_size_vIXT1_EEEvE4typeEPT_S4_S3_,"axG",@progbits,_Z26warp_exclusive_scan_kernelIfLj32ELj8EENSt9enable_ifIXsr10test_utilsE35device_test_enabled_for_warp_size_vIXT1_EEEvE4typeEPT_S4_S3_,comdat
.Lfunc_end153:
	.size	_Z26warp_exclusive_scan_kernelIfLj32ELj8EENSt9enable_ifIXsr10test_utilsE35device_test_enabled_for_warp_size_vIXT1_EEEvE4typeEPT_S4_S3_, .Lfunc_end153-_Z26warp_exclusive_scan_kernelIfLj32ELj8EENSt9enable_ifIXsr10test_utilsE35device_test_enabled_for_warp_size_vIXT1_EEEvE4typeEPT_S4_S3_
                                        ; -- End function
	.set _Z26warp_exclusive_scan_kernelIfLj32ELj8EENSt9enable_ifIXsr10test_utilsE35device_test_enabled_for_warp_size_vIXT1_EEEvE4typeEPT_S4_S3_.num_vgpr, 7
	.set _Z26warp_exclusive_scan_kernelIfLj32ELj8EENSt9enable_ifIXsr10test_utilsE35device_test_enabled_for_warp_size_vIXT1_EEEvE4typeEPT_S4_S3_.num_agpr, 0
	.set _Z26warp_exclusive_scan_kernelIfLj32ELj8EENSt9enable_ifIXsr10test_utilsE35device_test_enabled_for_warp_size_vIXT1_EEEvE4typeEPT_S4_S3_.numbered_sgpr, 9
	.set _Z26warp_exclusive_scan_kernelIfLj32ELj8EENSt9enable_ifIXsr10test_utilsE35device_test_enabled_for_warp_size_vIXT1_EEEvE4typeEPT_S4_S3_.num_named_barrier, 0
	.set _Z26warp_exclusive_scan_kernelIfLj32ELj8EENSt9enable_ifIXsr10test_utilsE35device_test_enabled_for_warp_size_vIXT1_EEEvE4typeEPT_S4_S3_.private_seg_size, 0
	.set _Z26warp_exclusive_scan_kernelIfLj32ELj8EENSt9enable_ifIXsr10test_utilsE35device_test_enabled_for_warp_size_vIXT1_EEEvE4typeEPT_S4_S3_.uses_vcc, 1
	.set _Z26warp_exclusive_scan_kernelIfLj32ELj8EENSt9enable_ifIXsr10test_utilsE35device_test_enabled_for_warp_size_vIXT1_EEEvE4typeEPT_S4_S3_.uses_flat_scratch, 0
	.set _Z26warp_exclusive_scan_kernelIfLj32ELj8EENSt9enable_ifIXsr10test_utilsE35device_test_enabled_for_warp_size_vIXT1_EEEvE4typeEPT_S4_S3_.has_dyn_sized_stack, 0
	.set _Z26warp_exclusive_scan_kernelIfLj32ELj8EENSt9enable_ifIXsr10test_utilsE35device_test_enabled_for_warp_size_vIXT1_EEEvE4typeEPT_S4_S3_.has_recursion, 0
	.set _Z26warp_exclusive_scan_kernelIfLj32ELj8EENSt9enable_ifIXsr10test_utilsE35device_test_enabled_for_warp_size_vIXT1_EEEvE4typeEPT_S4_S3_.has_indirect_call, 0
	.section	.AMDGPU.csdata,"",@progbits
; Kernel info:
; codeLenInByte = 252
; TotalNumSgprs: 13
; NumVgprs: 7
; ScratchSize: 0
; MemoryBound: 0
; FloatMode: 240
; IeeeMode: 1
; LDSByteSize: 0 bytes/workgroup (compile time only)
; SGPRBlocks: 1
; VGPRBlocks: 1
; NumSGPRsForWavesPerEU: 13
; NumVGPRsForWavesPerEU: 7
; Occupancy: 10
; WaveLimiterHint : 0
; COMPUTE_PGM_RSRC2:SCRATCH_EN: 0
; COMPUTE_PGM_RSRC2:USER_SGPR: 6
; COMPUTE_PGM_RSRC2:TRAP_HANDLER: 0
; COMPUTE_PGM_RSRC2:TGID_X_EN: 1
; COMPUTE_PGM_RSRC2:TGID_Y_EN: 0
; COMPUTE_PGM_RSRC2:TGID_Z_EN: 0
; COMPUTE_PGM_RSRC2:TIDIG_COMP_CNT: 0
	.section	.text._Z26warp_exclusive_scan_kernelIfLj64ELj8EENSt9enable_ifIXsr10test_utilsE35device_test_enabled_for_warp_size_vIXT1_EEEvE4typeEPT_S4_S3_,"axG",@progbits,_Z26warp_exclusive_scan_kernelIfLj64ELj8EENSt9enable_ifIXsr10test_utilsE35device_test_enabled_for_warp_size_vIXT1_EEEvE4typeEPT_S4_S3_,comdat
	.protected	_Z26warp_exclusive_scan_kernelIfLj64ELj8EENSt9enable_ifIXsr10test_utilsE35device_test_enabled_for_warp_size_vIXT1_EEEvE4typeEPT_S4_S3_ ; -- Begin function _Z26warp_exclusive_scan_kernelIfLj64ELj8EENSt9enable_ifIXsr10test_utilsE35device_test_enabled_for_warp_size_vIXT1_EEEvE4typeEPT_S4_S3_
	.globl	_Z26warp_exclusive_scan_kernelIfLj64ELj8EENSt9enable_ifIXsr10test_utilsE35device_test_enabled_for_warp_size_vIXT1_EEEvE4typeEPT_S4_S3_
	.p2align	8
	.type	_Z26warp_exclusive_scan_kernelIfLj64ELj8EENSt9enable_ifIXsr10test_utilsE35device_test_enabled_for_warp_size_vIXT1_EEEvE4typeEPT_S4_S3_,@function
_Z26warp_exclusive_scan_kernelIfLj64ELj8EENSt9enable_ifIXsr10test_utilsE35device_test_enabled_for_warp_size_vIXT1_EEEvE4typeEPT_S4_S3_: ; @_Z26warp_exclusive_scan_kernelIfLj64ELj8EENSt9enable_ifIXsr10test_utilsE35device_test_enabled_for_warp_size_vIXT1_EEEvE4typeEPT_S4_S3_
; %bb.0:
	s_load_dword s7, s[4:5], 0x24
	s_load_dwordx4 s[0:3], s[4:5], 0x0
	s_load_dword s8, s[4:5], 0x10
	v_mov_b32_e32 v1, 0
	s_waitcnt lgkmcnt(0)
	s_and_b32 s4, s7, 0xffff
	s_mul_i32 s6, s6, s4
	v_add_u32_e32 v0, s6, v0
	v_lshlrev_b64 v[0:1], 2, v[0:1]
	v_mov_b32_e32 v3, s1
	v_add_co_u32_e32 v2, vcc, s0, v0
	v_addc_co_u32_e32 v3, vcc, v3, v1, vcc
	global_load_dword v2, v[2:3], off
	v_mbcnt_lo_u32_b32 v3, -1, 0
	v_mbcnt_hi_u32_b32 v3, -1, v3
	v_add_u32_e32 v5, -1, v3
	v_and_b32_e32 v6, 0x78, v3
	v_cmp_lt_i32_e32 vcc, v5, v6
	v_and_b32_e32 v4, 7, v3
	v_cndmask_b32_e32 v3, v5, v3, vcc
	v_cmp_eq_u32_e32 vcc, 0, v4
	v_cmp_lt_u32_e64 s[0:1], 1, v4
	v_lshlrev_b32_e32 v3, 2, v3
	s_waitcnt vmcnt(0)
	v_mov_b32_dpp v5, v2 row_shr:1 row_mask:0xf bank_mask:0xf
	v_add_f32_e32 v5, v2, v5
	v_cndmask_b32_e32 v2, v5, v2, vcc
	s_nop 1
	v_mov_b32_dpp v5, v2 row_shr:2 row_mask:0xf bank_mask:0xf
	v_add_f32_e32 v5, v2, v5
	v_cndmask_b32_e64 v2, v2, v5, s[0:1]
	v_cmp_lt_u32_e64 s[0:1], 3, v4
	v_mov_b32_e32 v4, s3
	v_mov_b32_dpp v5, v2 row_shr:4 row_mask:0xf bank_mask:0xf
	v_add_f32_e32 v5, v2, v5
	v_cndmask_b32_e64 v2, v2, v5, s[0:1]
	v_add_f32_e32 v2, s8, v2
	ds_bpermute_b32 v2, v3, v2
	v_mov_b32_e32 v3, s8
	s_waitcnt lgkmcnt(0)
	v_cndmask_b32_e32 v2, v2, v3, vcc
	v_add_co_u32_e32 v0, vcc, s2, v0
	v_addc_co_u32_e32 v1, vcc, v4, v1, vcc
	global_store_dword v[0:1], v2, off
	s_endpgm
	.section	.rodata,"a",@progbits
	.p2align	6, 0x0
	.amdhsa_kernel _Z26warp_exclusive_scan_kernelIfLj64ELj8EENSt9enable_ifIXsr10test_utilsE35device_test_enabled_for_warp_size_vIXT1_EEEvE4typeEPT_S4_S3_
		.amdhsa_group_segment_fixed_size 0
		.amdhsa_private_segment_fixed_size 0
		.amdhsa_kernarg_size 280
		.amdhsa_user_sgpr_count 6
		.amdhsa_user_sgpr_private_segment_buffer 1
		.amdhsa_user_sgpr_dispatch_ptr 0
		.amdhsa_user_sgpr_queue_ptr 0
		.amdhsa_user_sgpr_kernarg_segment_ptr 1
		.amdhsa_user_sgpr_dispatch_id 0
		.amdhsa_user_sgpr_flat_scratch_init 0
		.amdhsa_user_sgpr_private_segment_size 0
		.amdhsa_uses_dynamic_stack 0
		.amdhsa_system_sgpr_private_segment_wavefront_offset 0
		.amdhsa_system_sgpr_workgroup_id_x 1
		.amdhsa_system_sgpr_workgroup_id_y 0
		.amdhsa_system_sgpr_workgroup_id_z 0
		.amdhsa_system_sgpr_workgroup_info 0
		.amdhsa_system_vgpr_workitem_id 0
		.amdhsa_next_free_vgpr 7
		.amdhsa_next_free_sgpr 9
		.amdhsa_reserve_vcc 1
		.amdhsa_reserve_flat_scratch 0
		.amdhsa_float_round_mode_32 0
		.amdhsa_float_round_mode_16_64 0
		.amdhsa_float_denorm_mode_32 3
		.amdhsa_float_denorm_mode_16_64 3
		.amdhsa_dx10_clamp 1
		.amdhsa_ieee_mode 1
		.amdhsa_fp16_overflow 0
		.amdhsa_exception_fp_ieee_invalid_op 0
		.amdhsa_exception_fp_denorm_src 0
		.amdhsa_exception_fp_ieee_div_zero 0
		.amdhsa_exception_fp_ieee_overflow 0
		.amdhsa_exception_fp_ieee_underflow 0
		.amdhsa_exception_fp_ieee_inexact 0
		.amdhsa_exception_int_div_zero 0
	.end_amdhsa_kernel
	.section	.text._Z26warp_exclusive_scan_kernelIfLj64ELj8EENSt9enable_ifIXsr10test_utilsE35device_test_enabled_for_warp_size_vIXT1_EEEvE4typeEPT_S4_S3_,"axG",@progbits,_Z26warp_exclusive_scan_kernelIfLj64ELj8EENSt9enable_ifIXsr10test_utilsE35device_test_enabled_for_warp_size_vIXT1_EEEvE4typeEPT_S4_S3_,comdat
.Lfunc_end154:
	.size	_Z26warp_exclusive_scan_kernelIfLj64ELj8EENSt9enable_ifIXsr10test_utilsE35device_test_enabled_for_warp_size_vIXT1_EEEvE4typeEPT_S4_S3_, .Lfunc_end154-_Z26warp_exclusive_scan_kernelIfLj64ELj8EENSt9enable_ifIXsr10test_utilsE35device_test_enabled_for_warp_size_vIXT1_EEEvE4typeEPT_S4_S3_
                                        ; -- End function
	.set _Z26warp_exclusive_scan_kernelIfLj64ELj8EENSt9enable_ifIXsr10test_utilsE35device_test_enabled_for_warp_size_vIXT1_EEEvE4typeEPT_S4_S3_.num_vgpr, 7
	.set _Z26warp_exclusive_scan_kernelIfLj64ELj8EENSt9enable_ifIXsr10test_utilsE35device_test_enabled_for_warp_size_vIXT1_EEEvE4typeEPT_S4_S3_.num_agpr, 0
	.set _Z26warp_exclusive_scan_kernelIfLj64ELj8EENSt9enable_ifIXsr10test_utilsE35device_test_enabled_for_warp_size_vIXT1_EEEvE4typeEPT_S4_S3_.numbered_sgpr, 9
	.set _Z26warp_exclusive_scan_kernelIfLj64ELj8EENSt9enable_ifIXsr10test_utilsE35device_test_enabled_for_warp_size_vIXT1_EEEvE4typeEPT_S4_S3_.num_named_barrier, 0
	.set _Z26warp_exclusive_scan_kernelIfLj64ELj8EENSt9enable_ifIXsr10test_utilsE35device_test_enabled_for_warp_size_vIXT1_EEEvE4typeEPT_S4_S3_.private_seg_size, 0
	.set _Z26warp_exclusive_scan_kernelIfLj64ELj8EENSt9enable_ifIXsr10test_utilsE35device_test_enabled_for_warp_size_vIXT1_EEEvE4typeEPT_S4_S3_.uses_vcc, 1
	.set _Z26warp_exclusive_scan_kernelIfLj64ELj8EENSt9enable_ifIXsr10test_utilsE35device_test_enabled_for_warp_size_vIXT1_EEEvE4typeEPT_S4_S3_.uses_flat_scratch, 0
	.set _Z26warp_exclusive_scan_kernelIfLj64ELj8EENSt9enable_ifIXsr10test_utilsE35device_test_enabled_for_warp_size_vIXT1_EEEvE4typeEPT_S4_S3_.has_dyn_sized_stack, 0
	.set _Z26warp_exclusive_scan_kernelIfLj64ELj8EENSt9enable_ifIXsr10test_utilsE35device_test_enabled_for_warp_size_vIXT1_EEEvE4typeEPT_S4_S3_.has_recursion, 0
	.set _Z26warp_exclusive_scan_kernelIfLj64ELj8EENSt9enable_ifIXsr10test_utilsE35device_test_enabled_for_warp_size_vIXT1_EEEvE4typeEPT_S4_S3_.has_indirect_call, 0
	.section	.AMDGPU.csdata,"",@progbits
; Kernel info:
; codeLenInByte = 252
; TotalNumSgprs: 13
; NumVgprs: 7
; ScratchSize: 0
; MemoryBound: 0
; FloatMode: 240
; IeeeMode: 1
; LDSByteSize: 0 bytes/workgroup (compile time only)
; SGPRBlocks: 1
; VGPRBlocks: 1
; NumSGPRsForWavesPerEU: 13
; NumVGPRsForWavesPerEU: 7
; Occupancy: 10
; WaveLimiterHint : 0
; COMPUTE_PGM_RSRC2:SCRATCH_EN: 0
; COMPUTE_PGM_RSRC2:USER_SGPR: 6
; COMPUTE_PGM_RSRC2:TRAP_HANDLER: 0
; COMPUTE_PGM_RSRC2:TGID_X_EN: 1
; COMPUTE_PGM_RSRC2:TGID_Y_EN: 0
; COMPUTE_PGM_RSRC2:TGID_Z_EN: 0
; COMPUTE_PGM_RSRC2:TIDIG_COMP_CNT: 0
	.section	.text._Z26warp_exclusive_scan_kernelIfLj32ELj4EENSt9enable_ifIXsr10test_utilsE35device_test_enabled_for_warp_size_vIXT1_EEEvE4typeEPT_S4_S3_,"axG",@progbits,_Z26warp_exclusive_scan_kernelIfLj32ELj4EENSt9enable_ifIXsr10test_utilsE35device_test_enabled_for_warp_size_vIXT1_EEEvE4typeEPT_S4_S3_,comdat
	.protected	_Z26warp_exclusive_scan_kernelIfLj32ELj4EENSt9enable_ifIXsr10test_utilsE35device_test_enabled_for_warp_size_vIXT1_EEEvE4typeEPT_S4_S3_ ; -- Begin function _Z26warp_exclusive_scan_kernelIfLj32ELj4EENSt9enable_ifIXsr10test_utilsE35device_test_enabled_for_warp_size_vIXT1_EEEvE4typeEPT_S4_S3_
	.globl	_Z26warp_exclusive_scan_kernelIfLj32ELj4EENSt9enable_ifIXsr10test_utilsE35device_test_enabled_for_warp_size_vIXT1_EEEvE4typeEPT_S4_S3_
	.p2align	8
	.type	_Z26warp_exclusive_scan_kernelIfLj32ELj4EENSt9enable_ifIXsr10test_utilsE35device_test_enabled_for_warp_size_vIXT1_EEEvE4typeEPT_S4_S3_,@function
_Z26warp_exclusive_scan_kernelIfLj32ELj4EENSt9enable_ifIXsr10test_utilsE35device_test_enabled_for_warp_size_vIXT1_EEEvE4typeEPT_S4_S3_: ; @_Z26warp_exclusive_scan_kernelIfLj32ELj4EENSt9enable_ifIXsr10test_utilsE35device_test_enabled_for_warp_size_vIXT1_EEEvE4typeEPT_S4_S3_
; %bb.0:
	s_load_dword s7, s[4:5], 0x24
	s_load_dwordx4 s[0:3], s[4:5], 0x0
	s_load_dword s8, s[4:5], 0x10
	v_mov_b32_e32 v1, 0
	s_waitcnt lgkmcnt(0)
	s_and_b32 s4, s7, 0xffff
	s_mul_i32 s6, s6, s4
	v_add_u32_e32 v0, s6, v0
	v_lshlrev_b64 v[0:1], 2, v[0:1]
	v_mov_b32_e32 v3, s1
	v_add_co_u32_e32 v2, vcc, s0, v0
	v_addc_co_u32_e32 v3, vcc, v3, v1, vcc
	global_load_dword v2, v[2:3], off
	v_mbcnt_lo_u32_b32 v3, -1, 0
	v_mbcnt_hi_u32_b32 v3, -1, v3
	v_add_u32_e32 v5, -1, v3
	v_and_b32_e32 v6, 0x7c, v3
	v_cmp_lt_i32_e32 vcc, v5, v6
	v_and_b32_e32 v4, 3, v3
	v_cndmask_b32_e32 v3, v5, v3, vcc
	v_cmp_eq_u32_e32 vcc, 0, v4
	v_cmp_lt_u32_e64 s[0:1], 1, v4
	v_lshlrev_b32_e32 v3, 2, v3
	v_mov_b32_e32 v4, s3
	s_waitcnt vmcnt(0)
	v_mov_b32_dpp v5, v2 row_shr:1 row_mask:0xf bank_mask:0xf
	v_add_f32_e32 v5, v2, v5
	v_cndmask_b32_e32 v2, v5, v2, vcc
	s_nop 1
	v_mov_b32_dpp v5, v2 row_shr:2 row_mask:0xf bank_mask:0xf
	v_add_f32_e32 v5, v2, v5
	v_cndmask_b32_e64 v2, v2, v5, s[0:1]
	v_add_f32_e32 v2, s8, v2
	ds_bpermute_b32 v2, v3, v2
	v_mov_b32_e32 v3, s8
	s_waitcnt lgkmcnt(0)
	v_cndmask_b32_e32 v2, v2, v3, vcc
	v_add_co_u32_e32 v0, vcc, s2, v0
	v_addc_co_u32_e32 v1, vcc, v4, v1, vcc
	global_store_dword v[0:1], v2, off
	s_endpgm
	.section	.rodata,"a",@progbits
	.p2align	6, 0x0
	.amdhsa_kernel _Z26warp_exclusive_scan_kernelIfLj32ELj4EENSt9enable_ifIXsr10test_utilsE35device_test_enabled_for_warp_size_vIXT1_EEEvE4typeEPT_S4_S3_
		.amdhsa_group_segment_fixed_size 0
		.amdhsa_private_segment_fixed_size 0
		.amdhsa_kernarg_size 280
		.amdhsa_user_sgpr_count 6
		.amdhsa_user_sgpr_private_segment_buffer 1
		.amdhsa_user_sgpr_dispatch_ptr 0
		.amdhsa_user_sgpr_queue_ptr 0
		.amdhsa_user_sgpr_kernarg_segment_ptr 1
		.amdhsa_user_sgpr_dispatch_id 0
		.amdhsa_user_sgpr_flat_scratch_init 0
		.amdhsa_user_sgpr_private_segment_size 0
		.amdhsa_uses_dynamic_stack 0
		.amdhsa_system_sgpr_private_segment_wavefront_offset 0
		.amdhsa_system_sgpr_workgroup_id_x 1
		.amdhsa_system_sgpr_workgroup_id_y 0
		.amdhsa_system_sgpr_workgroup_id_z 0
		.amdhsa_system_sgpr_workgroup_info 0
		.amdhsa_system_vgpr_workitem_id 0
		.amdhsa_next_free_vgpr 7
		.amdhsa_next_free_sgpr 9
		.amdhsa_reserve_vcc 1
		.amdhsa_reserve_flat_scratch 0
		.amdhsa_float_round_mode_32 0
		.amdhsa_float_round_mode_16_64 0
		.amdhsa_float_denorm_mode_32 3
		.amdhsa_float_denorm_mode_16_64 3
		.amdhsa_dx10_clamp 1
		.amdhsa_ieee_mode 1
		.amdhsa_fp16_overflow 0
		.amdhsa_exception_fp_ieee_invalid_op 0
		.amdhsa_exception_fp_denorm_src 0
		.amdhsa_exception_fp_ieee_div_zero 0
		.amdhsa_exception_fp_ieee_overflow 0
		.amdhsa_exception_fp_ieee_underflow 0
		.amdhsa_exception_fp_ieee_inexact 0
		.amdhsa_exception_int_div_zero 0
	.end_amdhsa_kernel
	.section	.text._Z26warp_exclusive_scan_kernelIfLj32ELj4EENSt9enable_ifIXsr10test_utilsE35device_test_enabled_for_warp_size_vIXT1_EEEvE4typeEPT_S4_S3_,"axG",@progbits,_Z26warp_exclusive_scan_kernelIfLj32ELj4EENSt9enable_ifIXsr10test_utilsE35device_test_enabled_for_warp_size_vIXT1_EEEvE4typeEPT_S4_S3_,comdat
.Lfunc_end155:
	.size	_Z26warp_exclusive_scan_kernelIfLj32ELj4EENSt9enable_ifIXsr10test_utilsE35device_test_enabled_for_warp_size_vIXT1_EEEvE4typeEPT_S4_S3_, .Lfunc_end155-_Z26warp_exclusive_scan_kernelIfLj32ELj4EENSt9enable_ifIXsr10test_utilsE35device_test_enabled_for_warp_size_vIXT1_EEEvE4typeEPT_S4_S3_
                                        ; -- End function
	.set _Z26warp_exclusive_scan_kernelIfLj32ELj4EENSt9enable_ifIXsr10test_utilsE35device_test_enabled_for_warp_size_vIXT1_EEEvE4typeEPT_S4_S3_.num_vgpr, 7
	.set _Z26warp_exclusive_scan_kernelIfLj32ELj4EENSt9enable_ifIXsr10test_utilsE35device_test_enabled_for_warp_size_vIXT1_EEEvE4typeEPT_S4_S3_.num_agpr, 0
	.set _Z26warp_exclusive_scan_kernelIfLj32ELj4EENSt9enable_ifIXsr10test_utilsE35device_test_enabled_for_warp_size_vIXT1_EEEvE4typeEPT_S4_S3_.numbered_sgpr, 9
	.set _Z26warp_exclusive_scan_kernelIfLj32ELj4EENSt9enable_ifIXsr10test_utilsE35device_test_enabled_for_warp_size_vIXT1_EEEvE4typeEPT_S4_S3_.num_named_barrier, 0
	.set _Z26warp_exclusive_scan_kernelIfLj32ELj4EENSt9enable_ifIXsr10test_utilsE35device_test_enabled_for_warp_size_vIXT1_EEEvE4typeEPT_S4_S3_.private_seg_size, 0
	.set _Z26warp_exclusive_scan_kernelIfLj32ELj4EENSt9enable_ifIXsr10test_utilsE35device_test_enabled_for_warp_size_vIXT1_EEEvE4typeEPT_S4_S3_.uses_vcc, 1
	.set _Z26warp_exclusive_scan_kernelIfLj32ELj4EENSt9enable_ifIXsr10test_utilsE35device_test_enabled_for_warp_size_vIXT1_EEEvE4typeEPT_S4_S3_.uses_flat_scratch, 0
	.set _Z26warp_exclusive_scan_kernelIfLj32ELj4EENSt9enable_ifIXsr10test_utilsE35device_test_enabled_for_warp_size_vIXT1_EEEvE4typeEPT_S4_S3_.has_dyn_sized_stack, 0
	.set _Z26warp_exclusive_scan_kernelIfLj32ELj4EENSt9enable_ifIXsr10test_utilsE35device_test_enabled_for_warp_size_vIXT1_EEEvE4typeEPT_S4_S3_.has_recursion, 0
	.set _Z26warp_exclusive_scan_kernelIfLj32ELj4EENSt9enable_ifIXsr10test_utilsE35device_test_enabled_for_warp_size_vIXT1_EEEvE4typeEPT_S4_S3_.has_indirect_call, 0
	.section	.AMDGPU.csdata,"",@progbits
; Kernel info:
; codeLenInByte = 224
; TotalNumSgprs: 13
; NumVgprs: 7
; ScratchSize: 0
; MemoryBound: 0
; FloatMode: 240
; IeeeMode: 1
; LDSByteSize: 0 bytes/workgroup (compile time only)
; SGPRBlocks: 1
; VGPRBlocks: 1
; NumSGPRsForWavesPerEU: 13
; NumVGPRsForWavesPerEU: 7
; Occupancy: 10
; WaveLimiterHint : 0
; COMPUTE_PGM_RSRC2:SCRATCH_EN: 0
; COMPUTE_PGM_RSRC2:USER_SGPR: 6
; COMPUTE_PGM_RSRC2:TRAP_HANDLER: 0
; COMPUTE_PGM_RSRC2:TGID_X_EN: 1
; COMPUTE_PGM_RSRC2:TGID_Y_EN: 0
; COMPUTE_PGM_RSRC2:TGID_Z_EN: 0
; COMPUTE_PGM_RSRC2:TIDIG_COMP_CNT: 0
	.section	.text._Z26warp_exclusive_scan_kernelIfLj64ELj4EENSt9enable_ifIXsr10test_utilsE35device_test_enabled_for_warp_size_vIXT1_EEEvE4typeEPT_S4_S3_,"axG",@progbits,_Z26warp_exclusive_scan_kernelIfLj64ELj4EENSt9enable_ifIXsr10test_utilsE35device_test_enabled_for_warp_size_vIXT1_EEEvE4typeEPT_S4_S3_,comdat
	.protected	_Z26warp_exclusive_scan_kernelIfLj64ELj4EENSt9enable_ifIXsr10test_utilsE35device_test_enabled_for_warp_size_vIXT1_EEEvE4typeEPT_S4_S3_ ; -- Begin function _Z26warp_exclusive_scan_kernelIfLj64ELj4EENSt9enable_ifIXsr10test_utilsE35device_test_enabled_for_warp_size_vIXT1_EEEvE4typeEPT_S4_S3_
	.globl	_Z26warp_exclusive_scan_kernelIfLj64ELj4EENSt9enable_ifIXsr10test_utilsE35device_test_enabled_for_warp_size_vIXT1_EEEvE4typeEPT_S4_S3_
	.p2align	8
	.type	_Z26warp_exclusive_scan_kernelIfLj64ELj4EENSt9enable_ifIXsr10test_utilsE35device_test_enabled_for_warp_size_vIXT1_EEEvE4typeEPT_S4_S3_,@function
_Z26warp_exclusive_scan_kernelIfLj64ELj4EENSt9enable_ifIXsr10test_utilsE35device_test_enabled_for_warp_size_vIXT1_EEEvE4typeEPT_S4_S3_: ; @_Z26warp_exclusive_scan_kernelIfLj64ELj4EENSt9enable_ifIXsr10test_utilsE35device_test_enabled_for_warp_size_vIXT1_EEEvE4typeEPT_S4_S3_
; %bb.0:
	s_load_dword s7, s[4:5], 0x24
	s_load_dwordx4 s[0:3], s[4:5], 0x0
	s_load_dword s8, s[4:5], 0x10
	v_mov_b32_e32 v1, 0
	s_waitcnt lgkmcnt(0)
	s_and_b32 s4, s7, 0xffff
	s_mul_i32 s6, s6, s4
	v_add_u32_e32 v0, s6, v0
	v_lshlrev_b64 v[0:1], 2, v[0:1]
	v_mov_b32_e32 v3, s1
	v_add_co_u32_e32 v2, vcc, s0, v0
	v_addc_co_u32_e32 v3, vcc, v3, v1, vcc
	global_load_dword v2, v[2:3], off
	v_mbcnt_lo_u32_b32 v3, -1, 0
	v_mbcnt_hi_u32_b32 v3, -1, v3
	v_add_u32_e32 v5, -1, v3
	v_and_b32_e32 v6, 0x7c, v3
	v_cmp_lt_i32_e32 vcc, v5, v6
	v_and_b32_e32 v4, 3, v3
	v_cndmask_b32_e32 v3, v5, v3, vcc
	v_cmp_eq_u32_e32 vcc, 0, v4
	v_cmp_lt_u32_e64 s[0:1], 1, v4
	v_lshlrev_b32_e32 v3, 2, v3
	v_mov_b32_e32 v4, s3
	s_waitcnt vmcnt(0)
	v_mov_b32_dpp v5, v2 row_shr:1 row_mask:0xf bank_mask:0xf
	v_add_f32_e32 v5, v2, v5
	v_cndmask_b32_e32 v2, v5, v2, vcc
	s_nop 1
	v_mov_b32_dpp v5, v2 row_shr:2 row_mask:0xf bank_mask:0xf
	v_add_f32_e32 v5, v2, v5
	v_cndmask_b32_e64 v2, v2, v5, s[0:1]
	v_add_f32_e32 v2, s8, v2
	ds_bpermute_b32 v2, v3, v2
	v_mov_b32_e32 v3, s8
	s_waitcnt lgkmcnt(0)
	v_cndmask_b32_e32 v2, v2, v3, vcc
	v_add_co_u32_e32 v0, vcc, s2, v0
	v_addc_co_u32_e32 v1, vcc, v4, v1, vcc
	global_store_dword v[0:1], v2, off
	s_endpgm
	.section	.rodata,"a",@progbits
	.p2align	6, 0x0
	.amdhsa_kernel _Z26warp_exclusive_scan_kernelIfLj64ELj4EENSt9enable_ifIXsr10test_utilsE35device_test_enabled_for_warp_size_vIXT1_EEEvE4typeEPT_S4_S3_
		.amdhsa_group_segment_fixed_size 0
		.amdhsa_private_segment_fixed_size 0
		.amdhsa_kernarg_size 280
		.amdhsa_user_sgpr_count 6
		.amdhsa_user_sgpr_private_segment_buffer 1
		.amdhsa_user_sgpr_dispatch_ptr 0
		.amdhsa_user_sgpr_queue_ptr 0
		.amdhsa_user_sgpr_kernarg_segment_ptr 1
		.amdhsa_user_sgpr_dispatch_id 0
		.amdhsa_user_sgpr_flat_scratch_init 0
		.amdhsa_user_sgpr_private_segment_size 0
		.amdhsa_uses_dynamic_stack 0
		.amdhsa_system_sgpr_private_segment_wavefront_offset 0
		.amdhsa_system_sgpr_workgroup_id_x 1
		.amdhsa_system_sgpr_workgroup_id_y 0
		.amdhsa_system_sgpr_workgroup_id_z 0
		.amdhsa_system_sgpr_workgroup_info 0
		.amdhsa_system_vgpr_workitem_id 0
		.amdhsa_next_free_vgpr 7
		.amdhsa_next_free_sgpr 9
		.amdhsa_reserve_vcc 1
		.amdhsa_reserve_flat_scratch 0
		.amdhsa_float_round_mode_32 0
		.amdhsa_float_round_mode_16_64 0
		.amdhsa_float_denorm_mode_32 3
		.amdhsa_float_denorm_mode_16_64 3
		.amdhsa_dx10_clamp 1
		.amdhsa_ieee_mode 1
		.amdhsa_fp16_overflow 0
		.amdhsa_exception_fp_ieee_invalid_op 0
		.amdhsa_exception_fp_denorm_src 0
		.amdhsa_exception_fp_ieee_div_zero 0
		.amdhsa_exception_fp_ieee_overflow 0
		.amdhsa_exception_fp_ieee_underflow 0
		.amdhsa_exception_fp_ieee_inexact 0
		.amdhsa_exception_int_div_zero 0
	.end_amdhsa_kernel
	.section	.text._Z26warp_exclusive_scan_kernelIfLj64ELj4EENSt9enable_ifIXsr10test_utilsE35device_test_enabled_for_warp_size_vIXT1_EEEvE4typeEPT_S4_S3_,"axG",@progbits,_Z26warp_exclusive_scan_kernelIfLj64ELj4EENSt9enable_ifIXsr10test_utilsE35device_test_enabled_for_warp_size_vIXT1_EEEvE4typeEPT_S4_S3_,comdat
.Lfunc_end156:
	.size	_Z26warp_exclusive_scan_kernelIfLj64ELj4EENSt9enable_ifIXsr10test_utilsE35device_test_enabled_for_warp_size_vIXT1_EEEvE4typeEPT_S4_S3_, .Lfunc_end156-_Z26warp_exclusive_scan_kernelIfLj64ELj4EENSt9enable_ifIXsr10test_utilsE35device_test_enabled_for_warp_size_vIXT1_EEEvE4typeEPT_S4_S3_
                                        ; -- End function
	.set _Z26warp_exclusive_scan_kernelIfLj64ELj4EENSt9enable_ifIXsr10test_utilsE35device_test_enabled_for_warp_size_vIXT1_EEEvE4typeEPT_S4_S3_.num_vgpr, 7
	.set _Z26warp_exclusive_scan_kernelIfLj64ELj4EENSt9enable_ifIXsr10test_utilsE35device_test_enabled_for_warp_size_vIXT1_EEEvE4typeEPT_S4_S3_.num_agpr, 0
	.set _Z26warp_exclusive_scan_kernelIfLj64ELj4EENSt9enable_ifIXsr10test_utilsE35device_test_enabled_for_warp_size_vIXT1_EEEvE4typeEPT_S4_S3_.numbered_sgpr, 9
	.set _Z26warp_exclusive_scan_kernelIfLj64ELj4EENSt9enable_ifIXsr10test_utilsE35device_test_enabled_for_warp_size_vIXT1_EEEvE4typeEPT_S4_S3_.num_named_barrier, 0
	.set _Z26warp_exclusive_scan_kernelIfLj64ELj4EENSt9enable_ifIXsr10test_utilsE35device_test_enabled_for_warp_size_vIXT1_EEEvE4typeEPT_S4_S3_.private_seg_size, 0
	.set _Z26warp_exclusive_scan_kernelIfLj64ELj4EENSt9enable_ifIXsr10test_utilsE35device_test_enabled_for_warp_size_vIXT1_EEEvE4typeEPT_S4_S3_.uses_vcc, 1
	.set _Z26warp_exclusive_scan_kernelIfLj64ELj4EENSt9enable_ifIXsr10test_utilsE35device_test_enabled_for_warp_size_vIXT1_EEEvE4typeEPT_S4_S3_.uses_flat_scratch, 0
	.set _Z26warp_exclusive_scan_kernelIfLj64ELj4EENSt9enable_ifIXsr10test_utilsE35device_test_enabled_for_warp_size_vIXT1_EEEvE4typeEPT_S4_S3_.has_dyn_sized_stack, 0
	.set _Z26warp_exclusive_scan_kernelIfLj64ELj4EENSt9enable_ifIXsr10test_utilsE35device_test_enabled_for_warp_size_vIXT1_EEEvE4typeEPT_S4_S3_.has_recursion, 0
	.set _Z26warp_exclusive_scan_kernelIfLj64ELj4EENSt9enable_ifIXsr10test_utilsE35device_test_enabled_for_warp_size_vIXT1_EEEvE4typeEPT_S4_S3_.has_indirect_call, 0
	.section	.AMDGPU.csdata,"",@progbits
; Kernel info:
; codeLenInByte = 224
; TotalNumSgprs: 13
; NumVgprs: 7
; ScratchSize: 0
; MemoryBound: 0
; FloatMode: 240
; IeeeMode: 1
; LDSByteSize: 0 bytes/workgroup (compile time only)
; SGPRBlocks: 1
; VGPRBlocks: 1
; NumSGPRsForWavesPerEU: 13
; NumVGPRsForWavesPerEU: 7
; Occupancy: 10
; WaveLimiterHint : 0
; COMPUTE_PGM_RSRC2:SCRATCH_EN: 0
; COMPUTE_PGM_RSRC2:USER_SGPR: 6
; COMPUTE_PGM_RSRC2:TRAP_HANDLER: 0
; COMPUTE_PGM_RSRC2:TGID_X_EN: 1
; COMPUTE_PGM_RSRC2:TGID_Y_EN: 0
; COMPUTE_PGM_RSRC2:TGID_Z_EN: 0
; COMPUTE_PGM_RSRC2:TIDIG_COMP_CNT: 0
	.section	.text._Z26warp_exclusive_scan_kernelIfLj32ELj2EENSt9enable_ifIXsr10test_utilsE35device_test_enabled_for_warp_size_vIXT1_EEEvE4typeEPT_S4_S3_,"axG",@progbits,_Z26warp_exclusive_scan_kernelIfLj32ELj2EENSt9enable_ifIXsr10test_utilsE35device_test_enabled_for_warp_size_vIXT1_EEEvE4typeEPT_S4_S3_,comdat
	.protected	_Z26warp_exclusive_scan_kernelIfLj32ELj2EENSt9enable_ifIXsr10test_utilsE35device_test_enabled_for_warp_size_vIXT1_EEEvE4typeEPT_S4_S3_ ; -- Begin function _Z26warp_exclusive_scan_kernelIfLj32ELj2EENSt9enable_ifIXsr10test_utilsE35device_test_enabled_for_warp_size_vIXT1_EEEvE4typeEPT_S4_S3_
	.globl	_Z26warp_exclusive_scan_kernelIfLj32ELj2EENSt9enable_ifIXsr10test_utilsE35device_test_enabled_for_warp_size_vIXT1_EEEvE4typeEPT_S4_S3_
	.p2align	8
	.type	_Z26warp_exclusive_scan_kernelIfLj32ELj2EENSt9enable_ifIXsr10test_utilsE35device_test_enabled_for_warp_size_vIXT1_EEEvE4typeEPT_S4_S3_,@function
_Z26warp_exclusive_scan_kernelIfLj32ELj2EENSt9enable_ifIXsr10test_utilsE35device_test_enabled_for_warp_size_vIXT1_EEEvE4typeEPT_S4_S3_: ; @_Z26warp_exclusive_scan_kernelIfLj32ELj2EENSt9enable_ifIXsr10test_utilsE35device_test_enabled_for_warp_size_vIXT1_EEEvE4typeEPT_S4_S3_
; %bb.0:
	s_load_dword s7, s[4:5], 0x24
	s_load_dwordx4 s[0:3], s[4:5], 0x0
	s_load_dword s8, s[4:5], 0x10
	v_mov_b32_e32 v1, 0
	s_waitcnt lgkmcnt(0)
	s_and_b32 s4, s7, 0xffff
	s_mul_i32 s6, s6, s4
	v_add_u32_e32 v0, s6, v0
	v_lshlrev_b64 v[0:1], 2, v[0:1]
	v_mov_b32_e32 v3, s1
	v_add_co_u32_e32 v2, vcc, s0, v0
	v_addc_co_u32_e32 v3, vcc, v3, v1, vcc
	global_load_dword v2, v[2:3], off
	v_mbcnt_lo_u32_b32 v3, -1, 0
	v_mbcnt_hi_u32_b32 v3, -1, v3
	v_add_u32_e32 v5, -1, v3
	v_and_b32_e32 v6, 0x7e, v3
	v_cmp_lt_i32_e32 vcc, v5, v6
	v_and_b32_e32 v4, 1, v3
	v_cndmask_b32_e32 v3, v5, v3, vcc
	v_cmp_eq_u32_e32 vcc, 0, v4
	v_lshlrev_b32_e32 v3, 2, v3
	v_mov_b32_e32 v4, s3
	s_waitcnt vmcnt(0)
	v_mov_b32_dpp v5, v2 row_shr:1 row_mask:0xf bank_mask:0xf
	v_add_f32_e32 v5, v2, v5
	v_cndmask_b32_e32 v2, v5, v2, vcc
	v_add_f32_e32 v2, s8, v2
	ds_bpermute_b32 v2, v3, v2
	v_mov_b32_e32 v3, s8
	s_waitcnt lgkmcnt(0)
	v_cndmask_b32_e32 v2, v2, v3, vcc
	v_add_co_u32_e32 v0, vcc, s2, v0
	v_addc_co_u32_e32 v1, vcc, v4, v1, vcc
	global_store_dword v[0:1], v2, off
	s_endpgm
	.section	.rodata,"a",@progbits
	.p2align	6, 0x0
	.amdhsa_kernel _Z26warp_exclusive_scan_kernelIfLj32ELj2EENSt9enable_ifIXsr10test_utilsE35device_test_enabled_for_warp_size_vIXT1_EEEvE4typeEPT_S4_S3_
		.amdhsa_group_segment_fixed_size 0
		.amdhsa_private_segment_fixed_size 0
		.amdhsa_kernarg_size 280
		.amdhsa_user_sgpr_count 6
		.amdhsa_user_sgpr_private_segment_buffer 1
		.amdhsa_user_sgpr_dispatch_ptr 0
		.amdhsa_user_sgpr_queue_ptr 0
		.amdhsa_user_sgpr_kernarg_segment_ptr 1
		.amdhsa_user_sgpr_dispatch_id 0
		.amdhsa_user_sgpr_flat_scratch_init 0
		.amdhsa_user_sgpr_private_segment_size 0
		.amdhsa_uses_dynamic_stack 0
		.amdhsa_system_sgpr_private_segment_wavefront_offset 0
		.amdhsa_system_sgpr_workgroup_id_x 1
		.amdhsa_system_sgpr_workgroup_id_y 0
		.amdhsa_system_sgpr_workgroup_id_z 0
		.amdhsa_system_sgpr_workgroup_info 0
		.amdhsa_system_vgpr_workitem_id 0
		.amdhsa_next_free_vgpr 7
		.amdhsa_next_free_sgpr 9
		.amdhsa_reserve_vcc 1
		.amdhsa_reserve_flat_scratch 0
		.amdhsa_float_round_mode_32 0
		.amdhsa_float_round_mode_16_64 0
		.amdhsa_float_denorm_mode_32 3
		.amdhsa_float_denorm_mode_16_64 3
		.amdhsa_dx10_clamp 1
		.amdhsa_ieee_mode 1
		.amdhsa_fp16_overflow 0
		.amdhsa_exception_fp_ieee_invalid_op 0
		.amdhsa_exception_fp_denorm_src 0
		.amdhsa_exception_fp_ieee_div_zero 0
		.amdhsa_exception_fp_ieee_overflow 0
		.amdhsa_exception_fp_ieee_underflow 0
		.amdhsa_exception_fp_ieee_inexact 0
		.amdhsa_exception_int_div_zero 0
	.end_amdhsa_kernel
	.section	.text._Z26warp_exclusive_scan_kernelIfLj32ELj2EENSt9enable_ifIXsr10test_utilsE35device_test_enabled_for_warp_size_vIXT1_EEEvE4typeEPT_S4_S3_,"axG",@progbits,_Z26warp_exclusive_scan_kernelIfLj32ELj2EENSt9enable_ifIXsr10test_utilsE35device_test_enabled_for_warp_size_vIXT1_EEEvE4typeEPT_S4_S3_,comdat
.Lfunc_end157:
	.size	_Z26warp_exclusive_scan_kernelIfLj32ELj2EENSt9enable_ifIXsr10test_utilsE35device_test_enabled_for_warp_size_vIXT1_EEEvE4typeEPT_S4_S3_, .Lfunc_end157-_Z26warp_exclusive_scan_kernelIfLj32ELj2EENSt9enable_ifIXsr10test_utilsE35device_test_enabled_for_warp_size_vIXT1_EEEvE4typeEPT_S4_S3_
                                        ; -- End function
	.set _Z26warp_exclusive_scan_kernelIfLj32ELj2EENSt9enable_ifIXsr10test_utilsE35device_test_enabled_for_warp_size_vIXT1_EEEvE4typeEPT_S4_S3_.num_vgpr, 7
	.set _Z26warp_exclusive_scan_kernelIfLj32ELj2EENSt9enable_ifIXsr10test_utilsE35device_test_enabled_for_warp_size_vIXT1_EEEvE4typeEPT_S4_S3_.num_agpr, 0
	.set _Z26warp_exclusive_scan_kernelIfLj32ELj2EENSt9enable_ifIXsr10test_utilsE35device_test_enabled_for_warp_size_vIXT1_EEEvE4typeEPT_S4_S3_.numbered_sgpr, 9
	.set _Z26warp_exclusive_scan_kernelIfLj32ELj2EENSt9enable_ifIXsr10test_utilsE35device_test_enabled_for_warp_size_vIXT1_EEEvE4typeEPT_S4_S3_.num_named_barrier, 0
	.set _Z26warp_exclusive_scan_kernelIfLj32ELj2EENSt9enable_ifIXsr10test_utilsE35device_test_enabled_for_warp_size_vIXT1_EEEvE4typeEPT_S4_S3_.private_seg_size, 0
	.set _Z26warp_exclusive_scan_kernelIfLj32ELj2EENSt9enable_ifIXsr10test_utilsE35device_test_enabled_for_warp_size_vIXT1_EEEvE4typeEPT_S4_S3_.uses_vcc, 1
	.set _Z26warp_exclusive_scan_kernelIfLj32ELj2EENSt9enable_ifIXsr10test_utilsE35device_test_enabled_for_warp_size_vIXT1_EEEvE4typeEPT_S4_S3_.uses_flat_scratch, 0
	.set _Z26warp_exclusive_scan_kernelIfLj32ELj2EENSt9enable_ifIXsr10test_utilsE35device_test_enabled_for_warp_size_vIXT1_EEEvE4typeEPT_S4_S3_.has_dyn_sized_stack, 0
	.set _Z26warp_exclusive_scan_kernelIfLj32ELj2EENSt9enable_ifIXsr10test_utilsE35device_test_enabled_for_warp_size_vIXT1_EEEvE4typeEPT_S4_S3_.has_recursion, 0
	.set _Z26warp_exclusive_scan_kernelIfLj32ELj2EENSt9enable_ifIXsr10test_utilsE35device_test_enabled_for_warp_size_vIXT1_EEEvE4typeEPT_S4_S3_.has_indirect_call, 0
	.section	.AMDGPU.csdata,"",@progbits
; Kernel info:
; codeLenInByte = 192
; TotalNumSgprs: 13
; NumVgprs: 7
; ScratchSize: 0
; MemoryBound: 0
; FloatMode: 240
; IeeeMode: 1
; LDSByteSize: 0 bytes/workgroup (compile time only)
; SGPRBlocks: 1
; VGPRBlocks: 1
; NumSGPRsForWavesPerEU: 13
; NumVGPRsForWavesPerEU: 7
; Occupancy: 10
; WaveLimiterHint : 0
; COMPUTE_PGM_RSRC2:SCRATCH_EN: 0
; COMPUTE_PGM_RSRC2:USER_SGPR: 6
; COMPUTE_PGM_RSRC2:TRAP_HANDLER: 0
; COMPUTE_PGM_RSRC2:TGID_X_EN: 1
; COMPUTE_PGM_RSRC2:TGID_Y_EN: 0
; COMPUTE_PGM_RSRC2:TGID_Z_EN: 0
; COMPUTE_PGM_RSRC2:TIDIG_COMP_CNT: 0
	.section	.text._Z26warp_exclusive_scan_kernelIfLj64ELj2EENSt9enable_ifIXsr10test_utilsE35device_test_enabled_for_warp_size_vIXT1_EEEvE4typeEPT_S4_S3_,"axG",@progbits,_Z26warp_exclusive_scan_kernelIfLj64ELj2EENSt9enable_ifIXsr10test_utilsE35device_test_enabled_for_warp_size_vIXT1_EEEvE4typeEPT_S4_S3_,comdat
	.protected	_Z26warp_exclusive_scan_kernelIfLj64ELj2EENSt9enable_ifIXsr10test_utilsE35device_test_enabled_for_warp_size_vIXT1_EEEvE4typeEPT_S4_S3_ ; -- Begin function _Z26warp_exclusive_scan_kernelIfLj64ELj2EENSt9enable_ifIXsr10test_utilsE35device_test_enabled_for_warp_size_vIXT1_EEEvE4typeEPT_S4_S3_
	.globl	_Z26warp_exclusive_scan_kernelIfLj64ELj2EENSt9enable_ifIXsr10test_utilsE35device_test_enabled_for_warp_size_vIXT1_EEEvE4typeEPT_S4_S3_
	.p2align	8
	.type	_Z26warp_exclusive_scan_kernelIfLj64ELj2EENSt9enable_ifIXsr10test_utilsE35device_test_enabled_for_warp_size_vIXT1_EEEvE4typeEPT_S4_S3_,@function
_Z26warp_exclusive_scan_kernelIfLj64ELj2EENSt9enable_ifIXsr10test_utilsE35device_test_enabled_for_warp_size_vIXT1_EEEvE4typeEPT_S4_S3_: ; @_Z26warp_exclusive_scan_kernelIfLj64ELj2EENSt9enable_ifIXsr10test_utilsE35device_test_enabled_for_warp_size_vIXT1_EEEvE4typeEPT_S4_S3_
; %bb.0:
	s_load_dword s7, s[4:5], 0x24
	s_load_dwordx4 s[0:3], s[4:5], 0x0
	s_load_dword s8, s[4:5], 0x10
	v_mov_b32_e32 v1, 0
	s_waitcnt lgkmcnt(0)
	s_and_b32 s4, s7, 0xffff
	s_mul_i32 s6, s6, s4
	v_add_u32_e32 v0, s6, v0
	v_lshlrev_b64 v[0:1], 2, v[0:1]
	v_mov_b32_e32 v3, s1
	v_add_co_u32_e32 v2, vcc, s0, v0
	v_addc_co_u32_e32 v3, vcc, v3, v1, vcc
	global_load_dword v2, v[2:3], off
	v_mbcnt_lo_u32_b32 v3, -1, 0
	v_mbcnt_hi_u32_b32 v3, -1, v3
	v_add_u32_e32 v5, -1, v3
	v_and_b32_e32 v6, 0x7e, v3
	v_cmp_lt_i32_e32 vcc, v5, v6
	v_and_b32_e32 v4, 1, v3
	v_cndmask_b32_e32 v3, v5, v3, vcc
	v_cmp_eq_u32_e32 vcc, 0, v4
	v_lshlrev_b32_e32 v3, 2, v3
	v_mov_b32_e32 v4, s3
	s_waitcnt vmcnt(0)
	v_mov_b32_dpp v5, v2 row_shr:1 row_mask:0xf bank_mask:0xf
	v_add_f32_e32 v5, v2, v5
	v_cndmask_b32_e32 v2, v5, v2, vcc
	v_add_f32_e32 v2, s8, v2
	ds_bpermute_b32 v2, v3, v2
	v_mov_b32_e32 v3, s8
	s_waitcnt lgkmcnt(0)
	v_cndmask_b32_e32 v2, v2, v3, vcc
	v_add_co_u32_e32 v0, vcc, s2, v0
	v_addc_co_u32_e32 v1, vcc, v4, v1, vcc
	global_store_dword v[0:1], v2, off
	s_endpgm
	.section	.rodata,"a",@progbits
	.p2align	6, 0x0
	.amdhsa_kernel _Z26warp_exclusive_scan_kernelIfLj64ELj2EENSt9enable_ifIXsr10test_utilsE35device_test_enabled_for_warp_size_vIXT1_EEEvE4typeEPT_S4_S3_
		.amdhsa_group_segment_fixed_size 0
		.amdhsa_private_segment_fixed_size 0
		.amdhsa_kernarg_size 280
		.amdhsa_user_sgpr_count 6
		.amdhsa_user_sgpr_private_segment_buffer 1
		.amdhsa_user_sgpr_dispatch_ptr 0
		.amdhsa_user_sgpr_queue_ptr 0
		.amdhsa_user_sgpr_kernarg_segment_ptr 1
		.amdhsa_user_sgpr_dispatch_id 0
		.amdhsa_user_sgpr_flat_scratch_init 0
		.amdhsa_user_sgpr_private_segment_size 0
		.amdhsa_uses_dynamic_stack 0
		.amdhsa_system_sgpr_private_segment_wavefront_offset 0
		.amdhsa_system_sgpr_workgroup_id_x 1
		.amdhsa_system_sgpr_workgroup_id_y 0
		.amdhsa_system_sgpr_workgroup_id_z 0
		.amdhsa_system_sgpr_workgroup_info 0
		.amdhsa_system_vgpr_workitem_id 0
		.amdhsa_next_free_vgpr 7
		.amdhsa_next_free_sgpr 9
		.amdhsa_reserve_vcc 1
		.amdhsa_reserve_flat_scratch 0
		.amdhsa_float_round_mode_32 0
		.amdhsa_float_round_mode_16_64 0
		.amdhsa_float_denorm_mode_32 3
		.amdhsa_float_denorm_mode_16_64 3
		.amdhsa_dx10_clamp 1
		.amdhsa_ieee_mode 1
		.amdhsa_fp16_overflow 0
		.amdhsa_exception_fp_ieee_invalid_op 0
		.amdhsa_exception_fp_denorm_src 0
		.amdhsa_exception_fp_ieee_div_zero 0
		.amdhsa_exception_fp_ieee_overflow 0
		.amdhsa_exception_fp_ieee_underflow 0
		.amdhsa_exception_fp_ieee_inexact 0
		.amdhsa_exception_int_div_zero 0
	.end_amdhsa_kernel
	.section	.text._Z26warp_exclusive_scan_kernelIfLj64ELj2EENSt9enable_ifIXsr10test_utilsE35device_test_enabled_for_warp_size_vIXT1_EEEvE4typeEPT_S4_S3_,"axG",@progbits,_Z26warp_exclusive_scan_kernelIfLj64ELj2EENSt9enable_ifIXsr10test_utilsE35device_test_enabled_for_warp_size_vIXT1_EEEvE4typeEPT_S4_S3_,comdat
.Lfunc_end158:
	.size	_Z26warp_exclusive_scan_kernelIfLj64ELj2EENSt9enable_ifIXsr10test_utilsE35device_test_enabled_for_warp_size_vIXT1_EEEvE4typeEPT_S4_S3_, .Lfunc_end158-_Z26warp_exclusive_scan_kernelIfLj64ELj2EENSt9enable_ifIXsr10test_utilsE35device_test_enabled_for_warp_size_vIXT1_EEEvE4typeEPT_S4_S3_
                                        ; -- End function
	.set _Z26warp_exclusive_scan_kernelIfLj64ELj2EENSt9enable_ifIXsr10test_utilsE35device_test_enabled_for_warp_size_vIXT1_EEEvE4typeEPT_S4_S3_.num_vgpr, 7
	.set _Z26warp_exclusive_scan_kernelIfLj64ELj2EENSt9enable_ifIXsr10test_utilsE35device_test_enabled_for_warp_size_vIXT1_EEEvE4typeEPT_S4_S3_.num_agpr, 0
	.set _Z26warp_exclusive_scan_kernelIfLj64ELj2EENSt9enable_ifIXsr10test_utilsE35device_test_enabled_for_warp_size_vIXT1_EEEvE4typeEPT_S4_S3_.numbered_sgpr, 9
	.set _Z26warp_exclusive_scan_kernelIfLj64ELj2EENSt9enable_ifIXsr10test_utilsE35device_test_enabled_for_warp_size_vIXT1_EEEvE4typeEPT_S4_S3_.num_named_barrier, 0
	.set _Z26warp_exclusive_scan_kernelIfLj64ELj2EENSt9enable_ifIXsr10test_utilsE35device_test_enabled_for_warp_size_vIXT1_EEEvE4typeEPT_S4_S3_.private_seg_size, 0
	.set _Z26warp_exclusive_scan_kernelIfLj64ELj2EENSt9enable_ifIXsr10test_utilsE35device_test_enabled_for_warp_size_vIXT1_EEEvE4typeEPT_S4_S3_.uses_vcc, 1
	.set _Z26warp_exclusive_scan_kernelIfLj64ELj2EENSt9enable_ifIXsr10test_utilsE35device_test_enabled_for_warp_size_vIXT1_EEEvE4typeEPT_S4_S3_.uses_flat_scratch, 0
	.set _Z26warp_exclusive_scan_kernelIfLj64ELj2EENSt9enable_ifIXsr10test_utilsE35device_test_enabled_for_warp_size_vIXT1_EEEvE4typeEPT_S4_S3_.has_dyn_sized_stack, 0
	.set _Z26warp_exclusive_scan_kernelIfLj64ELj2EENSt9enable_ifIXsr10test_utilsE35device_test_enabled_for_warp_size_vIXT1_EEEvE4typeEPT_S4_S3_.has_recursion, 0
	.set _Z26warp_exclusive_scan_kernelIfLj64ELj2EENSt9enable_ifIXsr10test_utilsE35device_test_enabled_for_warp_size_vIXT1_EEEvE4typeEPT_S4_S3_.has_indirect_call, 0
	.section	.AMDGPU.csdata,"",@progbits
; Kernel info:
; codeLenInByte = 192
; TotalNumSgprs: 13
; NumVgprs: 7
; ScratchSize: 0
; MemoryBound: 0
; FloatMode: 240
; IeeeMode: 1
; LDSByteSize: 0 bytes/workgroup (compile time only)
; SGPRBlocks: 1
; VGPRBlocks: 1
; NumSGPRsForWavesPerEU: 13
; NumVGPRsForWavesPerEU: 7
; Occupancy: 10
; WaveLimiterHint : 0
; COMPUTE_PGM_RSRC2:SCRATCH_EN: 0
; COMPUTE_PGM_RSRC2:USER_SGPR: 6
; COMPUTE_PGM_RSRC2:TRAP_HANDLER: 0
; COMPUTE_PGM_RSRC2:TGID_X_EN: 1
; COMPUTE_PGM_RSRC2:TGID_Y_EN: 0
; COMPUTE_PGM_RSRC2:TGID_Z_EN: 0
; COMPUTE_PGM_RSRC2:TIDIG_COMP_CNT: 0
	.section	.text._Z26warp_exclusive_scan_kernelIiLj256ELj64EENSt9enable_ifIXsr10test_utilsE35device_test_enabled_for_warp_size_vIXT1_EEEvE4typeEPT_S4_S3_,"axG",@progbits,_Z26warp_exclusive_scan_kernelIiLj256ELj64EENSt9enable_ifIXsr10test_utilsE35device_test_enabled_for_warp_size_vIXT1_EEEvE4typeEPT_S4_S3_,comdat
	.protected	_Z26warp_exclusive_scan_kernelIiLj256ELj64EENSt9enable_ifIXsr10test_utilsE35device_test_enabled_for_warp_size_vIXT1_EEEvE4typeEPT_S4_S3_ ; -- Begin function _Z26warp_exclusive_scan_kernelIiLj256ELj64EENSt9enable_ifIXsr10test_utilsE35device_test_enabled_for_warp_size_vIXT1_EEEvE4typeEPT_S4_S3_
	.globl	_Z26warp_exclusive_scan_kernelIiLj256ELj64EENSt9enable_ifIXsr10test_utilsE35device_test_enabled_for_warp_size_vIXT1_EEEvE4typeEPT_S4_S3_
	.p2align	8
	.type	_Z26warp_exclusive_scan_kernelIiLj256ELj64EENSt9enable_ifIXsr10test_utilsE35device_test_enabled_for_warp_size_vIXT1_EEEvE4typeEPT_S4_S3_,@function
_Z26warp_exclusive_scan_kernelIiLj256ELj64EENSt9enable_ifIXsr10test_utilsE35device_test_enabled_for_warp_size_vIXT1_EEEvE4typeEPT_S4_S3_: ; @_Z26warp_exclusive_scan_kernelIiLj256ELj64EENSt9enable_ifIXsr10test_utilsE35device_test_enabled_for_warp_size_vIXT1_EEEvE4typeEPT_S4_S3_
; %bb.0:
	s_load_dword s7, s[4:5], 0x24
	s_load_dwordx4 s[0:3], s[4:5], 0x0
	s_load_dword s8, s[4:5], 0x10
	v_mov_b32_e32 v1, 0
	s_waitcnt lgkmcnt(0)
	s_and_b32 s4, s7, 0xffff
	s_mul_i32 s6, s6, s4
	v_add_u32_e32 v0, s6, v0
	v_lshlrev_b64 v[0:1], 2, v[0:1]
	v_mov_b32_e32 v3, s1
	v_add_co_u32_e32 v2, vcc, s0, v0
	v_addc_co_u32_e32 v3, vcc, v3, v1, vcc
	global_load_dword v2, v[2:3], off
	v_mbcnt_lo_u32_b32 v3, -1, 0
	v_mbcnt_hi_u32_b32 v3, -1, v3
	v_and_b32_e32 v6, 64, v3
	v_subrev_co_u32_e32 v8, vcc, 1, v3
	v_and_b32_e32 v4, 15, v3
	v_cmp_lt_i32_e64 s[0:1], v8, v6
	v_cndmask_b32_e64 v6, v8, v3, s[0:1]
	v_cmp_ne_u32_e64 s[0:1], 0, v4
	v_bfe_i32 v5, v3, 4, 1
	v_lshlrev_b32_e32 v6, 2, v6
	v_mov_b32_e32 v7, s8
	s_waitcnt vmcnt(0)
	v_mov_b32_dpp v8, v2 row_shr:1 row_mask:0xf bank_mask:0xf
	v_cndmask_b32_e64 v8, 0, v8, s[0:1]
	v_add_u32_e32 v2, v8, v2
	v_cmp_lt_u32_e64 s[0:1], 1, v4
	s_nop 0
	v_mov_b32_dpp v8, v2 row_shr:2 row_mask:0xf bank_mask:0xf
	v_cndmask_b32_e64 v8, 0, v8, s[0:1]
	v_add_u32_e32 v2, v2, v8
	v_cmp_lt_u32_e64 s[0:1], 3, v4
	s_nop 0
	;; [unrolled: 5-line block ×4, first 2 shown]
	v_mov_b32_dpp v4, v2 row_bcast:15 row_mask:0xf bank_mask:0xf
	v_and_b32_e32 v4, v5, v4
	v_add_u32_e32 v2, v2, v4
	s_nop 1
	v_mov_b32_dpp v4, v2 row_bcast:31 row_mask:0xf bank_mask:0xf
	v_cndmask_b32_e64 v3, 0, v4, s[0:1]
	v_add3_u32 v2, v3, s8, v2
	ds_bpermute_b32 v2, v6, v2
	v_mov_b32_e32 v3, s3
	s_waitcnt lgkmcnt(0)
	v_cndmask_b32_e32 v2, v2, v7, vcc
	v_add_co_u32_e32 v0, vcc, s2, v0
	v_addc_co_u32_e32 v1, vcc, v3, v1, vcc
	global_store_dword v[0:1], v2, off
	s_endpgm
	.section	.rodata,"a",@progbits
	.p2align	6, 0x0
	.amdhsa_kernel _Z26warp_exclusive_scan_kernelIiLj256ELj64EENSt9enable_ifIXsr10test_utilsE35device_test_enabled_for_warp_size_vIXT1_EEEvE4typeEPT_S4_S3_
		.amdhsa_group_segment_fixed_size 0
		.amdhsa_private_segment_fixed_size 0
		.amdhsa_kernarg_size 280
		.amdhsa_user_sgpr_count 6
		.amdhsa_user_sgpr_private_segment_buffer 1
		.amdhsa_user_sgpr_dispatch_ptr 0
		.amdhsa_user_sgpr_queue_ptr 0
		.amdhsa_user_sgpr_kernarg_segment_ptr 1
		.amdhsa_user_sgpr_dispatch_id 0
		.amdhsa_user_sgpr_flat_scratch_init 0
		.amdhsa_user_sgpr_private_segment_size 0
		.amdhsa_uses_dynamic_stack 0
		.amdhsa_system_sgpr_private_segment_wavefront_offset 0
		.amdhsa_system_sgpr_workgroup_id_x 1
		.amdhsa_system_sgpr_workgroup_id_y 0
		.amdhsa_system_sgpr_workgroup_id_z 0
		.amdhsa_system_sgpr_workgroup_info 0
		.amdhsa_system_vgpr_workitem_id 0
		.amdhsa_next_free_vgpr 9
		.amdhsa_next_free_sgpr 9
		.amdhsa_reserve_vcc 1
		.amdhsa_reserve_flat_scratch 0
		.amdhsa_float_round_mode_32 0
		.amdhsa_float_round_mode_16_64 0
		.amdhsa_float_denorm_mode_32 3
		.amdhsa_float_denorm_mode_16_64 3
		.amdhsa_dx10_clamp 1
		.amdhsa_ieee_mode 1
		.amdhsa_fp16_overflow 0
		.amdhsa_exception_fp_ieee_invalid_op 0
		.amdhsa_exception_fp_denorm_src 0
		.amdhsa_exception_fp_ieee_div_zero 0
		.amdhsa_exception_fp_ieee_overflow 0
		.amdhsa_exception_fp_ieee_underflow 0
		.amdhsa_exception_fp_ieee_inexact 0
		.amdhsa_exception_int_div_zero 0
	.end_amdhsa_kernel
	.section	.text._Z26warp_exclusive_scan_kernelIiLj256ELj64EENSt9enable_ifIXsr10test_utilsE35device_test_enabled_for_warp_size_vIXT1_EEEvE4typeEPT_S4_S3_,"axG",@progbits,_Z26warp_exclusive_scan_kernelIiLj256ELj64EENSt9enable_ifIXsr10test_utilsE35device_test_enabled_for_warp_size_vIXT1_EEEvE4typeEPT_S4_S3_,comdat
.Lfunc_end159:
	.size	_Z26warp_exclusive_scan_kernelIiLj256ELj64EENSt9enable_ifIXsr10test_utilsE35device_test_enabled_for_warp_size_vIXT1_EEEvE4typeEPT_S4_S3_, .Lfunc_end159-_Z26warp_exclusive_scan_kernelIiLj256ELj64EENSt9enable_ifIXsr10test_utilsE35device_test_enabled_for_warp_size_vIXT1_EEEvE4typeEPT_S4_S3_
                                        ; -- End function
	.set _Z26warp_exclusive_scan_kernelIiLj256ELj64EENSt9enable_ifIXsr10test_utilsE35device_test_enabled_for_warp_size_vIXT1_EEEvE4typeEPT_S4_S3_.num_vgpr, 9
	.set _Z26warp_exclusive_scan_kernelIiLj256ELj64EENSt9enable_ifIXsr10test_utilsE35device_test_enabled_for_warp_size_vIXT1_EEEvE4typeEPT_S4_S3_.num_agpr, 0
	.set _Z26warp_exclusive_scan_kernelIiLj256ELj64EENSt9enable_ifIXsr10test_utilsE35device_test_enabled_for_warp_size_vIXT1_EEEvE4typeEPT_S4_S3_.numbered_sgpr, 9
	.set _Z26warp_exclusive_scan_kernelIiLj256ELj64EENSt9enable_ifIXsr10test_utilsE35device_test_enabled_for_warp_size_vIXT1_EEEvE4typeEPT_S4_S3_.num_named_barrier, 0
	.set _Z26warp_exclusive_scan_kernelIiLj256ELj64EENSt9enable_ifIXsr10test_utilsE35device_test_enabled_for_warp_size_vIXT1_EEEvE4typeEPT_S4_S3_.private_seg_size, 0
	.set _Z26warp_exclusive_scan_kernelIiLj256ELj64EENSt9enable_ifIXsr10test_utilsE35device_test_enabled_for_warp_size_vIXT1_EEEvE4typeEPT_S4_S3_.uses_vcc, 1
	.set _Z26warp_exclusive_scan_kernelIiLj256ELj64EENSt9enable_ifIXsr10test_utilsE35device_test_enabled_for_warp_size_vIXT1_EEEvE4typeEPT_S4_S3_.uses_flat_scratch, 0
	.set _Z26warp_exclusive_scan_kernelIiLj256ELj64EENSt9enable_ifIXsr10test_utilsE35device_test_enabled_for_warp_size_vIXT1_EEEvE4typeEPT_S4_S3_.has_dyn_sized_stack, 0
	.set _Z26warp_exclusive_scan_kernelIiLj256ELj64EENSt9enable_ifIXsr10test_utilsE35device_test_enabled_for_warp_size_vIXT1_EEEvE4typeEPT_S4_S3_.has_recursion, 0
	.set _Z26warp_exclusive_scan_kernelIiLj256ELj64EENSt9enable_ifIXsr10test_utilsE35device_test_enabled_for_warp_size_vIXT1_EEEvE4typeEPT_S4_S3_.has_indirect_call, 0
	.section	.AMDGPU.csdata,"",@progbits
; Kernel info:
; codeLenInByte = 360
; TotalNumSgprs: 13
; NumVgprs: 9
; ScratchSize: 0
; MemoryBound: 0
; FloatMode: 240
; IeeeMode: 1
; LDSByteSize: 0 bytes/workgroup (compile time only)
; SGPRBlocks: 1
; VGPRBlocks: 2
; NumSGPRsForWavesPerEU: 13
; NumVGPRsForWavesPerEU: 9
; Occupancy: 10
; WaveLimiterHint : 0
; COMPUTE_PGM_RSRC2:SCRATCH_EN: 0
; COMPUTE_PGM_RSRC2:USER_SGPR: 6
; COMPUTE_PGM_RSRC2:TRAP_HANDLER: 0
; COMPUTE_PGM_RSRC2:TGID_X_EN: 1
; COMPUTE_PGM_RSRC2:TGID_Y_EN: 0
; COMPUTE_PGM_RSRC2:TGID_Z_EN: 0
; COMPUTE_PGM_RSRC2:TIDIG_COMP_CNT: 0
	.section	.text._Z26warp_exclusive_scan_kernelIiLj128ELj32EENSt9enable_ifIXsr10test_utilsE35device_test_enabled_for_warp_size_vIXT1_EEEvE4typeEPT_S4_S3_,"axG",@progbits,_Z26warp_exclusive_scan_kernelIiLj128ELj32EENSt9enable_ifIXsr10test_utilsE35device_test_enabled_for_warp_size_vIXT1_EEEvE4typeEPT_S4_S3_,comdat
	.protected	_Z26warp_exclusive_scan_kernelIiLj128ELj32EENSt9enable_ifIXsr10test_utilsE35device_test_enabled_for_warp_size_vIXT1_EEEvE4typeEPT_S4_S3_ ; -- Begin function _Z26warp_exclusive_scan_kernelIiLj128ELj32EENSt9enable_ifIXsr10test_utilsE35device_test_enabled_for_warp_size_vIXT1_EEEvE4typeEPT_S4_S3_
	.globl	_Z26warp_exclusive_scan_kernelIiLj128ELj32EENSt9enable_ifIXsr10test_utilsE35device_test_enabled_for_warp_size_vIXT1_EEEvE4typeEPT_S4_S3_
	.p2align	8
	.type	_Z26warp_exclusive_scan_kernelIiLj128ELj32EENSt9enable_ifIXsr10test_utilsE35device_test_enabled_for_warp_size_vIXT1_EEEvE4typeEPT_S4_S3_,@function
_Z26warp_exclusive_scan_kernelIiLj128ELj32EENSt9enable_ifIXsr10test_utilsE35device_test_enabled_for_warp_size_vIXT1_EEEvE4typeEPT_S4_S3_: ; @_Z26warp_exclusive_scan_kernelIiLj128ELj32EENSt9enable_ifIXsr10test_utilsE35device_test_enabled_for_warp_size_vIXT1_EEEvE4typeEPT_S4_S3_
; %bb.0:
	s_load_dword s7, s[4:5], 0x24
	s_load_dwordx4 s[0:3], s[4:5], 0x0
	s_load_dword s8, s[4:5], 0x10
	v_mov_b32_e32 v1, 0
	s_waitcnt lgkmcnt(0)
	s_and_b32 s4, s7, 0xffff
	s_mul_i32 s6, s6, s4
	v_add_u32_e32 v0, s6, v0
	v_lshlrev_b64 v[0:1], 2, v[0:1]
	v_mov_b32_e32 v3, s1
	v_add_co_u32_e32 v2, vcc, s0, v0
	v_addc_co_u32_e32 v3, vcc, v3, v1, vcc
	global_load_dword v2, v[2:3], off
	v_mbcnt_lo_u32_b32 v3, -1, 0
	v_mbcnt_hi_u32_b32 v3, -1, v3
	v_add_u32_e32 v6, -1, v3
	v_and_b32_e32 v7, 0x60, v3
	v_and_b32_e32 v4, 15, v3
	v_cmp_lt_i32_e32 vcc, v6, v7
	v_cndmask_b32_e32 v6, v6, v3, vcc
	v_cmp_ne_u32_e32 vcc, 0, v4
	v_bfe_i32 v5, v3, 4, 1
	v_lshlrev_b32_e32 v6, 2, v6
	v_and_b32_e32 v3, 31, v3
	s_waitcnt vmcnt(0)
	v_mov_b32_dpp v7, v2 row_shr:1 row_mask:0xf bank_mask:0xf
	v_cndmask_b32_e32 v7, 0, v7, vcc
	v_add_u32_e32 v2, v7, v2
	v_cmp_lt_u32_e32 vcc, 1, v4
	s_nop 0
	v_mov_b32_dpp v7, v2 row_shr:2 row_mask:0xf bank_mask:0xf
	v_cndmask_b32_e32 v7, 0, v7, vcc
	v_add_u32_e32 v2, v2, v7
	v_cmp_lt_u32_e32 vcc, 3, v4
	s_nop 0
	;; [unrolled: 5-line block ×3, first 2 shown]
	v_mov_b32_dpp v7, v2 row_shr:8 row_mask:0xf bank_mask:0xf
	v_cndmask_b32_e32 v4, 0, v7, vcc
	v_add_u32_e32 v2, v2, v4
	v_cmp_eq_u32_e32 vcc, 0, v3
	s_nop 0
	v_mov_b32_dpp v4, v2 row_bcast:15 row_mask:0xf bank_mask:0xf
	v_and_b32_e32 v4, v5, v4
	v_add3_u32 v2, v4, s8, v2
	ds_bpermute_b32 v2, v6, v2
	v_mov_b32_e32 v4, s8
	v_mov_b32_e32 v5, s3
	s_waitcnt lgkmcnt(0)
	v_cndmask_b32_e32 v2, v2, v4, vcc
	v_add_co_u32_e32 v0, vcc, s2, v0
	v_addc_co_u32_e32 v1, vcc, v5, v1, vcc
	global_store_dword v[0:1], v2, off
	s_endpgm
	.section	.rodata,"a",@progbits
	.p2align	6, 0x0
	.amdhsa_kernel _Z26warp_exclusive_scan_kernelIiLj128ELj32EENSt9enable_ifIXsr10test_utilsE35device_test_enabled_for_warp_size_vIXT1_EEEvE4typeEPT_S4_S3_
		.amdhsa_group_segment_fixed_size 0
		.amdhsa_private_segment_fixed_size 0
		.amdhsa_kernarg_size 280
		.amdhsa_user_sgpr_count 6
		.amdhsa_user_sgpr_private_segment_buffer 1
		.amdhsa_user_sgpr_dispatch_ptr 0
		.amdhsa_user_sgpr_queue_ptr 0
		.amdhsa_user_sgpr_kernarg_segment_ptr 1
		.amdhsa_user_sgpr_dispatch_id 0
		.amdhsa_user_sgpr_flat_scratch_init 0
		.amdhsa_user_sgpr_private_segment_size 0
		.amdhsa_uses_dynamic_stack 0
		.amdhsa_system_sgpr_private_segment_wavefront_offset 0
		.amdhsa_system_sgpr_workgroup_id_x 1
		.amdhsa_system_sgpr_workgroup_id_y 0
		.amdhsa_system_sgpr_workgroup_id_z 0
		.amdhsa_system_sgpr_workgroup_info 0
		.amdhsa_system_vgpr_workitem_id 0
		.amdhsa_next_free_vgpr 8
		.amdhsa_next_free_sgpr 9
		.amdhsa_reserve_vcc 1
		.amdhsa_reserve_flat_scratch 0
		.amdhsa_float_round_mode_32 0
		.amdhsa_float_round_mode_16_64 0
		.amdhsa_float_denorm_mode_32 3
		.amdhsa_float_denorm_mode_16_64 3
		.amdhsa_dx10_clamp 1
		.amdhsa_ieee_mode 1
		.amdhsa_fp16_overflow 0
		.amdhsa_exception_fp_ieee_invalid_op 0
		.amdhsa_exception_fp_denorm_src 0
		.amdhsa_exception_fp_ieee_div_zero 0
		.amdhsa_exception_fp_ieee_overflow 0
		.amdhsa_exception_fp_ieee_underflow 0
		.amdhsa_exception_fp_ieee_inexact 0
		.amdhsa_exception_int_div_zero 0
	.end_amdhsa_kernel
	.section	.text._Z26warp_exclusive_scan_kernelIiLj128ELj32EENSt9enable_ifIXsr10test_utilsE35device_test_enabled_for_warp_size_vIXT1_EEEvE4typeEPT_S4_S3_,"axG",@progbits,_Z26warp_exclusive_scan_kernelIiLj128ELj32EENSt9enable_ifIXsr10test_utilsE35device_test_enabled_for_warp_size_vIXT1_EEEvE4typeEPT_S4_S3_,comdat
.Lfunc_end160:
	.size	_Z26warp_exclusive_scan_kernelIiLj128ELj32EENSt9enable_ifIXsr10test_utilsE35device_test_enabled_for_warp_size_vIXT1_EEEvE4typeEPT_S4_S3_, .Lfunc_end160-_Z26warp_exclusive_scan_kernelIiLj128ELj32EENSt9enable_ifIXsr10test_utilsE35device_test_enabled_for_warp_size_vIXT1_EEEvE4typeEPT_S4_S3_
                                        ; -- End function
	.set _Z26warp_exclusive_scan_kernelIiLj128ELj32EENSt9enable_ifIXsr10test_utilsE35device_test_enabled_for_warp_size_vIXT1_EEEvE4typeEPT_S4_S3_.num_vgpr, 8
	.set _Z26warp_exclusive_scan_kernelIiLj128ELj32EENSt9enable_ifIXsr10test_utilsE35device_test_enabled_for_warp_size_vIXT1_EEEvE4typeEPT_S4_S3_.num_agpr, 0
	.set _Z26warp_exclusive_scan_kernelIiLj128ELj32EENSt9enable_ifIXsr10test_utilsE35device_test_enabled_for_warp_size_vIXT1_EEEvE4typeEPT_S4_S3_.numbered_sgpr, 9
	.set _Z26warp_exclusive_scan_kernelIiLj128ELj32EENSt9enable_ifIXsr10test_utilsE35device_test_enabled_for_warp_size_vIXT1_EEEvE4typeEPT_S4_S3_.num_named_barrier, 0
	.set _Z26warp_exclusive_scan_kernelIiLj128ELj32EENSt9enable_ifIXsr10test_utilsE35device_test_enabled_for_warp_size_vIXT1_EEEvE4typeEPT_S4_S3_.private_seg_size, 0
	.set _Z26warp_exclusive_scan_kernelIiLj128ELj32EENSt9enable_ifIXsr10test_utilsE35device_test_enabled_for_warp_size_vIXT1_EEEvE4typeEPT_S4_S3_.uses_vcc, 1
	.set _Z26warp_exclusive_scan_kernelIiLj128ELj32EENSt9enable_ifIXsr10test_utilsE35device_test_enabled_for_warp_size_vIXT1_EEEvE4typeEPT_S4_S3_.uses_flat_scratch, 0
	.set _Z26warp_exclusive_scan_kernelIiLj128ELj32EENSt9enable_ifIXsr10test_utilsE35device_test_enabled_for_warp_size_vIXT1_EEEvE4typeEPT_S4_S3_.has_dyn_sized_stack, 0
	.set _Z26warp_exclusive_scan_kernelIiLj128ELj32EENSt9enable_ifIXsr10test_utilsE35device_test_enabled_for_warp_size_vIXT1_EEEvE4typeEPT_S4_S3_.has_recursion, 0
	.set _Z26warp_exclusive_scan_kernelIiLj128ELj32EENSt9enable_ifIXsr10test_utilsE35device_test_enabled_for_warp_size_vIXT1_EEEvE4typeEPT_S4_S3_.has_indirect_call, 0
	.section	.AMDGPU.csdata,"",@progbits
; Kernel info:
; codeLenInByte = 300
; TotalNumSgprs: 13
; NumVgprs: 8
; ScratchSize: 0
; MemoryBound: 0
; FloatMode: 240
; IeeeMode: 1
; LDSByteSize: 0 bytes/workgroup (compile time only)
; SGPRBlocks: 1
; VGPRBlocks: 1
; NumSGPRsForWavesPerEU: 13
; NumVGPRsForWavesPerEU: 8
; Occupancy: 10
; WaveLimiterHint : 0
; COMPUTE_PGM_RSRC2:SCRATCH_EN: 0
; COMPUTE_PGM_RSRC2:USER_SGPR: 6
; COMPUTE_PGM_RSRC2:TRAP_HANDLER: 0
; COMPUTE_PGM_RSRC2:TGID_X_EN: 1
; COMPUTE_PGM_RSRC2:TGID_Y_EN: 0
; COMPUTE_PGM_RSRC2:TGID_Z_EN: 0
; COMPUTE_PGM_RSRC2:TIDIG_COMP_CNT: 0
	.section	.text._Z26warp_exclusive_scan_kernelIiLj64ELj16EENSt9enable_ifIXsr10test_utilsE35device_test_enabled_for_warp_size_vIXT1_EEEvE4typeEPT_S4_S3_,"axG",@progbits,_Z26warp_exclusive_scan_kernelIiLj64ELj16EENSt9enable_ifIXsr10test_utilsE35device_test_enabled_for_warp_size_vIXT1_EEEvE4typeEPT_S4_S3_,comdat
	.protected	_Z26warp_exclusive_scan_kernelIiLj64ELj16EENSt9enable_ifIXsr10test_utilsE35device_test_enabled_for_warp_size_vIXT1_EEEvE4typeEPT_S4_S3_ ; -- Begin function _Z26warp_exclusive_scan_kernelIiLj64ELj16EENSt9enable_ifIXsr10test_utilsE35device_test_enabled_for_warp_size_vIXT1_EEEvE4typeEPT_S4_S3_
	.globl	_Z26warp_exclusive_scan_kernelIiLj64ELj16EENSt9enable_ifIXsr10test_utilsE35device_test_enabled_for_warp_size_vIXT1_EEEvE4typeEPT_S4_S3_
	.p2align	8
	.type	_Z26warp_exclusive_scan_kernelIiLj64ELj16EENSt9enable_ifIXsr10test_utilsE35device_test_enabled_for_warp_size_vIXT1_EEEvE4typeEPT_S4_S3_,@function
_Z26warp_exclusive_scan_kernelIiLj64ELj16EENSt9enable_ifIXsr10test_utilsE35device_test_enabled_for_warp_size_vIXT1_EEEvE4typeEPT_S4_S3_: ; @_Z26warp_exclusive_scan_kernelIiLj64ELj16EENSt9enable_ifIXsr10test_utilsE35device_test_enabled_for_warp_size_vIXT1_EEEvE4typeEPT_S4_S3_
; %bb.0:
	s_load_dword s7, s[4:5], 0x24
	s_load_dwordx4 s[0:3], s[4:5], 0x0
	s_load_dword s8, s[4:5], 0x10
	v_mov_b32_e32 v1, 0
	s_waitcnt lgkmcnt(0)
	s_and_b32 s4, s7, 0xffff
	s_mul_i32 s6, s6, s4
	v_add_u32_e32 v0, s6, v0
	v_lshlrev_b64 v[0:1], 2, v[0:1]
	v_mov_b32_e32 v3, s1
	v_add_co_u32_e32 v2, vcc, s0, v0
	v_addc_co_u32_e32 v3, vcc, v3, v1, vcc
	global_load_dword v2, v[2:3], off
	v_mbcnt_lo_u32_b32 v3, -1, 0
	v_mbcnt_hi_u32_b32 v3, -1, v3
	v_add_u32_e32 v5, -1, v3
	v_and_b32_e32 v6, 0x70, v3
	v_and_b32_e32 v4, 15, v3
	v_cmp_lt_i32_e32 vcc, v5, v6
	v_cndmask_b32_e32 v3, v5, v3, vcc
	v_cmp_eq_u32_e32 vcc, 0, v4
	v_cmp_lt_u32_e64 s[0:1], 1, v4
	v_lshlrev_b32_e32 v3, 2, v3
	s_waitcnt vmcnt(0)
	v_mov_b32_dpp v5, v2 row_shr:1 row_mask:0xf bank_mask:0xf
	v_cndmask_b32_e64 v5, v5, 0, vcc
	v_add_u32_e32 v2, v5, v2
	s_nop 1
	v_mov_b32_dpp v5, v2 row_shr:2 row_mask:0xf bank_mask:0xf
	v_cndmask_b32_e64 v5, 0, v5, s[0:1]
	v_add_u32_e32 v2, v2, v5
	v_cmp_lt_u32_e64 s[0:1], 3, v4
	s_nop 0
	v_mov_b32_dpp v5, v2 row_shr:4 row_mask:0xf bank_mask:0xf
	v_cndmask_b32_e64 v5, 0, v5, s[0:1]
	v_add_u32_e32 v2, v2, v5
	v_cmp_lt_u32_e64 s[0:1], 7, v4
	s_nop 0
	v_mov_b32_dpp v5, v2 row_shr:8 row_mask:0xf bank_mask:0xf
	v_cndmask_b32_e64 v4, 0, v5, s[0:1]
	v_add3_u32 v2, v4, s8, v2
	ds_bpermute_b32 v2, v3, v2
	v_mov_b32_e32 v3, s8
	v_mov_b32_e32 v4, s3
	s_waitcnt lgkmcnt(0)
	v_cndmask_b32_e32 v2, v2, v3, vcc
	v_add_co_u32_e32 v0, vcc, s2, v0
	v_addc_co_u32_e32 v1, vcc, v4, v1, vcc
	global_store_dword v[0:1], v2, off
	s_endpgm
	.section	.rodata,"a",@progbits
	.p2align	6, 0x0
	.amdhsa_kernel _Z26warp_exclusive_scan_kernelIiLj64ELj16EENSt9enable_ifIXsr10test_utilsE35device_test_enabled_for_warp_size_vIXT1_EEEvE4typeEPT_S4_S3_
		.amdhsa_group_segment_fixed_size 0
		.amdhsa_private_segment_fixed_size 0
		.amdhsa_kernarg_size 280
		.amdhsa_user_sgpr_count 6
		.amdhsa_user_sgpr_private_segment_buffer 1
		.amdhsa_user_sgpr_dispatch_ptr 0
		.amdhsa_user_sgpr_queue_ptr 0
		.amdhsa_user_sgpr_kernarg_segment_ptr 1
		.amdhsa_user_sgpr_dispatch_id 0
		.amdhsa_user_sgpr_flat_scratch_init 0
		.amdhsa_user_sgpr_private_segment_size 0
		.amdhsa_uses_dynamic_stack 0
		.amdhsa_system_sgpr_private_segment_wavefront_offset 0
		.amdhsa_system_sgpr_workgroup_id_x 1
		.amdhsa_system_sgpr_workgroup_id_y 0
		.amdhsa_system_sgpr_workgroup_id_z 0
		.amdhsa_system_sgpr_workgroup_info 0
		.amdhsa_system_vgpr_workitem_id 0
		.amdhsa_next_free_vgpr 7
		.amdhsa_next_free_sgpr 9
		.amdhsa_reserve_vcc 1
		.amdhsa_reserve_flat_scratch 0
		.amdhsa_float_round_mode_32 0
		.amdhsa_float_round_mode_16_64 0
		.amdhsa_float_denorm_mode_32 3
		.amdhsa_float_denorm_mode_16_64 3
		.amdhsa_dx10_clamp 1
		.amdhsa_ieee_mode 1
		.amdhsa_fp16_overflow 0
		.amdhsa_exception_fp_ieee_invalid_op 0
		.amdhsa_exception_fp_denorm_src 0
		.amdhsa_exception_fp_ieee_div_zero 0
		.amdhsa_exception_fp_ieee_overflow 0
		.amdhsa_exception_fp_ieee_underflow 0
		.amdhsa_exception_fp_ieee_inexact 0
		.amdhsa_exception_int_div_zero 0
	.end_amdhsa_kernel
	.section	.text._Z26warp_exclusive_scan_kernelIiLj64ELj16EENSt9enable_ifIXsr10test_utilsE35device_test_enabled_for_warp_size_vIXT1_EEEvE4typeEPT_S4_S3_,"axG",@progbits,_Z26warp_exclusive_scan_kernelIiLj64ELj16EENSt9enable_ifIXsr10test_utilsE35device_test_enabled_for_warp_size_vIXT1_EEEvE4typeEPT_S4_S3_,comdat
.Lfunc_end161:
	.size	_Z26warp_exclusive_scan_kernelIiLj64ELj16EENSt9enable_ifIXsr10test_utilsE35device_test_enabled_for_warp_size_vIXT1_EEEvE4typeEPT_S4_S3_, .Lfunc_end161-_Z26warp_exclusive_scan_kernelIiLj64ELj16EENSt9enable_ifIXsr10test_utilsE35device_test_enabled_for_warp_size_vIXT1_EEEvE4typeEPT_S4_S3_
                                        ; -- End function
	.set _Z26warp_exclusive_scan_kernelIiLj64ELj16EENSt9enable_ifIXsr10test_utilsE35device_test_enabled_for_warp_size_vIXT1_EEEvE4typeEPT_S4_S3_.num_vgpr, 7
	.set _Z26warp_exclusive_scan_kernelIiLj64ELj16EENSt9enable_ifIXsr10test_utilsE35device_test_enabled_for_warp_size_vIXT1_EEEvE4typeEPT_S4_S3_.num_agpr, 0
	.set _Z26warp_exclusive_scan_kernelIiLj64ELj16EENSt9enable_ifIXsr10test_utilsE35device_test_enabled_for_warp_size_vIXT1_EEEvE4typeEPT_S4_S3_.numbered_sgpr, 9
	.set _Z26warp_exclusive_scan_kernelIiLj64ELj16EENSt9enable_ifIXsr10test_utilsE35device_test_enabled_for_warp_size_vIXT1_EEEvE4typeEPT_S4_S3_.num_named_barrier, 0
	.set _Z26warp_exclusive_scan_kernelIiLj64ELj16EENSt9enable_ifIXsr10test_utilsE35device_test_enabled_for_warp_size_vIXT1_EEEvE4typeEPT_S4_S3_.private_seg_size, 0
	.set _Z26warp_exclusive_scan_kernelIiLj64ELj16EENSt9enable_ifIXsr10test_utilsE35device_test_enabled_for_warp_size_vIXT1_EEEvE4typeEPT_S4_S3_.uses_vcc, 1
	.set _Z26warp_exclusive_scan_kernelIiLj64ELj16EENSt9enable_ifIXsr10test_utilsE35device_test_enabled_for_warp_size_vIXT1_EEEvE4typeEPT_S4_S3_.uses_flat_scratch, 0
	.set _Z26warp_exclusive_scan_kernelIiLj64ELj16EENSt9enable_ifIXsr10test_utilsE35device_test_enabled_for_warp_size_vIXT1_EEEvE4typeEPT_S4_S3_.has_dyn_sized_stack, 0
	.set _Z26warp_exclusive_scan_kernelIiLj64ELj16EENSt9enable_ifIXsr10test_utilsE35device_test_enabled_for_warp_size_vIXT1_EEEvE4typeEPT_S4_S3_.has_recursion, 0
	.set _Z26warp_exclusive_scan_kernelIiLj64ELj16EENSt9enable_ifIXsr10test_utilsE35device_test_enabled_for_warp_size_vIXT1_EEEvE4typeEPT_S4_S3_.has_indirect_call, 0
	.section	.AMDGPU.csdata,"",@progbits
; Kernel info:
; codeLenInByte = 292
; TotalNumSgprs: 13
; NumVgprs: 7
; ScratchSize: 0
; MemoryBound: 0
; FloatMode: 240
; IeeeMode: 1
; LDSByteSize: 0 bytes/workgroup (compile time only)
; SGPRBlocks: 1
; VGPRBlocks: 1
; NumSGPRsForWavesPerEU: 13
; NumVGPRsForWavesPerEU: 7
; Occupancy: 10
; WaveLimiterHint : 0
; COMPUTE_PGM_RSRC2:SCRATCH_EN: 0
; COMPUTE_PGM_RSRC2:USER_SGPR: 6
; COMPUTE_PGM_RSRC2:TRAP_HANDLER: 0
; COMPUTE_PGM_RSRC2:TGID_X_EN: 1
; COMPUTE_PGM_RSRC2:TGID_Y_EN: 0
; COMPUTE_PGM_RSRC2:TGID_Z_EN: 0
; COMPUTE_PGM_RSRC2:TIDIG_COMP_CNT: 0
	.section	.text._Z26warp_exclusive_scan_kernelIiLj32ELj8EENSt9enable_ifIXsr10test_utilsE35device_test_enabled_for_warp_size_vIXT1_EEEvE4typeEPT_S4_S3_,"axG",@progbits,_Z26warp_exclusive_scan_kernelIiLj32ELj8EENSt9enable_ifIXsr10test_utilsE35device_test_enabled_for_warp_size_vIXT1_EEEvE4typeEPT_S4_S3_,comdat
	.protected	_Z26warp_exclusive_scan_kernelIiLj32ELj8EENSt9enable_ifIXsr10test_utilsE35device_test_enabled_for_warp_size_vIXT1_EEEvE4typeEPT_S4_S3_ ; -- Begin function _Z26warp_exclusive_scan_kernelIiLj32ELj8EENSt9enable_ifIXsr10test_utilsE35device_test_enabled_for_warp_size_vIXT1_EEEvE4typeEPT_S4_S3_
	.globl	_Z26warp_exclusive_scan_kernelIiLj32ELj8EENSt9enable_ifIXsr10test_utilsE35device_test_enabled_for_warp_size_vIXT1_EEEvE4typeEPT_S4_S3_
	.p2align	8
	.type	_Z26warp_exclusive_scan_kernelIiLj32ELj8EENSt9enable_ifIXsr10test_utilsE35device_test_enabled_for_warp_size_vIXT1_EEEvE4typeEPT_S4_S3_,@function
_Z26warp_exclusive_scan_kernelIiLj32ELj8EENSt9enable_ifIXsr10test_utilsE35device_test_enabled_for_warp_size_vIXT1_EEEvE4typeEPT_S4_S3_: ; @_Z26warp_exclusive_scan_kernelIiLj32ELj8EENSt9enable_ifIXsr10test_utilsE35device_test_enabled_for_warp_size_vIXT1_EEEvE4typeEPT_S4_S3_
; %bb.0:
	s_load_dword s7, s[4:5], 0x24
	s_load_dwordx4 s[0:3], s[4:5], 0x0
	s_load_dword s8, s[4:5], 0x10
	v_mov_b32_e32 v1, 0
	s_waitcnt lgkmcnt(0)
	s_and_b32 s4, s7, 0xffff
	s_mul_i32 s6, s6, s4
	v_add_u32_e32 v0, s6, v0
	v_lshlrev_b64 v[0:1], 2, v[0:1]
	v_mov_b32_e32 v3, s1
	v_add_co_u32_e32 v2, vcc, s0, v0
	v_addc_co_u32_e32 v3, vcc, v3, v1, vcc
	global_load_dword v2, v[2:3], off
	v_mbcnt_lo_u32_b32 v3, -1, 0
	v_mbcnt_hi_u32_b32 v3, -1, v3
	v_add_u32_e32 v5, -1, v3
	v_and_b32_e32 v6, 0x78, v3
	v_and_b32_e32 v4, 7, v3
	v_cmp_lt_i32_e32 vcc, v5, v6
	v_cndmask_b32_e32 v3, v5, v3, vcc
	v_cmp_eq_u32_e32 vcc, 0, v4
	v_cmp_lt_u32_e64 s[0:1], 1, v4
	v_lshlrev_b32_e32 v3, 2, v3
	s_waitcnt vmcnt(0)
	v_mov_b32_dpp v5, v2 row_shr:1 row_mask:0xf bank_mask:0xf
	v_cndmask_b32_e64 v5, v5, 0, vcc
	v_add_u32_e32 v2, v5, v2
	s_nop 1
	v_mov_b32_dpp v5, v2 row_shr:2 row_mask:0xf bank_mask:0xf
	v_cndmask_b32_e64 v5, 0, v5, s[0:1]
	v_add_u32_e32 v2, v2, v5
	v_cmp_lt_u32_e64 s[0:1], 3, v4
	s_nop 0
	v_mov_b32_dpp v5, v2 row_shr:4 row_mask:0xf bank_mask:0xf
	v_cndmask_b32_e64 v4, 0, v5, s[0:1]
	v_add3_u32 v2, v4, s8, v2
	ds_bpermute_b32 v2, v3, v2
	v_mov_b32_e32 v3, s8
	v_mov_b32_e32 v4, s3
	s_waitcnt lgkmcnt(0)
	v_cndmask_b32_e32 v2, v2, v3, vcc
	v_add_co_u32_e32 v0, vcc, s2, v0
	v_addc_co_u32_e32 v1, vcc, v4, v1, vcc
	global_store_dword v[0:1], v2, off
	s_endpgm
	.section	.rodata,"a",@progbits
	.p2align	6, 0x0
	.amdhsa_kernel _Z26warp_exclusive_scan_kernelIiLj32ELj8EENSt9enable_ifIXsr10test_utilsE35device_test_enabled_for_warp_size_vIXT1_EEEvE4typeEPT_S4_S3_
		.amdhsa_group_segment_fixed_size 0
		.amdhsa_private_segment_fixed_size 0
		.amdhsa_kernarg_size 280
		.amdhsa_user_sgpr_count 6
		.amdhsa_user_sgpr_private_segment_buffer 1
		.amdhsa_user_sgpr_dispatch_ptr 0
		.amdhsa_user_sgpr_queue_ptr 0
		.amdhsa_user_sgpr_kernarg_segment_ptr 1
		.amdhsa_user_sgpr_dispatch_id 0
		.amdhsa_user_sgpr_flat_scratch_init 0
		.amdhsa_user_sgpr_private_segment_size 0
		.amdhsa_uses_dynamic_stack 0
		.amdhsa_system_sgpr_private_segment_wavefront_offset 0
		.amdhsa_system_sgpr_workgroup_id_x 1
		.amdhsa_system_sgpr_workgroup_id_y 0
		.amdhsa_system_sgpr_workgroup_id_z 0
		.amdhsa_system_sgpr_workgroup_info 0
		.amdhsa_system_vgpr_workitem_id 0
		.amdhsa_next_free_vgpr 7
		.amdhsa_next_free_sgpr 9
		.amdhsa_reserve_vcc 1
		.amdhsa_reserve_flat_scratch 0
		.amdhsa_float_round_mode_32 0
		.amdhsa_float_round_mode_16_64 0
		.amdhsa_float_denorm_mode_32 3
		.amdhsa_float_denorm_mode_16_64 3
		.amdhsa_dx10_clamp 1
		.amdhsa_ieee_mode 1
		.amdhsa_fp16_overflow 0
		.amdhsa_exception_fp_ieee_invalid_op 0
		.amdhsa_exception_fp_denorm_src 0
		.amdhsa_exception_fp_ieee_div_zero 0
		.amdhsa_exception_fp_ieee_overflow 0
		.amdhsa_exception_fp_ieee_underflow 0
		.amdhsa_exception_fp_ieee_inexact 0
		.amdhsa_exception_int_div_zero 0
	.end_amdhsa_kernel
	.section	.text._Z26warp_exclusive_scan_kernelIiLj32ELj8EENSt9enable_ifIXsr10test_utilsE35device_test_enabled_for_warp_size_vIXT1_EEEvE4typeEPT_S4_S3_,"axG",@progbits,_Z26warp_exclusive_scan_kernelIiLj32ELj8EENSt9enable_ifIXsr10test_utilsE35device_test_enabled_for_warp_size_vIXT1_EEEvE4typeEPT_S4_S3_,comdat
.Lfunc_end162:
	.size	_Z26warp_exclusive_scan_kernelIiLj32ELj8EENSt9enable_ifIXsr10test_utilsE35device_test_enabled_for_warp_size_vIXT1_EEEvE4typeEPT_S4_S3_, .Lfunc_end162-_Z26warp_exclusive_scan_kernelIiLj32ELj8EENSt9enable_ifIXsr10test_utilsE35device_test_enabled_for_warp_size_vIXT1_EEEvE4typeEPT_S4_S3_
                                        ; -- End function
	.set _Z26warp_exclusive_scan_kernelIiLj32ELj8EENSt9enable_ifIXsr10test_utilsE35device_test_enabled_for_warp_size_vIXT1_EEEvE4typeEPT_S4_S3_.num_vgpr, 7
	.set _Z26warp_exclusive_scan_kernelIiLj32ELj8EENSt9enable_ifIXsr10test_utilsE35device_test_enabled_for_warp_size_vIXT1_EEEvE4typeEPT_S4_S3_.num_agpr, 0
	.set _Z26warp_exclusive_scan_kernelIiLj32ELj8EENSt9enable_ifIXsr10test_utilsE35device_test_enabled_for_warp_size_vIXT1_EEEvE4typeEPT_S4_S3_.numbered_sgpr, 9
	.set _Z26warp_exclusive_scan_kernelIiLj32ELj8EENSt9enable_ifIXsr10test_utilsE35device_test_enabled_for_warp_size_vIXT1_EEEvE4typeEPT_S4_S3_.num_named_barrier, 0
	.set _Z26warp_exclusive_scan_kernelIiLj32ELj8EENSt9enable_ifIXsr10test_utilsE35device_test_enabled_for_warp_size_vIXT1_EEEvE4typeEPT_S4_S3_.private_seg_size, 0
	.set _Z26warp_exclusive_scan_kernelIiLj32ELj8EENSt9enable_ifIXsr10test_utilsE35device_test_enabled_for_warp_size_vIXT1_EEEvE4typeEPT_S4_S3_.uses_vcc, 1
	.set _Z26warp_exclusive_scan_kernelIiLj32ELj8EENSt9enable_ifIXsr10test_utilsE35device_test_enabled_for_warp_size_vIXT1_EEEvE4typeEPT_S4_S3_.uses_flat_scratch, 0
	.set _Z26warp_exclusive_scan_kernelIiLj32ELj8EENSt9enable_ifIXsr10test_utilsE35device_test_enabled_for_warp_size_vIXT1_EEEvE4typeEPT_S4_S3_.has_dyn_sized_stack, 0
	.set _Z26warp_exclusive_scan_kernelIiLj32ELj8EENSt9enable_ifIXsr10test_utilsE35device_test_enabled_for_warp_size_vIXT1_EEEvE4typeEPT_S4_S3_.has_recursion, 0
	.set _Z26warp_exclusive_scan_kernelIiLj32ELj8EENSt9enable_ifIXsr10test_utilsE35device_test_enabled_for_warp_size_vIXT1_EEEvE4typeEPT_S4_S3_.has_indirect_call, 0
	.section	.AMDGPU.csdata,"",@progbits
; Kernel info:
; codeLenInByte = 260
; TotalNumSgprs: 13
; NumVgprs: 7
; ScratchSize: 0
; MemoryBound: 0
; FloatMode: 240
; IeeeMode: 1
; LDSByteSize: 0 bytes/workgroup (compile time only)
; SGPRBlocks: 1
; VGPRBlocks: 1
; NumSGPRsForWavesPerEU: 13
; NumVGPRsForWavesPerEU: 7
; Occupancy: 10
; WaveLimiterHint : 0
; COMPUTE_PGM_RSRC2:SCRATCH_EN: 0
; COMPUTE_PGM_RSRC2:USER_SGPR: 6
; COMPUTE_PGM_RSRC2:TRAP_HANDLER: 0
; COMPUTE_PGM_RSRC2:TGID_X_EN: 1
; COMPUTE_PGM_RSRC2:TGID_Y_EN: 0
; COMPUTE_PGM_RSRC2:TGID_Z_EN: 0
; COMPUTE_PGM_RSRC2:TIDIG_COMP_CNT: 0
	.section	.text._Z26warp_exclusive_scan_kernelIiLj64ELj8EENSt9enable_ifIXsr10test_utilsE35device_test_enabled_for_warp_size_vIXT1_EEEvE4typeEPT_S4_S3_,"axG",@progbits,_Z26warp_exclusive_scan_kernelIiLj64ELj8EENSt9enable_ifIXsr10test_utilsE35device_test_enabled_for_warp_size_vIXT1_EEEvE4typeEPT_S4_S3_,comdat
	.protected	_Z26warp_exclusive_scan_kernelIiLj64ELj8EENSt9enable_ifIXsr10test_utilsE35device_test_enabled_for_warp_size_vIXT1_EEEvE4typeEPT_S4_S3_ ; -- Begin function _Z26warp_exclusive_scan_kernelIiLj64ELj8EENSt9enable_ifIXsr10test_utilsE35device_test_enabled_for_warp_size_vIXT1_EEEvE4typeEPT_S4_S3_
	.globl	_Z26warp_exclusive_scan_kernelIiLj64ELj8EENSt9enable_ifIXsr10test_utilsE35device_test_enabled_for_warp_size_vIXT1_EEEvE4typeEPT_S4_S3_
	.p2align	8
	.type	_Z26warp_exclusive_scan_kernelIiLj64ELj8EENSt9enable_ifIXsr10test_utilsE35device_test_enabled_for_warp_size_vIXT1_EEEvE4typeEPT_S4_S3_,@function
_Z26warp_exclusive_scan_kernelIiLj64ELj8EENSt9enable_ifIXsr10test_utilsE35device_test_enabled_for_warp_size_vIXT1_EEEvE4typeEPT_S4_S3_: ; @_Z26warp_exclusive_scan_kernelIiLj64ELj8EENSt9enable_ifIXsr10test_utilsE35device_test_enabled_for_warp_size_vIXT1_EEEvE4typeEPT_S4_S3_
; %bb.0:
	s_load_dword s7, s[4:5], 0x24
	s_load_dwordx4 s[0:3], s[4:5], 0x0
	s_load_dword s8, s[4:5], 0x10
	v_mov_b32_e32 v1, 0
	s_waitcnt lgkmcnt(0)
	s_and_b32 s4, s7, 0xffff
	s_mul_i32 s6, s6, s4
	v_add_u32_e32 v0, s6, v0
	v_lshlrev_b64 v[0:1], 2, v[0:1]
	v_mov_b32_e32 v3, s1
	v_add_co_u32_e32 v2, vcc, s0, v0
	v_addc_co_u32_e32 v3, vcc, v3, v1, vcc
	global_load_dword v2, v[2:3], off
	v_mbcnt_lo_u32_b32 v3, -1, 0
	v_mbcnt_hi_u32_b32 v3, -1, v3
	v_add_u32_e32 v5, -1, v3
	v_and_b32_e32 v6, 0x78, v3
	v_and_b32_e32 v4, 7, v3
	v_cmp_lt_i32_e32 vcc, v5, v6
	v_cndmask_b32_e32 v3, v5, v3, vcc
	v_cmp_eq_u32_e32 vcc, 0, v4
	v_cmp_lt_u32_e64 s[0:1], 1, v4
	v_lshlrev_b32_e32 v3, 2, v3
	s_waitcnt vmcnt(0)
	v_mov_b32_dpp v5, v2 row_shr:1 row_mask:0xf bank_mask:0xf
	v_cndmask_b32_e64 v5, v5, 0, vcc
	v_add_u32_e32 v2, v5, v2
	s_nop 1
	v_mov_b32_dpp v5, v2 row_shr:2 row_mask:0xf bank_mask:0xf
	v_cndmask_b32_e64 v5, 0, v5, s[0:1]
	v_add_u32_e32 v2, v2, v5
	v_cmp_lt_u32_e64 s[0:1], 3, v4
	s_nop 0
	v_mov_b32_dpp v5, v2 row_shr:4 row_mask:0xf bank_mask:0xf
	v_cndmask_b32_e64 v4, 0, v5, s[0:1]
	v_add3_u32 v2, v4, s8, v2
	ds_bpermute_b32 v2, v3, v2
	v_mov_b32_e32 v3, s8
	v_mov_b32_e32 v4, s3
	s_waitcnt lgkmcnt(0)
	v_cndmask_b32_e32 v2, v2, v3, vcc
	v_add_co_u32_e32 v0, vcc, s2, v0
	v_addc_co_u32_e32 v1, vcc, v4, v1, vcc
	global_store_dword v[0:1], v2, off
	s_endpgm
	.section	.rodata,"a",@progbits
	.p2align	6, 0x0
	.amdhsa_kernel _Z26warp_exclusive_scan_kernelIiLj64ELj8EENSt9enable_ifIXsr10test_utilsE35device_test_enabled_for_warp_size_vIXT1_EEEvE4typeEPT_S4_S3_
		.amdhsa_group_segment_fixed_size 0
		.amdhsa_private_segment_fixed_size 0
		.amdhsa_kernarg_size 280
		.amdhsa_user_sgpr_count 6
		.amdhsa_user_sgpr_private_segment_buffer 1
		.amdhsa_user_sgpr_dispatch_ptr 0
		.amdhsa_user_sgpr_queue_ptr 0
		.amdhsa_user_sgpr_kernarg_segment_ptr 1
		.amdhsa_user_sgpr_dispatch_id 0
		.amdhsa_user_sgpr_flat_scratch_init 0
		.amdhsa_user_sgpr_private_segment_size 0
		.amdhsa_uses_dynamic_stack 0
		.amdhsa_system_sgpr_private_segment_wavefront_offset 0
		.amdhsa_system_sgpr_workgroup_id_x 1
		.amdhsa_system_sgpr_workgroup_id_y 0
		.amdhsa_system_sgpr_workgroup_id_z 0
		.amdhsa_system_sgpr_workgroup_info 0
		.amdhsa_system_vgpr_workitem_id 0
		.amdhsa_next_free_vgpr 7
		.amdhsa_next_free_sgpr 9
		.amdhsa_reserve_vcc 1
		.amdhsa_reserve_flat_scratch 0
		.amdhsa_float_round_mode_32 0
		.amdhsa_float_round_mode_16_64 0
		.amdhsa_float_denorm_mode_32 3
		.amdhsa_float_denorm_mode_16_64 3
		.amdhsa_dx10_clamp 1
		.amdhsa_ieee_mode 1
		.amdhsa_fp16_overflow 0
		.amdhsa_exception_fp_ieee_invalid_op 0
		.amdhsa_exception_fp_denorm_src 0
		.amdhsa_exception_fp_ieee_div_zero 0
		.amdhsa_exception_fp_ieee_overflow 0
		.amdhsa_exception_fp_ieee_underflow 0
		.amdhsa_exception_fp_ieee_inexact 0
		.amdhsa_exception_int_div_zero 0
	.end_amdhsa_kernel
	.section	.text._Z26warp_exclusive_scan_kernelIiLj64ELj8EENSt9enable_ifIXsr10test_utilsE35device_test_enabled_for_warp_size_vIXT1_EEEvE4typeEPT_S4_S3_,"axG",@progbits,_Z26warp_exclusive_scan_kernelIiLj64ELj8EENSt9enable_ifIXsr10test_utilsE35device_test_enabled_for_warp_size_vIXT1_EEEvE4typeEPT_S4_S3_,comdat
.Lfunc_end163:
	.size	_Z26warp_exclusive_scan_kernelIiLj64ELj8EENSt9enable_ifIXsr10test_utilsE35device_test_enabled_for_warp_size_vIXT1_EEEvE4typeEPT_S4_S3_, .Lfunc_end163-_Z26warp_exclusive_scan_kernelIiLj64ELj8EENSt9enable_ifIXsr10test_utilsE35device_test_enabled_for_warp_size_vIXT1_EEEvE4typeEPT_S4_S3_
                                        ; -- End function
	.set _Z26warp_exclusive_scan_kernelIiLj64ELj8EENSt9enable_ifIXsr10test_utilsE35device_test_enabled_for_warp_size_vIXT1_EEEvE4typeEPT_S4_S3_.num_vgpr, 7
	.set _Z26warp_exclusive_scan_kernelIiLj64ELj8EENSt9enable_ifIXsr10test_utilsE35device_test_enabled_for_warp_size_vIXT1_EEEvE4typeEPT_S4_S3_.num_agpr, 0
	.set _Z26warp_exclusive_scan_kernelIiLj64ELj8EENSt9enable_ifIXsr10test_utilsE35device_test_enabled_for_warp_size_vIXT1_EEEvE4typeEPT_S4_S3_.numbered_sgpr, 9
	.set _Z26warp_exclusive_scan_kernelIiLj64ELj8EENSt9enable_ifIXsr10test_utilsE35device_test_enabled_for_warp_size_vIXT1_EEEvE4typeEPT_S4_S3_.num_named_barrier, 0
	.set _Z26warp_exclusive_scan_kernelIiLj64ELj8EENSt9enable_ifIXsr10test_utilsE35device_test_enabled_for_warp_size_vIXT1_EEEvE4typeEPT_S4_S3_.private_seg_size, 0
	.set _Z26warp_exclusive_scan_kernelIiLj64ELj8EENSt9enable_ifIXsr10test_utilsE35device_test_enabled_for_warp_size_vIXT1_EEEvE4typeEPT_S4_S3_.uses_vcc, 1
	.set _Z26warp_exclusive_scan_kernelIiLj64ELj8EENSt9enable_ifIXsr10test_utilsE35device_test_enabled_for_warp_size_vIXT1_EEEvE4typeEPT_S4_S3_.uses_flat_scratch, 0
	.set _Z26warp_exclusive_scan_kernelIiLj64ELj8EENSt9enable_ifIXsr10test_utilsE35device_test_enabled_for_warp_size_vIXT1_EEEvE4typeEPT_S4_S3_.has_dyn_sized_stack, 0
	.set _Z26warp_exclusive_scan_kernelIiLj64ELj8EENSt9enable_ifIXsr10test_utilsE35device_test_enabled_for_warp_size_vIXT1_EEEvE4typeEPT_S4_S3_.has_recursion, 0
	.set _Z26warp_exclusive_scan_kernelIiLj64ELj8EENSt9enable_ifIXsr10test_utilsE35device_test_enabled_for_warp_size_vIXT1_EEEvE4typeEPT_S4_S3_.has_indirect_call, 0
	.section	.AMDGPU.csdata,"",@progbits
; Kernel info:
; codeLenInByte = 260
; TotalNumSgprs: 13
; NumVgprs: 7
; ScratchSize: 0
; MemoryBound: 0
; FloatMode: 240
; IeeeMode: 1
; LDSByteSize: 0 bytes/workgroup (compile time only)
; SGPRBlocks: 1
; VGPRBlocks: 1
; NumSGPRsForWavesPerEU: 13
; NumVGPRsForWavesPerEU: 7
; Occupancy: 10
; WaveLimiterHint : 0
; COMPUTE_PGM_RSRC2:SCRATCH_EN: 0
; COMPUTE_PGM_RSRC2:USER_SGPR: 6
; COMPUTE_PGM_RSRC2:TRAP_HANDLER: 0
; COMPUTE_PGM_RSRC2:TGID_X_EN: 1
; COMPUTE_PGM_RSRC2:TGID_Y_EN: 0
; COMPUTE_PGM_RSRC2:TGID_Z_EN: 0
; COMPUTE_PGM_RSRC2:TIDIG_COMP_CNT: 0
	.section	.text._Z26warp_exclusive_scan_kernelIiLj32ELj4EENSt9enable_ifIXsr10test_utilsE35device_test_enabled_for_warp_size_vIXT1_EEEvE4typeEPT_S4_S3_,"axG",@progbits,_Z26warp_exclusive_scan_kernelIiLj32ELj4EENSt9enable_ifIXsr10test_utilsE35device_test_enabled_for_warp_size_vIXT1_EEEvE4typeEPT_S4_S3_,comdat
	.protected	_Z26warp_exclusive_scan_kernelIiLj32ELj4EENSt9enable_ifIXsr10test_utilsE35device_test_enabled_for_warp_size_vIXT1_EEEvE4typeEPT_S4_S3_ ; -- Begin function _Z26warp_exclusive_scan_kernelIiLj32ELj4EENSt9enable_ifIXsr10test_utilsE35device_test_enabled_for_warp_size_vIXT1_EEEvE4typeEPT_S4_S3_
	.globl	_Z26warp_exclusive_scan_kernelIiLj32ELj4EENSt9enable_ifIXsr10test_utilsE35device_test_enabled_for_warp_size_vIXT1_EEEvE4typeEPT_S4_S3_
	.p2align	8
	.type	_Z26warp_exclusive_scan_kernelIiLj32ELj4EENSt9enable_ifIXsr10test_utilsE35device_test_enabled_for_warp_size_vIXT1_EEEvE4typeEPT_S4_S3_,@function
_Z26warp_exclusive_scan_kernelIiLj32ELj4EENSt9enable_ifIXsr10test_utilsE35device_test_enabled_for_warp_size_vIXT1_EEEvE4typeEPT_S4_S3_: ; @_Z26warp_exclusive_scan_kernelIiLj32ELj4EENSt9enable_ifIXsr10test_utilsE35device_test_enabled_for_warp_size_vIXT1_EEEvE4typeEPT_S4_S3_
; %bb.0:
	s_load_dword s7, s[4:5], 0x24
	s_load_dwordx4 s[0:3], s[4:5], 0x0
	s_load_dword s8, s[4:5], 0x10
	v_mov_b32_e32 v1, 0
	s_waitcnt lgkmcnt(0)
	s_and_b32 s4, s7, 0xffff
	s_mul_i32 s6, s6, s4
	v_add_u32_e32 v0, s6, v0
	v_lshlrev_b64 v[0:1], 2, v[0:1]
	v_mov_b32_e32 v3, s1
	v_add_co_u32_e32 v2, vcc, s0, v0
	v_addc_co_u32_e32 v3, vcc, v3, v1, vcc
	global_load_dword v2, v[2:3], off
	v_mbcnt_lo_u32_b32 v3, -1, 0
	v_mbcnt_hi_u32_b32 v3, -1, v3
	v_add_u32_e32 v5, -1, v3
	v_and_b32_e32 v6, 0x7c, v3
	v_and_b32_e32 v4, 3, v3
	v_cmp_lt_i32_e32 vcc, v5, v6
	v_cndmask_b32_e32 v3, v5, v3, vcc
	v_cmp_eq_u32_e32 vcc, 0, v4
	v_cmp_lt_u32_e64 s[0:1], 1, v4
	v_lshlrev_b32_e32 v3, 2, v3
	s_waitcnt vmcnt(0)
	v_mov_b32_dpp v5, v2 row_shr:1 row_mask:0xf bank_mask:0xf
	v_cndmask_b32_e64 v5, v5, 0, vcc
	v_add_u32_e32 v2, v5, v2
	s_nop 1
	v_mov_b32_dpp v5, v2 row_shr:2 row_mask:0xf bank_mask:0xf
	v_cndmask_b32_e64 v4, 0, v5, s[0:1]
	v_add3_u32 v2, v4, s8, v2
	ds_bpermute_b32 v2, v3, v2
	v_mov_b32_e32 v3, s8
	v_mov_b32_e32 v4, s3
	s_waitcnt lgkmcnt(0)
	v_cndmask_b32_e32 v2, v2, v3, vcc
	v_add_co_u32_e32 v0, vcc, s2, v0
	v_addc_co_u32_e32 v1, vcc, v4, v1, vcc
	global_store_dword v[0:1], v2, off
	s_endpgm
	.section	.rodata,"a",@progbits
	.p2align	6, 0x0
	.amdhsa_kernel _Z26warp_exclusive_scan_kernelIiLj32ELj4EENSt9enable_ifIXsr10test_utilsE35device_test_enabled_for_warp_size_vIXT1_EEEvE4typeEPT_S4_S3_
		.amdhsa_group_segment_fixed_size 0
		.amdhsa_private_segment_fixed_size 0
		.amdhsa_kernarg_size 280
		.amdhsa_user_sgpr_count 6
		.amdhsa_user_sgpr_private_segment_buffer 1
		.amdhsa_user_sgpr_dispatch_ptr 0
		.amdhsa_user_sgpr_queue_ptr 0
		.amdhsa_user_sgpr_kernarg_segment_ptr 1
		.amdhsa_user_sgpr_dispatch_id 0
		.amdhsa_user_sgpr_flat_scratch_init 0
		.amdhsa_user_sgpr_private_segment_size 0
		.amdhsa_uses_dynamic_stack 0
		.amdhsa_system_sgpr_private_segment_wavefront_offset 0
		.amdhsa_system_sgpr_workgroup_id_x 1
		.amdhsa_system_sgpr_workgroup_id_y 0
		.amdhsa_system_sgpr_workgroup_id_z 0
		.amdhsa_system_sgpr_workgroup_info 0
		.amdhsa_system_vgpr_workitem_id 0
		.amdhsa_next_free_vgpr 7
		.amdhsa_next_free_sgpr 9
		.amdhsa_reserve_vcc 1
		.amdhsa_reserve_flat_scratch 0
		.amdhsa_float_round_mode_32 0
		.amdhsa_float_round_mode_16_64 0
		.amdhsa_float_denorm_mode_32 3
		.amdhsa_float_denorm_mode_16_64 3
		.amdhsa_dx10_clamp 1
		.amdhsa_ieee_mode 1
		.amdhsa_fp16_overflow 0
		.amdhsa_exception_fp_ieee_invalid_op 0
		.amdhsa_exception_fp_denorm_src 0
		.amdhsa_exception_fp_ieee_div_zero 0
		.amdhsa_exception_fp_ieee_overflow 0
		.amdhsa_exception_fp_ieee_underflow 0
		.amdhsa_exception_fp_ieee_inexact 0
		.amdhsa_exception_int_div_zero 0
	.end_amdhsa_kernel
	.section	.text._Z26warp_exclusive_scan_kernelIiLj32ELj4EENSt9enable_ifIXsr10test_utilsE35device_test_enabled_for_warp_size_vIXT1_EEEvE4typeEPT_S4_S3_,"axG",@progbits,_Z26warp_exclusive_scan_kernelIiLj32ELj4EENSt9enable_ifIXsr10test_utilsE35device_test_enabled_for_warp_size_vIXT1_EEEvE4typeEPT_S4_S3_,comdat
.Lfunc_end164:
	.size	_Z26warp_exclusive_scan_kernelIiLj32ELj4EENSt9enable_ifIXsr10test_utilsE35device_test_enabled_for_warp_size_vIXT1_EEEvE4typeEPT_S4_S3_, .Lfunc_end164-_Z26warp_exclusive_scan_kernelIiLj32ELj4EENSt9enable_ifIXsr10test_utilsE35device_test_enabled_for_warp_size_vIXT1_EEEvE4typeEPT_S4_S3_
                                        ; -- End function
	.set _Z26warp_exclusive_scan_kernelIiLj32ELj4EENSt9enable_ifIXsr10test_utilsE35device_test_enabled_for_warp_size_vIXT1_EEEvE4typeEPT_S4_S3_.num_vgpr, 7
	.set _Z26warp_exclusive_scan_kernelIiLj32ELj4EENSt9enable_ifIXsr10test_utilsE35device_test_enabled_for_warp_size_vIXT1_EEEvE4typeEPT_S4_S3_.num_agpr, 0
	.set _Z26warp_exclusive_scan_kernelIiLj32ELj4EENSt9enable_ifIXsr10test_utilsE35device_test_enabled_for_warp_size_vIXT1_EEEvE4typeEPT_S4_S3_.numbered_sgpr, 9
	.set _Z26warp_exclusive_scan_kernelIiLj32ELj4EENSt9enable_ifIXsr10test_utilsE35device_test_enabled_for_warp_size_vIXT1_EEEvE4typeEPT_S4_S3_.num_named_barrier, 0
	.set _Z26warp_exclusive_scan_kernelIiLj32ELj4EENSt9enable_ifIXsr10test_utilsE35device_test_enabled_for_warp_size_vIXT1_EEEvE4typeEPT_S4_S3_.private_seg_size, 0
	.set _Z26warp_exclusive_scan_kernelIiLj32ELj4EENSt9enable_ifIXsr10test_utilsE35device_test_enabled_for_warp_size_vIXT1_EEEvE4typeEPT_S4_S3_.uses_vcc, 1
	.set _Z26warp_exclusive_scan_kernelIiLj32ELj4EENSt9enable_ifIXsr10test_utilsE35device_test_enabled_for_warp_size_vIXT1_EEEvE4typeEPT_S4_S3_.uses_flat_scratch, 0
	.set _Z26warp_exclusive_scan_kernelIiLj32ELj4EENSt9enable_ifIXsr10test_utilsE35device_test_enabled_for_warp_size_vIXT1_EEEvE4typeEPT_S4_S3_.has_dyn_sized_stack, 0
	.set _Z26warp_exclusive_scan_kernelIiLj32ELj4EENSt9enable_ifIXsr10test_utilsE35device_test_enabled_for_warp_size_vIXT1_EEEvE4typeEPT_S4_S3_.has_recursion, 0
	.set _Z26warp_exclusive_scan_kernelIiLj32ELj4EENSt9enable_ifIXsr10test_utilsE35device_test_enabled_for_warp_size_vIXT1_EEEvE4typeEPT_S4_S3_.has_indirect_call, 0
	.section	.AMDGPU.csdata,"",@progbits
; Kernel info:
; codeLenInByte = 228
; TotalNumSgprs: 13
; NumVgprs: 7
; ScratchSize: 0
; MemoryBound: 0
; FloatMode: 240
; IeeeMode: 1
; LDSByteSize: 0 bytes/workgroup (compile time only)
; SGPRBlocks: 1
; VGPRBlocks: 1
; NumSGPRsForWavesPerEU: 13
; NumVGPRsForWavesPerEU: 7
; Occupancy: 10
; WaveLimiterHint : 0
; COMPUTE_PGM_RSRC2:SCRATCH_EN: 0
; COMPUTE_PGM_RSRC2:USER_SGPR: 6
; COMPUTE_PGM_RSRC2:TRAP_HANDLER: 0
; COMPUTE_PGM_RSRC2:TGID_X_EN: 1
; COMPUTE_PGM_RSRC2:TGID_Y_EN: 0
; COMPUTE_PGM_RSRC2:TGID_Z_EN: 0
; COMPUTE_PGM_RSRC2:TIDIG_COMP_CNT: 0
	.section	.text._Z26warp_exclusive_scan_kernelIiLj64ELj4EENSt9enable_ifIXsr10test_utilsE35device_test_enabled_for_warp_size_vIXT1_EEEvE4typeEPT_S4_S3_,"axG",@progbits,_Z26warp_exclusive_scan_kernelIiLj64ELj4EENSt9enable_ifIXsr10test_utilsE35device_test_enabled_for_warp_size_vIXT1_EEEvE4typeEPT_S4_S3_,comdat
	.protected	_Z26warp_exclusive_scan_kernelIiLj64ELj4EENSt9enable_ifIXsr10test_utilsE35device_test_enabled_for_warp_size_vIXT1_EEEvE4typeEPT_S4_S3_ ; -- Begin function _Z26warp_exclusive_scan_kernelIiLj64ELj4EENSt9enable_ifIXsr10test_utilsE35device_test_enabled_for_warp_size_vIXT1_EEEvE4typeEPT_S4_S3_
	.globl	_Z26warp_exclusive_scan_kernelIiLj64ELj4EENSt9enable_ifIXsr10test_utilsE35device_test_enabled_for_warp_size_vIXT1_EEEvE4typeEPT_S4_S3_
	.p2align	8
	.type	_Z26warp_exclusive_scan_kernelIiLj64ELj4EENSt9enable_ifIXsr10test_utilsE35device_test_enabled_for_warp_size_vIXT1_EEEvE4typeEPT_S4_S3_,@function
_Z26warp_exclusive_scan_kernelIiLj64ELj4EENSt9enable_ifIXsr10test_utilsE35device_test_enabled_for_warp_size_vIXT1_EEEvE4typeEPT_S4_S3_: ; @_Z26warp_exclusive_scan_kernelIiLj64ELj4EENSt9enable_ifIXsr10test_utilsE35device_test_enabled_for_warp_size_vIXT1_EEEvE4typeEPT_S4_S3_
; %bb.0:
	s_load_dword s7, s[4:5], 0x24
	s_load_dwordx4 s[0:3], s[4:5], 0x0
	s_load_dword s8, s[4:5], 0x10
	v_mov_b32_e32 v1, 0
	s_waitcnt lgkmcnt(0)
	s_and_b32 s4, s7, 0xffff
	s_mul_i32 s6, s6, s4
	v_add_u32_e32 v0, s6, v0
	v_lshlrev_b64 v[0:1], 2, v[0:1]
	v_mov_b32_e32 v3, s1
	v_add_co_u32_e32 v2, vcc, s0, v0
	v_addc_co_u32_e32 v3, vcc, v3, v1, vcc
	global_load_dword v2, v[2:3], off
	v_mbcnt_lo_u32_b32 v3, -1, 0
	v_mbcnt_hi_u32_b32 v3, -1, v3
	v_add_u32_e32 v5, -1, v3
	v_and_b32_e32 v6, 0x7c, v3
	v_and_b32_e32 v4, 3, v3
	v_cmp_lt_i32_e32 vcc, v5, v6
	v_cndmask_b32_e32 v3, v5, v3, vcc
	v_cmp_eq_u32_e32 vcc, 0, v4
	v_cmp_lt_u32_e64 s[0:1], 1, v4
	v_lshlrev_b32_e32 v3, 2, v3
	s_waitcnt vmcnt(0)
	v_mov_b32_dpp v5, v2 row_shr:1 row_mask:0xf bank_mask:0xf
	v_cndmask_b32_e64 v5, v5, 0, vcc
	v_add_u32_e32 v2, v5, v2
	s_nop 1
	v_mov_b32_dpp v5, v2 row_shr:2 row_mask:0xf bank_mask:0xf
	v_cndmask_b32_e64 v4, 0, v5, s[0:1]
	v_add3_u32 v2, v4, s8, v2
	ds_bpermute_b32 v2, v3, v2
	v_mov_b32_e32 v3, s8
	v_mov_b32_e32 v4, s3
	s_waitcnt lgkmcnt(0)
	v_cndmask_b32_e32 v2, v2, v3, vcc
	v_add_co_u32_e32 v0, vcc, s2, v0
	v_addc_co_u32_e32 v1, vcc, v4, v1, vcc
	global_store_dword v[0:1], v2, off
	s_endpgm
	.section	.rodata,"a",@progbits
	.p2align	6, 0x0
	.amdhsa_kernel _Z26warp_exclusive_scan_kernelIiLj64ELj4EENSt9enable_ifIXsr10test_utilsE35device_test_enabled_for_warp_size_vIXT1_EEEvE4typeEPT_S4_S3_
		.amdhsa_group_segment_fixed_size 0
		.amdhsa_private_segment_fixed_size 0
		.amdhsa_kernarg_size 280
		.amdhsa_user_sgpr_count 6
		.amdhsa_user_sgpr_private_segment_buffer 1
		.amdhsa_user_sgpr_dispatch_ptr 0
		.amdhsa_user_sgpr_queue_ptr 0
		.amdhsa_user_sgpr_kernarg_segment_ptr 1
		.amdhsa_user_sgpr_dispatch_id 0
		.amdhsa_user_sgpr_flat_scratch_init 0
		.amdhsa_user_sgpr_private_segment_size 0
		.amdhsa_uses_dynamic_stack 0
		.amdhsa_system_sgpr_private_segment_wavefront_offset 0
		.amdhsa_system_sgpr_workgroup_id_x 1
		.amdhsa_system_sgpr_workgroup_id_y 0
		.amdhsa_system_sgpr_workgroup_id_z 0
		.amdhsa_system_sgpr_workgroup_info 0
		.amdhsa_system_vgpr_workitem_id 0
		.amdhsa_next_free_vgpr 7
		.amdhsa_next_free_sgpr 9
		.amdhsa_reserve_vcc 1
		.amdhsa_reserve_flat_scratch 0
		.amdhsa_float_round_mode_32 0
		.amdhsa_float_round_mode_16_64 0
		.amdhsa_float_denorm_mode_32 3
		.amdhsa_float_denorm_mode_16_64 3
		.amdhsa_dx10_clamp 1
		.amdhsa_ieee_mode 1
		.amdhsa_fp16_overflow 0
		.amdhsa_exception_fp_ieee_invalid_op 0
		.amdhsa_exception_fp_denorm_src 0
		.amdhsa_exception_fp_ieee_div_zero 0
		.amdhsa_exception_fp_ieee_overflow 0
		.amdhsa_exception_fp_ieee_underflow 0
		.amdhsa_exception_fp_ieee_inexact 0
		.amdhsa_exception_int_div_zero 0
	.end_amdhsa_kernel
	.section	.text._Z26warp_exclusive_scan_kernelIiLj64ELj4EENSt9enable_ifIXsr10test_utilsE35device_test_enabled_for_warp_size_vIXT1_EEEvE4typeEPT_S4_S3_,"axG",@progbits,_Z26warp_exclusive_scan_kernelIiLj64ELj4EENSt9enable_ifIXsr10test_utilsE35device_test_enabled_for_warp_size_vIXT1_EEEvE4typeEPT_S4_S3_,comdat
.Lfunc_end165:
	.size	_Z26warp_exclusive_scan_kernelIiLj64ELj4EENSt9enable_ifIXsr10test_utilsE35device_test_enabled_for_warp_size_vIXT1_EEEvE4typeEPT_S4_S3_, .Lfunc_end165-_Z26warp_exclusive_scan_kernelIiLj64ELj4EENSt9enable_ifIXsr10test_utilsE35device_test_enabled_for_warp_size_vIXT1_EEEvE4typeEPT_S4_S3_
                                        ; -- End function
	.set _Z26warp_exclusive_scan_kernelIiLj64ELj4EENSt9enable_ifIXsr10test_utilsE35device_test_enabled_for_warp_size_vIXT1_EEEvE4typeEPT_S4_S3_.num_vgpr, 7
	.set _Z26warp_exclusive_scan_kernelIiLj64ELj4EENSt9enable_ifIXsr10test_utilsE35device_test_enabled_for_warp_size_vIXT1_EEEvE4typeEPT_S4_S3_.num_agpr, 0
	.set _Z26warp_exclusive_scan_kernelIiLj64ELj4EENSt9enable_ifIXsr10test_utilsE35device_test_enabled_for_warp_size_vIXT1_EEEvE4typeEPT_S4_S3_.numbered_sgpr, 9
	.set _Z26warp_exclusive_scan_kernelIiLj64ELj4EENSt9enable_ifIXsr10test_utilsE35device_test_enabled_for_warp_size_vIXT1_EEEvE4typeEPT_S4_S3_.num_named_barrier, 0
	.set _Z26warp_exclusive_scan_kernelIiLj64ELj4EENSt9enable_ifIXsr10test_utilsE35device_test_enabled_for_warp_size_vIXT1_EEEvE4typeEPT_S4_S3_.private_seg_size, 0
	.set _Z26warp_exclusive_scan_kernelIiLj64ELj4EENSt9enable_ifIXsr10test_utilsE35device_test_enabled_for_warp_size_vIXT1_EEEvE4typeEPT_S4_S3_.uses_vcc, 1
	.set _Z26warp_exclusive_scan_kernelIiLj64ELj4EENSt9enable_ifIXsr10test_utilsE35device_test_enabled_for_warp_size_vIXT1_EEEvE4typeEPT_S4_S3_.uses_flat_scratch, 0
	.set _Z26warp_exclusive_scan_kernelIiLj64ELj4EENSt9enable_ifIXsr10test_utilsE35device_test_enabled_for_warp_size_vIXT1_EEEvE4typeEPT_S4_S3_.has_dyn_sized_stack, 0
	.set _Z26warp_exclusive_scan_kernelIiLj64ELj4EENSt9enable_ifIXsr10test_utilsE35device_test_enabled_for_warp_size_vIXT1_EEEvE4typeEPT_S4_S3_.has_recursion, 0
	.set _Z26warp_exclusive_scan_kernelIiLj64ELj4EENSt9enable_ifIXsr10test_utilsE35device_test_enabled_for_warp_size_vIXT1_EEEvE4typeEPT_S4_S3_.has_indirect_call, 0
	.section	.AMDGPU.csdata,"",@progbits
; Kernel info:
; codeLenInByte = 228
; TotalNumSgprs: 13
; NumVgprs: 7
; ScratchSize: 0
; MemoryBound: 0
; FloatMode: 240
; IeeeMode: 1
; LDSByteSize: 0 bytes/workgroup (compile time only)
; SGPRBlocks: 1
; VGPRBlocks: 1
; NumSGPRsForWavesPerEU: 13
; NumVGPRsForWavesPerEU: 7
; Occupancy: 10
; WaveLimiterHint : 0
; COMPUTE_PGM_RSRC2:SCRATCH_EN: 0
; COMPUTE_PGM_RSRC2:USER_SGPR: 6
; COMPUTE_PGM_RSRC2:TRAP_HANDLER: 0
; COMPUTE_PGM_RSRC2:TGID_X_EN: 1
; COMPUTE_PGM_RSRC2:TGID_Y_EN: 0
; COMPUTE_PGM_RSRC2:TGID_Z_EN: 0
; COMPUTE_PGM_RSRC2:TIDIG_COMP_CNT: 0
	.section	.text._Z26warp_exclusive_scan_kernelIiLj32ELj2EENSt9enable_ifIXsr10test_utilsE35device_test_enabled_for_warp_size_vIXT1_EEEvE4typeEPT_S4_S3_,"axG",@progbits,_Z26warp_exclusive_scan_kernelIiLj32ELj2EENSt9enable_ifIXsr10test_utilsE35device_test_enabled_for_warp_size_vIXT1_EEEvE4typeEPT_S4_S3_,comdat
	.protected	_Z26warp_exclusive_scan_kernelIiLj32ELj2EENSt9enable_ifIXsr10test_utilsE35device_test_enabled_for_warp_size_vIXT1_EEEvE4typeEPT_S4_S3_ ; -- Begin function _Z26warp_exclusive_scan_kernelIiLj32ELj2EENSt9enable_ifIXsr10test_utilsE35device_test_enabled_for_warp_size_vIXT1_EEEvE4typeEPT_S4_S3_
	.globl	_Z26warp_exclusive_scan_kernelIiLj32ELj2EENSt9enable_ifIXsr10test_utilsE35device_test_enabled_for_warp_size_vIXT1_EEEvE4typeEPT_S4_S3_
	.p2align	8
	.type	_Z26warp_exclusive_scan_kernelIiLj32ELj2EENSt9enable_ifIXsr10test_utilsE35device_test_enabled_for_warp_size_vIXT1_EEEvE4typeEPT_S4_S3_,@function
_Z26warp_exclusive_scan_kernelIiLj32ELj2EENSt9enable_ifIXsr10test_utilsE35device_test_enabled_for_warp_size_vIXT1_EEEvE4typeEPT_S4_S3_: ; @_Z26warp_exclusive_scan_kernelIiLj32ELj2EENSt9enable_ifIXsr10test_utilsE35device_test_enabled_for_warp_size_vIXT1_EEEvE4typeEPT_S4_S3_
; %bb.0:
	s_load_dword s7, s[4:5], 0x24
	s_load_dwordx4 s[0:3], s[4:5], 0x0
	s_load_dword s8, s[4:5], 0x10
	v_mov_b32_e32 v1, 0
	s_waitcnt lgkmcnt(0)
	s_and_b32 s4, s7, 0xffff
	s_mul_i32 s6, s6, s4
	v_add_u32_e32 v0, s6, v0
	v_lshlrev_b64 v[0:1], 2, v[0:1]
	v_mov_b32_e32 v3, s1
	v_add_co_u32_e32 v2, vcc, s0, v0
	v_addc_co_u32_e32 v3, vcc, v3, v1, vcc
	global_load_dword v2, v[2:3], off
	v_mbcnt_lo_u32_b32 v3, -1, 0
	v_mbcnt_hi_u32_b32 v3, -1, v3
	v_add_u32_e32 v5, -1, v3
	v_and_b32_e32 v6, 0x7e, v3
	v_bfe_i32 v4, v3, 0, 1
	v_cmp_lt_i32_e32 vcc, v5, v6
	v_cndmask_b32_e32 v5, v5, v3, vcc
	v_lshlrev_b32_e32 v5, 2, v5
	v_and_b32_e32 v3, 1, v3
	v_cmp_eq_u32_e32 vcc, 0, v3
	s_waitcnt vmcnt(0)
	v_mov_b32_dpp v6, v2 row_shr:1 row_mask:0xf bank_mask:0xf
	v_and_b32_e32 v4, v4, v6
	v_add3_u32 v2, v2, s8, v4
	ds_bpermute_b32 v2, v5, v2
	v_mov_b32_e32 v4, s8
	v_mov_b32_e32 v5, s3
	s_waitcnt lgkmcnt(0)
	v_cndmask_b32_e32 v2, v2, v4, vcc
	v_add_co_u32_e32 v0, vcc, s2, v0
	v_addc_co_u32_e32 v1, vcc, v5, v1, vcc
	global_store_dword v[0:1], v2, off
	s_endpgm
	.section	.rodata,"a",@progbits
	.p2align	6, 0x0
	.amdhsa_kernel _Z26warp_exclusive_scan_kernelIiLj32ELj2EENSt9enable_ifIXsr10test_utilsE35device_test_enabled_for_warp_size_vIXT1_EEEvE4typeEPT_S4_S3_
		.amdhsa_group_segment_fixed_size 0
		.amdhsa_private_segment_fixed_size 0
		.amdhsa_kernarg_size 280
		.amdhsa_user_sgpr_count 6
		.amdhsa_user_sgpr_private_segment_buffer 1
		.amdhsa_user_sgpr_dispatch_ptr 0
		.amdhsa_user_sgpr_queue_ptr 0
		.amdhsa_user_sgpr_kernarg_segment_ptr 1
		.amdhsa_user_sgpr_dispatch_id 0
		.amdhsa_user_sgpr_flat_scratch_init 0
		.amdhsa_user_sgpr_private_segment_size 0
		.amdhsa_uses_dynamic_stack 0
		.amdhsa_system_sgpr_private_segment_wavefront_offset 0
		.amdhsa_system_sgpr_workgroup_id_x 1
		.amdhsa_system_sgpr_workgroup_id_y 0
		.amdhsa_system_sgpr_workgroup_id_z 0
		.amdhsa_system_sgpr_workgroup_info 0
		.amdhsa_system_vgpr_workitem_id 0
		.amdhsa_next_free_vgpr 7
		.amdhsa_next_free_sgpr 9
		.amdhsa_reserve_vcc 1
		.amdhsa_reserve_flat_scratch 0
		.amdhsa_float_round_mode_32 0
		.amdhsa_float_round_mode_16_64 0
		.amdhsa_float_denorm_mode_32 3
		.amdhsa_float_denorm_mode_16_64 3
		.amdhsa_dx10_clamp 1
		.amdhsa_ieee_mode 1
		.amdhsa_fp16_overflow 0
		.amdhsa_exception_fp_ieee_invalid_op 0
		.amdhsa_exception_fp_denorm_src 0
		.amdhsa_exception_fp_ieee_div_zero 0
		.amdhsa_exception_fp_ieee_overflow 0
		.amdhsa_exception_fp_ieee_underflow 0
		.amdhsa_exception_fp_ieee_inexact 0
		.amdhsa_exception_int_div_zero 0
	.end_amdhsa_kernel
	.section	.text._Z26warp_exclusive_scan_kernelIiLj32ELj2EENSt9enable_ifIXsr10test_utilsE35device_test_enabled_for_warp_size_vIXT1_EEEvE4typeEPT_S4_S3_,"axG",@progbits,_Z26warp_exclusive_scan_kernelIiLj32ELj2EENSt9enable_ifIXsr10test_utilsE35device_test_enabled_for_warp_size_vIXT1_EEEvE4typeEPT_S4_S3_,comdat
.Lfunc_end166:
	.size	_Z26warp_exclusive_scan_kernelIiLj32ELj2EENSt9enable_ifIXsr10test_utilsE35device_test_enabled_for_warp_size_vIXT1_EEEvE4typeEPT_S4_S3_, .Lfunc_end166-_Z26warp_exclusive_scan_kernelIiLj32ELj2EENSt9enable_ifIXsr10test_utilsE35device_test_enabled_for_warp_size_vIXT1_EEEvE4typeEPT_S4_S3_
                                        ; -- End function
	.set _Z26warp_exclusive_scan_kernelIiLj32ELj2EENSt9enable_ifIXsr10test_utilsE35device_test_enabled_for_warp_size_vIXT1_EEEvE4typeEPT_S4_S3_.num_vgpr, 7
	.set _Z26warp_exclusive_scan_kernelIiLj32ELj2EENSt9enable_ifIXsr10test_utilsE35device_test_enabled_for_warp_size_vIXT1_EEEvE4typeEPT_S4_S3_.num_agpr, 0
	.set _Z26warp_exclusive_scan_kernelIiLj32ELj2EENSt9enable_ifIXsr10test_utilsE35device_test_enabled_for_warp_size_vIXT1_EEEvE4typeEPT_S4_S3_.numbered_sgpr, 9
	.set _Z26warp_exclusive_scan_kernelIiLj32ELj2EENSt9enable_ifIXsr10test_utilsE35device_test_enabled_for_warp_size_vIXT1_EEEvE4typeEPT_S4_S3_.num_named_barrier, 0
	.set _Z26warp_exclusive_scan_kernelIiLj32ELj2EENSt9enable_ifIXsr10test_utilsE35device_test_enabled_for_warp_size_vIXT1_EEEvE4typeEPT_S4_S3_.private_seg_size, 0
	.set _Z26warp_exclusive_scan_kernelIiLj32ELj2EENSt9enable_ifIXsr10test_utilsE35device_test_enabled_for_warp_size_vIXT1_EEEvE4typeEPT_S4_S3_.uses_vcc, 1
	.set _Z26warp_exclusive_scan_kernelIiLj32ELj2EENSt9enable_ifIXsr10test_utilsE35device_test_enabled_for_warp_size_vIXT1_EEEvE4typeEPT_S4_S3_.uses_flat_scratch, 0
	.set _Z26warp_exclusive_scan_kernelIiLj32ELj2EENSt9enable_ifIXsr10test_utilsE35device_test_enabled_for_warp_size_vIXT1_EEEvE4typeEPT_S4_S3_.has_dyn_sized_stack, 0
	.set _Z26warp_exclusive_scan_kernelIiLj32ELj2EENSt9enable_ifIXsr10test_utilsE35device_test_enabled_for_warp_size_vIXT1_EEEvE4typeEPT_S4_S3_.has_recursion, 0
	.set _Z26warp_exclusive_scan_kernelIiLj32ELj2EENSt9enable_ifIXsr10test_utilsE35device_test_enabled_for_warp_size_vIXT1_EEEvE4typeEPT_S4_S3_.has_indirect_call, 0
	.section	.AMDGPU.csdata,"",@progbits
; Kernel info:
; codeLenInByte = 200
; TotalNumSgprs: 13
; NumVgprs: 7
; ScratchSize: 0
; MemoryBound: 0
; FloatMode: 240
; IeeeMode: 1
; LDSByteSize: 0 bytes/workgroup (compile time only)
; SGPRBlocks: 1
; VGPRBlocks: 1
; NumSGPRsForWavesPerEU: 13
; NumVGPRsForWavesPerEU: 7
; Occupancy: 10
; WaveLimiterHint : 0
; COMPUTE_PGM_RSRC2:SCRATCH_EN: 0
; COMPUTE_PGM_RSRC2:USER_SGPR: 6
; COMPUTE_PGM_RSRC2:TRAP_HANDLER: 0
; COMPUTE_PGM_RSRC2:TGID_X_EN: 1
; COMPUTE_PGM_RSRC2:TGID_Y_EN: 0
; COMPUTE_PGM_RSRC2:TGID_Z_EN: 0
; COMPUTE_PGM_RSRC2:TIDIG_COMP_CNT: 0
	.section	.text._Z26warp_exclusive_scan_kernelIiLj64ELj2EENSt9enable_ifIXsr10test_utilsE35device_test_enabled_for_warp_size_vIXT1_EEEvE4typeEPT_S4_S3_,"axG",@progbits,_Z26warp_exclusive_scan_kernelIiLj64ELj2EENSt9enable_ifIXsr10test_utilsE35device_test_enabled_for_warp_size_vIXT1_EEEvE4typeEPT_S4_S3_,comdat
	.protected	_Z26warp_exclusive_scan_kernelIiLj64ELj2EENSt9enable_ifIXsr10test_utilsE35device_test_enabled_for_warp_size_vIXT1_EEEvE4typeEPT_S4_S3_ ; -- Begin function _Z26warp_exclusive_scan_kernelIiLj64ELj2EENSt9enable_ifIXsr10test_utilsE35device_test_enabled_for_warp_size_vIXT1_EEEvE4typeEPT_S4_S3_
	.globl	_Z26warp_exclusive_scan_kernelIiLj64ELj2EENSt9enable_ifIXsr10test_utilsE35device_test_enabled_for_warp_size_vIXT1_EEEvE4typeEPT_S4_S3_
	.p2align	8
	.type	_Z26warp_exclusive_scan_kernelIiLj64ELj2EENSt9enable_ifIXsr10test_utilsE35device_test_enabled_for_warp_size_vIXT1_EEEvE4typeEPT_S4_S3_,@function
_Z26warp_exclusive_scan_kernelIiLj64ELj2EENSt9enable_ifIXsr10test_utilsE35device_test_enabled_for_warp_size_vIXT1_EEEvE4typeEPT_S4_S3_: ; @_Z26warp_exclusive_scan_kernelIiLj64ELj2EENSt9enable_ifIXsr10test_utilsE35device_test_enabled_for_warp_size_vIXT1_EEEvE4typeEPT_S4_S3_
; %bb.0:
	s_load_dword s7, s[4:5], 0x24
	s_load_dwordx4 s[0:3], s[4:5], 0x0
	s_load_dword s8, s[4:5], 0x10
	v_mov_b32_e32 v1, 0
	s_waitcnt lgkmcnt(0)
	s_and_b32 s4, s7, 0xffff
	s_mul_i32 s6, s6, s4
	v_add_u32_e32 v0, s6, v0
	v_lshlrev_b64 v[0:1], 2, v[0:1]
	v_mov_b32_e32 v3, s1
	v_add_co_u32_e32 v2, vcc, s0, v0
	v_addc_co_u32_e32 v3, vcc, v3, v1, vcc
	global_load_dword v2, v[2:3], off
	v_mbcnt_lo_u32_b32 v3, -1, 0
	v_mbcnt_hi_u32_b32 v3, -1, v3
	v_add_u32_e32 v5, -1, v3
	v_and_b32_e32 v6, 0x7e, v3
	v_bfe_i32 v4, v3, 0, 1
	v_cmp_lt_i32_e32 vcc, v5, v6
	v_cndmask_b32_e32 v5, v5, v3, vcc
	v_lshlrev_b32_e32 v5, 2, v5
	v_and_b32_e32 v3, 1, v3
	v_cmp_eq_u32_e32 vcc, 0, v3
	s_waitcnt vmcnt(0)
	v_mov_b32_dpp v6, v2 row_shr:1 row_mask:0xf bank_mask:0xf
	v_and_b32_e32 v4, v4, v6
	v_add3_u32 v2, v2, s8, v4
	ds_bpermute_b32 v2, v5, v2
	v_mov_b32_e32 v4, s8
	v_mov_b32_e32 v5, s3
	s_waitcnt lgkmcnt(0)
	v_cndmask_b32_e32 v2, v2, v4, vcc
	v_add_co_u32_e32 v0, vcc, s2, v0
	v_addc_co_u32_e32 v1, vcc, v5, v1, vcc
	global_store_dword v[0:1], v2, off
	s_endpgm
	.section	.rodata,"a",@progbits
	.p2align	6, 0x0
	.amdhsa_kernel _Z26warp_exclusive_scan_kernelIiLj64ELj2EENSt9enable_ifIXsr10test_utilsE35device_test_enabled_for_warp_size_vIXT1_EEEvE4typeEPT_S4_S3_
		.amdhsa_group_segment_fixed_size 0
		.amdhsa_private_segment_fixed_size 0
		.amdhsa_kernarg_size 280
		.amdhsa_user_sgpr_count 6
		.amdhsa_user_sgpr_private_segment_buffer 1
		.amdhsa_user_sgpr_dispatch_ptr 0
		.amdhsa_user_sgpr_queue_ptr 0
		.amdhsa_user_sgpr_kernarg_segment_ptr 1
		.amdhsa_user_sgpr_dispatch_id 0
		.amdhsa_user_sgpr_flat_scratch_init 0
		.amdhsa_user_sgpr_private_segment_size 0
		.amdhsa_uses_dynamic_stack 0
		.amdhsa_system_sgpr_private_segment_wavefront_offset 0
		.amdhsa_system_sgpr_workgroup_id_x 1
		.amdhsa_system_sgpr_workgroup_id_y 0
		.amdhsa_system_sgpr_workgroup_id_z 0
		.amdhsa_system_sgpr_workgroup_info 0
		.amdhsa_system_vgpr_workitem_id 0
		.amdhsa_next_free_vgpr 7
		.amdhsa_next_free_sgpr 9
		.amdhsa_reserve_vcc 1
		.amdhsa_reserve_flat_scratch 0
		.amdhsa_float_round_mode_32 0
		.amdhsa_float_round_mode_16_64 0
		.amdhsa_float_denorm_mode_32 3
		.amdhsa_float_denorm_mode_16_64 3
		.amdhsa_dx10_clamp 1
		.amdhsa_ieee_mode 1
		.amdhsa_fp16_overflow 0
		.amdhsa_exception_fp_ieee_invalid_op 0
		.amdhsa_exception_fp_denorm_src 0
		.amdhsa_exception_fp_ieee_div_zero 0
		.amdhsa_exception_fp_ieee_overflow 0
		.amdhsa_exception_fp_ieee_underflow 0
		.amdhsa_exception_fp_ieee_inexact 0
		.amdhsa_exception_int_div_zero 0
	.end_amdhsa_kernel
	.section	.text._Z26warp_exclusive_scan_kernelIiLj64ELj2EENSt9enable_ifIXsr10test_utilsE35device_test_enabled_for_warp_size_vIXT1_EEEvE4typeEPT_S4_S3_,"axG",@progbits,_Z26warp_exclusive_scan_kernelIiLj64ELj2EENSt9enable_ifIXsr10test_utilsE35device_test_enabled_for_warp_size_vIXT1_EEEvE4typeEPT_S4_S3_,comdat
.Lfunc_end167:
	.size	_Z26warp_exclusive_scan_kernelIiLj64ELj2EENSt9enable_ifIXsr10test_utilsE35device_test_enabled_for_warp_size_vIXT1_EEEvE4typeEPT_S4_S3_, .Lfunc_end167-_Z26warp_exclusive_scan_kernelIiLj64ELj2EENSt9enable_ifIXsr10test_utilsE35device_test_enabled_for_warp_size_vIXT1_EEEvE4typeEPT_S4_S3_
                                        ; -- End function
	.set _Z26warp_exclusive_scan_kernelIiLj64ELj2EENSt9enable_ifIXsr10test_utilsE35device_test_enabled_for_warp_size_vIXT1_EEEvE4typeEPT_S4_S3_.num_vgpr, 7
	.set _Z26warp_exclusive_scan_kernelIiLj64ELj2EENSt9enable_ifIXsr10test_utilsE35device_test_enabled_for_warp_size_vIXT1_EEEvE4typeEPT_S4_S3_.num_agpr, 0
	.set _Z26warp_exclusive_scan_kernelIiLj64ELj2EENSt9enable_ifIXsr10test_utilsE35device_test_enabled_for_warp_size_vIXT1_EEEvE4typeEPT_S4_S3_.numbered_sgpr, 9
	.set _Z26warp_exclusive_scan_kernelIiLj64ELj2EENSt9enable_ifIXsr10test_utilsE35device_test_enabled_for_warp_size_vIXT1_EEEvE4typeEPT_S4_S3_.num_named_barrier, 0
	.set _Z26warp_exclusive_scan_kernelIiLj64ELj2EENSt9enable_ifIXsr10test_utilsE35device_test_enabled_for_warp_size_vIXT1_EEEvE4typeEPT_S4_S3_.private_seg_size, 0
	.set _Z26warp_exclusive_scan_kernelIiLj64ELj2EENSt9enable_ifIXsr10test_utilsE35device_test_enabled_for_warp_size_vIXT1_EEEvE4typeEPT_S4_S3_.uses_vcc, 1
	.set _Z26warp_exclusive_scan_kernelIiLj64ELj2EENSt9enable_ifIXsr10test_utilsE35device_test_enabled_for_warp_size_vIXT1_EEEvE4typeEPT_S4_S3_.uses_flat_scratch, 0
	.set _Z26warp_exclusive_scan_kernelIiLj64ELj2EENSt9enable_ifIXsr10test_utilsE35device_test_enabled_for_warp_size_vIXT1_EEEvE4typeEPT_S4_S3_.has_dyn_sized_stack, 0
	.set _Z26warp_exclusive_scan_kernelIiLj64ELj2EENSt9enable_ifIXsr10test_utilsE35device_test_enabled_for_warp_size_vIXT1_EEEvE4typeEPT_S4_S3_.has_recursion, 0
	.set _Z26warp_exclusive_scan_kernelIiLj64ELj2EENSt9enable_ifIXsr10test_utilsE35device_test_enabled_for_warp_size_vIXT1_EEEvE4typeEPT_S4_S3_.has_indirect_call, 0
	.section	.AMDGPU.csdata,"",@progbits
; Kernel info:
; codeLenInByte = 200
; TotalNumSgprs: 13
; NumVgprs: 7
; ScratchSize: 0
; MemoryBound: 0
; FloatMode: 240
; IeeeMode: 1
; LDSByteSize: 0 bytes/workgroup (compile time only)
; SGPRBlocks: 1
; VGPRBlocks: 1
; NumSGPRsForWavesPerEU: 13
; NumVGPRsForWavesPerEU: 7
; Occupancy: 10
; WaveLimiterHint : 0
; COMPUTE_PGM_RSRC2:SCRATCH_EN: 0
; COMPUTE_PGM_RSRC2:USER_SGPR: 6
; COMPUTE_PGM_RSRC2:TRAP_HANDLER: 0
; COMPUTE_PGM_RSRC2:TGID_X_EN: 1
; COMPUTE_PGM_RSRC2:TGID_Y_EN: 0
; COMPUTE_PGM_RSRC2:TGID_Z_EN: 0
; COMPUTE_PGM_RSRC2:TIDIG_COMP_CNT: 0
	.section	.text._Z33warp_exclusive_scan_reduce_kernelIfLj1ELj61EENSt9enable_ifIXsr10test_utilsE35device_test_enabled_for_warp_size_vIXT1_EEEvE4typeEPT_S4_S4_S3_,"axG",@progbits,_Z33warp_exclusive_scan_reduce_kernelIfLj1ELj61EENSt9enable_ifIXsr10test_utilsE35device_test_enabled_for_warp_size_vIXT1_EEEvE4typeEPT_S4_S4_S3_,comdat
	.protected	_Z33warp_exclusive_scan_reduce_kernelIfLj1ELj61EENSt9enable_ifIXsr10test_utilsE35device_test_enabled_for_warp_size_vIXT1_EEEvE4typeEPT_S4_S4_S3_ ; -- Begin function _Z33warp_exclusive_scan_reduce_kernelIfLj1ELj61EENSt9enable_ifIXsr10test_utilsE35device_test_enabled_for_warp_size_vIXT1_EEEvE4typeEPT_S4_S4_S3_
	.globl	_Z33warp_exclusive_scan_reduce_kernelIfLj1ELj61EENSt9enable_ifIXsr10test_utilsE35device_test_enabled_for_warp_size_vIXT1_EEEvE4typeEPT_S4_S4_S3_
	.p2align	8
	.type	_Z33warp_exclusive_scan_reduce_kernelIfLj1ELj61EENSt9enable_ifIXsr10test_utilsE35device_test_enabled_for_warp_size_vIXT1_EEEvE4typeEPT_S4_S4_S3_,@function
_Z33warp_exclusive_scan_reduce_kernelIfLj1ELj61EENSt9enable_ifIXsr10test_utilsE35device_test_enabled_for_warp_size_vIXT1_EEEvE4typeEPT_S4_S4_S3_: ; @_Z33warp_exclusive_scan_reduce_kernelIfLj1ELj61EENSt9enable_ifIXsr10test_utilsE35device_test_enabled_for_warp_size_vIXT1_EEEvE4typeEPT_S4_S4_S3_
; %bb.0:
	s_load_dword s8, s[4:5], 0x2c
	s_load_dwordx4 s[0:3], s[4:5], 0x0
	s_mov_b32 s7, 0
	v_mbcnt_lo_u32_b32 v0, -1, 0
	v_mbcnt_hi_u32_b32 v0, -1, v0
	s_waitcnt lgkmcnt(0)
	s_and_b32 s8, s8, 0xffff
	s_mul_i32 s6, s6, s8
	s_lshl_b64 s[8:9], s[6:7], 2
	s_mov_b32 s7, 0x4325c54
	v_mul_hi_u32 v1, v0, s7
	s_add_u32 s0, s0, s8
	s_addc_u32 s1, s1, s9
	s_load_dword s10, s[0:1], 0x0
	v_mul_u32_u24_e32 v1, 61, v1
	v_sub_u32_e32 v0, v0, v1
	v_lshlrev_b32_e32 v1, 2, v0
	v_cmp_eq_u32_e64 s[0:1], 0, v0
	v_readfirstlane_b32 s7, v0
	s_waitcnt lgkmcnt(0)
	v_mov_b32_e32 v2, s10
	v_cmp_ne_u32_e32 vcc, 0, v0
	s_and_b64 s[0:1], s[0:1], exec
	v_add_u32_e32 v0, -4, v1
	ds_write_b32 v1, v2
	; wave barrier
	s_cbranch_scc1 .LBB168_2
; %bb.1:
	ds_read_b32 v2, v0
	s_waitcnt lgkmcnt(0)
	v_add_f32_e32 v2, s10, v2
	s_branch .LBB168_3
.LBB168_2:
	v_mov_b32_e32 v2, s10
.LBB168_3:
	v_cndmask_b32_e64 v3, 0, 1, vcc
	v_cmp_ne_u32_e64 s[0:1], 1, v3
	s_andn2_b64 vcc, exec, vcc
	; wave barrier
	s_cbranch_vccnz .LBB168_5
; %bb.4:
	ds_write_b32 v1, v2
.LBB168_5:
	s_cmp_gt_u32 s7, 1
	s_cselect_b64 s[10:11], -1, 0
	s_cmp_lt_u32 s7, 2
	; wave barrier
	s_cbranch_scc1 .LBB168_7
; %bb.6:
	v_add_u32_e32 v3, -8, v1
	ds_read_b32 v3, v3
	s_waitcnt lgkmcnt(0)
	v_add_f32_e32 v2, v2, v3
.LBB168_7:
	s_andn2_b64 vcc, exec, s[10:11]
	; wave barrier
	s_cbranch_vccnz .LBB168_9
; %bb.8:
	ds_write_b32 v1, v2
.LBB168_9:
	s_cmp_gt_u32 s7, 3
	s_cselect_b64 s[10:11], -1, 0
	s_cmp_lt_u32 s7, 4
	; wave barrier
	s_cbranch_scc1 .LBB168_11
; %bb.10:
	v_add_u32_e32 v3, -16, v1
	ds_read_b32 v3, v3
	s_waitcnt lgkmcnt(0)
	v_add_f32_e32 v2, v2, v3
.LBB168_11:
	s_andn2_b64 vcc, exec, s[10:11]
	; wave barrier
	s_cbranch_vccnz .LBB168_13
; %bb.12:
	ds_write_b32 v1, v2
.LBB168_13:
	s_cmp_gt_u32 s7, 7
	s_cselect_b64 s[10:11], -1, 0
	s_cmp_lt_u32 s7, 8
	; wave barrier
	s_cbranch_scc1 .LBB168_15
; %bb.14:
	v_subrev_u32_e32 v3, 32, v1
	ds_read_b32 v3, v3
	s_waitcnt lgkmcnt(0)
	v_add_f32_e32 v2, v2, v3
.LBB168_15:
	s_andn2_b64 vcc, exec, s[10:11]
	; wave barrier
	s_cbranch_vccnz .LBB168_17
; %bb.16:
	ds_write_b32 v1, v2
.LBB168_17:
	s_cmp_gt_u32 s7, 15
	s_cselect_b64 s[10:11], -1, 0
	s_cmp_lt_u32 s7, 16
	; wave barrier
	s_cbranch_scc1 .LBB168_19
; %bb.18:
	v_subrev_u32_e32 v3, 64, v1
	ds_read_b32 v3, v3
	s_waitcnt lgkmcnt(0)
	v_add_f32_e32 v2, v2, v3
.LBB168_19:
	s_andn2_b64 vcc, exec, s[10:11]
	; wave barrier
	s_cbranch_vccnz .LBB168_21
; %bb.20:
	ds_write_b32 v1, v2
.LBB168_21:
	s_load_dwordx2 s[10:11], s[4:5], 0x10
	s_cmp_gt_u32 s7, 31
	s_cselect_b64 s[12:13], -1, 0
	s_cmp_lt_u32 s7, 32
	; wave barrier
	s_cbranch_scc1 .LBB168_23
; %bb.22:
	v_add_u32_e32 v3, 0xffffff80, v1
	ds_read_b32 v3, v3
	s_waitcnt lgkmcnt(0)
	v_add_f32_e32 v2, v2, v3
.LBB168_23:
	s_andn2_b64 vcc, exec, s[12:13]
	; wave barrier
	s_cbranch_vccnz .LBB168_25
; %bb.24:
	ds_write_b32 v1, v2
.LBB168_25:
	s_load_dword s4, s[4:5], 0x18
	s_and_b64 vcc, exec, s[0:1]
	v_mov_b32_e32 v1, 0
	; wave barrier
	s_cbranch_vccnz .LBB168_27
; %bb.26:
	ds_read_b32 v0, v0
	s_waitcnt lgkmcnt(0)
	v_add_f32_e32 v2, s4, v0
	s_branch .LBB168_28
.LBB168_27:
	s_waitcnt lgkmcnt(0)
	v_mov_b32_e32 v2, s4
.LBB168_28:
	ds_read_b32 v0, v1 offset:240
	s_add_u32 s0, s2, s8
	s_addc_u32 s1, s3, s9
	global_store_dword v1, v2, s[0:1]
	s_branch .LBB168_30
; %bb.29:
	s_endpgm
.LBB168_30:
	s_mul_hi_u32 s0, s6, 0x4325c53f
	s_lshr_b32 s0, s0, 2
	s_and_b32 s0, s0, 0x1ffffffc
	v_mov_b32_e32 v1, s0
	s_waitcnt lgkmcnt(0)
	global_store_dword v1, v0, s[10:11]
	s_endpgm
	.section	.rodata,"a",@progbits
	.p2align	6, 0x0
	.amdhsa_kernel _Z33warp_exclusive_scan_reduce_kernelIfLj1ELj61EENSt9enable_ifIXsr10test_utilsE35device_test_enabled_for_warp_size_vIXT1_EEEvE4typeEPT_S4_S4_S3_
		.amdhsa_group_segment_fixed_size 244
		.amdhsa_private_segment_fixed_size 0
		.amdhsa_kernarg_size 288
		.amdhsa_user_sgpr_count 6
		.amdhsa_user_sgpr_private_segment_buffer 1
		.amdhsa_user_sgpr_dispatch_ptr 0
		.amdhsa_user_sgpr_queue_ptr 0
		.amdhsa_user_sgpr_kernarg_segment_ptr 1
		.amdhsa_user_sgpr_dispatch_id 0
		.amdhsa_user_sgpr_flat_scratch_init 0
		.amdhsa_user_sgpr_private_segment_size 0
		.amdhsa_uses_dynamic_stack 0
		.amdhsa_system_sgpr_private_segment_wavefront_offset 0
		.amdhsa_system_sgpr_workgroup_id_x 1
		.amdhsa_system_sgpr_workgroup_id_y 0
		.amdhsa_system_sgpr_workgroup_id_z 0
		.amdhsa_system_sgpr_workgroup_info 0
		.amdhsa_system_vgpr_workitem_id 0
		.amdhsa_next_free_vgpr 4
		.amdhsa_next_free_sgpr 14
		.amdhsa_reserve_vcc 1
		.amdhsa_reserve_flat_scratch 0
		.amdhsa_float_round_mode_32 0
		.amdhsa_float_round_mode_16_64 0
		.amdhsa_float_denorm_mode_32 3
		.amdhsa_float_denorm_mode_16_64 3
		.amdhsa_dx10_clamp 1
		.amdhsa_ieee_mode 1
		.amdhsa_fp16_overflow 0
		.amdhsa_exception_fp_ieee_invalid_op 0
		.amdhsa_exception_fp_denorm_src 0
		.amdhsa_exception_fp_ieee_div_zero 0
		.amdhsa_exception_fp_ieee_overflow 0
		.amdhsa_exception_fp_ieee_underflow 0
		.amdhsa_exception_fp_ieee_inexact 0
		.amdhsa_exception_int_div_zero 0
	.end_amdhsa_kernel
	.section	.text._Z33warp_exclusive_scan_reduce_kernelIfLj1ELj61EENSt9enable_ifIXsr10test_utilsE35device_test_enabled_for_warp_size_vIXT1_EEEvE4typeEPT_S4_S4_S3_,"axG",@progbits,_Z33warp_exclusive_scan_reduce_kernelIfLj1ELj61EENSt9enable_ifIXsr10test_utilsE35device_test_enabled_for_warp_size_vIXT1_EEEvE4typeEPT_S4_S4_S3_,comdat
.Lfunc_end168:
	.size	_Z33warp_exclusive_scan_reduce_kernelIfLj1ELj61EENSt9enable_ifIXsr10test_utilsE35device_test_enabled_for_warp_size_vIXT1_EEEvE4typeEPT_S4_S4_S3_, .Lfunc_end168-_Z33warp_exclusive_scan_reduce_kernelIfLj1ELj61EENSt9enable_ifIXsr10test_utilsE35device_test_enabled_for_warp_size_vIXT1_EEEvE4typeEPT_S4_S4_S3_
                                        ; -- End function
	.set _Z33warp_exclusive_scan_reduce_kernelIfLj1ELj61EENSt9enable_ifIXsr10test_utilsE35device_test_enabled_for_warp_size_vIXT1_EEEvE4typeEPT_S4_S4_S3_.num_vgpr, 4
	.set _Z33warp_exclusive_scan_reduce_kernelIfLj1ELj61EENSt9enable_ifIXsr10test_utilsE35device_test_enabled_for_warp_size_vIXT1_EEEvE4typeEPT_S4_S4_S3_.num_agpr, 0
	.set _Z33warp_exclusive_scan_reduce_kernelIfLj1ELj61EENSt9enable_ifIXsr10test_utilsE35device_test_enabled_for_warp_size_vIXT1_EEEvE4typeEPT_S4_S4_S3_.numbered_sgpr, 14
	.set _Z33warp_exclusive_scan_reduce_kernelIfLj1ELj61EENSt9enable_ifIXsr10test_utilsE35device_test_enabled_for_warp_size_vIXT1_EEEvE4typeEPT_S4_S4_S3_.num_named_barrier, 0
	.set _Z33warp_exclusive_scan_reduce_kernelIfLj1ELj61EENSt9enable_ifIXsr10test_utilsE35device_test_enabled_for_warp_size_vIXT1_EEEvE4typeEPT_S4_S4_S3_.private_seg_size, 0
	.set _Z33warp_exclusive_scan_reduce_kernelIfLj1ELj61EENSt9enable_ifIXsr10test_utilsE35device_test_enabled_for_warp_size_vIXT1_EEEvE4typeEPT_S4_S4_S3_.uses_vcc, 1
	.set _Z33warp_exclusive_scan_reduce_kernelIfLj1ELj61EENSt9enable_ifIXsr10test_utilsE35device_test_enabled_for_warp_size_vIXT1_EEEvE4typeEPT_S4_S4_S3_.uses_flat_scratch, 0
	.set _Z33warp_exclusive_scan_reduce_kernelIfLj1ELj61EENSt9enable_ifIXsr10test_utilsE35device_test_enabled_for_warp_size_vIXT1_EEEvE4typeEPT_S4_S4_S3_.has_dyn_sized_stack, 0
	.set _Z33warp_exclusive_scan_reduce_kernelIfLj1ELj61EENSt9enable_ifIXsr10test_utilsE35device_test_enabled_for_warp_size_vIXT1_EEEvE4typeEPT_S4_S4_S3_.has_recursion, 0
	.set _Z33warp_exclusive_scan_reduce_kernelIfLj1ELj61EENSt9enable_ifIXsr10test_utilsE35device_test_enabled_for_warp_size_vIXT1_EEEvE4typeEPT_S4_S4_S3_.has_indirect_call, 0
	.section	.AMDGPU.csdata,"",@progbits
; Kernel info:
; codeLenInByte = 592
; TotalNumSgprs: 18
; NumVgprs: 4
; ScratchSize: 0
; MemoryBound: 0
; FloatMode: 240
; IeeeMode: 1
; LDSByteSize: 244 bytes/workgroup (compile time only)
; SGPRBlocks: 2
; VGPRBlocks: 0
; NumSGPRsForWavesPerEU: 18
; NumVGPRsForWavesPerEU: 4
; Occupancy: 10
; WaveLimiterHint : 0
; COMPUTE_PGM_RSRC2:SCRATCH_EN: 0
; COMPUTE_PGM_RSRC2:USER_SGPR: 6
; COMPUTE_PGM_RSRC2:TRAP_HANDLER: 0
; COMPUTE_PGM_RSRC2:TGID_X_EN: 1
; COMPUTE_PGM_RSRC2:TGID_Y_EN: 0
; COMPUTE_PGM_RSRC2:TGID_Z_EN: 0
; COMPUTE_PGM_RSRC2:TIDIG_COMP_CNT: 0
	.section	.text._Z33warp_exclusive_scan_reduce_kernelIfLj61ELj61EENSt9enable_ifIXsr10test_utilsE35device_test_enabled_for_warp_size_vIXT1_EEEvE4typeEPT_S4_S4_S3_,"axG",@progbits,_Z33warp_exclusive_scan_reduce_kernelIfLj61ELj61EENSt9enable_ifIXsr10test_utilsE35device_test_enabled_for_warp_size_vIXT1_EEEvE4typeEPT_S4_S4_S3_,comdat
	.protected	_Z33warp_exclusive_scan_reduce_kernelIfLj61ELj61EENSt9enable_ifIXsr10test_utilsE35device_test_enabled_for_warp_size_vIXT1_EEEvE4typeEPT_S4_S4_S3_ ; -- Begin function _Z33warp_exclusive_scan_reduce_kernelIfLj61ELj61EENSt9enable_ifIXsr10test_utilsE35device_test_enabled_for_warp_size_vIXT1_EEEvE4typeEPT_S4_S4_S3_
	.globl	_Z33warp_exclusive_scan_reduce_kernelIfLj61ELj61EENSt9enable_ifIXsr10test_utilsE35device_test_enabled_for_warp_size_vIXT1_EEEvE4typeEPT_S4_S4_S3_
	.p2align	8
	.type	_Z33warp_exclusive_scan_reduce_kernelIfLj61ELj61EENSt9enable_ifIXsr10test_utilsE35device_test_enabled_for_warp_size_vIXT1_EEEvE4typeEPT_S4_S4_S3_,@function
_Z33warp_exclusive_scan_reduce_kernelIfLj61ELj61EENSt9enable_ifIXsr10test_utilsE35device_test_enabled_for_warp_size_vIXT1_EEEvE4typeEPT_S4_S4_S3_: ; @_Z33warp_exclusive_scan_reduce_kernelIfLj61ELj61EENSt9enable_ifIXsr10test_utilsE35device_test_enabled_for_warp_size_vIXT1_EEEvE4typeEPT_S4_S4_S3_
; %bb.0:
	s_load_dword s7, s[4:5], 0x2c
	s_load_dwordx4 s[0:3], s[4:5], 0x0
	v_mov_b32_e32 v2, 0
	s_waitcnt lgkmcnt(0)
	s_and_b32 s7, s7, 0xffff
	s_mul_i32 s6, s6, s7
	v_add_u32_e32 v1, s6, v0
	v_lshlrev_b64 v[2:3], 2, v[1:2]
	v_mov_b32_e32 v5, s1
	v_add_co_u32_e32 v4, vcc, s0, v2
	v_addc_co_u32_e32 v5, vcc, v5, v3, vcc
	global_load_dword v5, v[4:5], off
	v_mbcnt_lo_u32_b32 v4, -1, 0
	s_mov_b32 s0, 0x4325c54
	v_mbcnt_hi_u32_b32 v6, -1, v4
	v_mul_hi_u32 v7, v6, s0
	v_mul_u32_u24_e32 v4, 0x433, v0
	s_movk_i32 s0, 0xf4
	v_lshrrev_b32_e32 v4, 16, v4
	v_mul_u32_u24_e32 v7, 61, v7
	v_sub_u32_e32 v8, v6, v7
	v_lshlrev_b32_e32 v6, 2, v8
	v_mad_u32_u24 v7, v4, s0, v6
	v_cmp_ne_u32_e32 vcc, 0, v8
	v_add_u32_e32 v6, -4, v7
	s_waitcnt vmcnt(0)
	ds_write_b32 v7, v5
	; wave barrier
	s_and_saveexec_b64 s[0:1], vcc
	s_cbranch_execz .LBB169_2
; %bb.1:
	ds_read_b32 v9, v6
	s_waitcnt lgkmcnt(0)
	v_add_f32_e32 v5, v5, v9
.LBB169_2:
	s_or_b64 exec, exec, s[0:1]
	; wave barrier
	s_and_saveexec_b64 s[0:1], vcc
; %bb.3:
	ds_write_b32 v7, v5
; %bb.4:
	s_or_b64 exec, exec, s[0:1]
	v_cmp_lt_u32_e64 s[0:1], 1, v8
	; wave barrier
	s_and_saveexec_b64 s[6:7], s[0:1]
	s_cbranch_execz .LBB169_6
; %bb.5:
	v_add_u32_e32 v9, -8, v7
	ds_read_b32 v9, v9
	s_waitcnt lgkmcnt(0)
	v_add_f32_e32 v5, v5, v9
.LBB169_6:
	s_or_b64 exec, exec, s[6:7]
	; wave barrier
	s_and_saveexec_b64 s[6:7], s[0:1]
; %bb.7:
	ds_write_b32 v7, v5
; %bb.8:
	s_or_b64 exec, exec, s[6:7]
	v_cmp_lt_u32_e64 s[0:1], 3, v8
	; wave barrier
	s_and_saveexec_b64 s[6:7], s[0:1]
	s_cbranch_execz .LBB169_10
; %bb.9:
	v_add_u32_e32 v9, -16, v7
	ds_read_b32 v9, v9
	s_waitcnt lgkmcnt(0)
	v_add_f32_e32 v5, v5, v9
.LBB169_10:
	s_or_b64 exec, exec, s[6:7]
	; wave barrier
	s_and_saveexec_b64 s[6:7], s[0:1]
; %bb.11:
	ds_write_b32 v7, v5
; %bb.12:
	s_or_b64 exec, exec, s[6:7]
	v_cmp_lt_u32_e64 s[0:1], 7, v8
	; wave barrier
	s_and_saveexec_b64 s[6:7], s[0:1]
	s_cbranch_execz .LBB169_14
; %bb.13:
	v_subrev_u32_e32 v9, 32, v7
	ds_read_b32 v9, v9
	s_waitcnt lgkmcnt(0)
	v_add_f32_e32 v5, v5, v9
.LBB169_14:
	s_or_b64 exec, exec, s[6:7]
	; wave barrier
	s_and_saveexec_b64 s[6:7], s[0:1]
; %bb.15:
	ds_write_b32 v7, v5
; %bb.16:
	s_or_b64 exec, exec, s[6:7]
	v_cmp_lt_u32_e64 s[0:1], 15, v8
	; wave barrier
	s_and_saveexec_b64 s[6:7], s[0:1]
	s_cbranch_execz .LBB169_18
; %bb.17:
	v_subrev_u32_e32 v9, 64, v7
	ds_read_b32 v9, v9
	s_waitcnt lgkmcnt(0)
	v_add_f32_e32 v5, v5, v9
.LBB169_18:
	s_or_b64 exec, exec, s[6:7]
	; wave barrier
	s_and_saveexec_b64 s[6:7], s[0:1]
; %bb.19:
	ds_write_b32 v7, v5
; %bb.20:
	s_or_b64 exec, exec, s[6:7]
	s_load_dwordx2 s[6:7], s[4:5], 0x10
	v_cmp_lt_u32_e64 s[0:1], 31, v8
	; wave barrier
	s_and_saveexec_b64 s[8:9], s[0:1]
	s_cbranch_execz .LBB169_22
; %bb.21:
	v_add_u32_e32 v8, 0xffffff80, v7
	ds_read_b32 v8, v8
	s_waitcnt lgkmcnt(0)
	v_add_f32_e32 v5, v5, v8
.LBB169_22:
	s_or_b64 exec, exec, s[8:9]
	v_mul_u32_u24_e32 v8, 0xf4, v4
	; wave barrier
	s_and_saveexec_b64 s[8:9], s[0:1]
; %bb.23:
	ds_write_b32 v7, v5
; %bb.24:
	s_or_b64 exec, exec, s[8:9]
	s_load_dword s4, s[4:5], 0x18
	; wave barrier
	ds_read_b32 v5, v8 offset:240
	s_waitcnt lgkmcnt(0)
	v_mov_b32_e32 v7, s4
	s_and_saveexec_b64 s[0:1], vcc
	s_cbranch_execz .LBB169_26
; %bb.25:
	ds_read_b32 v6, v6
	s_waitcnt lgkmcnt(0)
	v_add_f32_e32 v7, s4, v6
.LBB169_26:
	s_or_b64 exec, exec, s[0:1]
	v_mov_b32_e32 v6, s3
	v_add_co_u32_e32 v2, vcc, s2, v2
	v_addc_co_u32_e32 v3, vcc, v6, v3, vcc
	global_store_dword v[2:3], v7, off
	v_mul_lo_u16_e32 v2, 61, v4
	v_sub_u16_e32 v0, v0, v2
	v_cmp_eq_u16_e32 vcc, 0, v0
	s_and_saveexec_b64 s[0:1], vcc
	s_cbranch_execz .LBB169_28
; %bb.27:
	s_mov_b32 s0, 0x4325c53f
	v_mul_hi_u32 v0, v1, s0
	v_lshrrev_b32_e32 v0, 2, v0
	v_and_b32_e32 v0, 0x1ffffffc, v0
	global_store_dword v0, v5, s[6:7]
.LBB169_28:
	s_endpgm
	.section	.rodata,"a",@progbits
	.p2align	6, 0x0
	.amdhsa_kernel _Z33warp_exclusive_scan_reduce_kernelIfLj61ELj61EENSt9enable_ifIXsr10test_utilsE35device_test_enabled_for_warp_size_vIXT1_EEEvE4typeEPT_S4_S4_S3_
		.amdhsa_group_segment_fixed_size 244
		.amdhsa_private_segment_fixed_size 0
		.amdhsa_kernarg_size 288
		.amdhsa_user_sgpr_count 6
		.amdhsa_user_sgpr_private_segment_buffer 1
		.amdhsa_user_sgpr_dispatch_ptr 0
		.amdhsa_user_sgpr_queue_ptr 0
		.amdhsa_user_sgpr_kernarg_segment_ptr 1
		.amdhsa_user_sgpr_dispatch_id 0
		.amdhsa_user_sgpr_flat_scratch_init 0
		.amdhsa_user_sgpr_private_segment_size 0
		.amdhsa_uses_dynamic_stack 0
		.amdhsa_system_sgpr_private_segment_wavefront_offset 0
		.amdhsa_system_sgpr_workgroup_id_x 1
		.amdhsa_system_sgpr_workgroup_id_y 0
		.amdhsa_system_sgpr_workgroup_id_z 0
		.amdhsa_system_sgpr_workgroup_info 0
		.amdhsa_system_vgpr_workitem_id 0
		.amdhsa_next_free_vgpr 10
		.amdhsa_next_free_sgpr 10
		.amdhsa_reserve_vcc 1
		.amdhsa_reserve_flat_scratch 0
		.amdhsa_float_round_mode_32 0
		.amdhsa_float_round_mode_16_64 0
		.amdhsa_float_denorm_mode_32 3
		.amdhsa_float_denorm_mode_16_64 3
		.amdhsa_dx10_clamp 1
		.amdhsa_ieee_mode 1
		.amdhsa_fp16_overflow 0
		.amdhsa_exception_fp_ieee_invalid_op 0
		.amdhsa_exception_fp_denorm_src 0
		.amdhsa_exception_fp_ieee_div_zero 0
		.amdhsa_exception_fp_ieee_overflow 0
		.amdhsa_exception_fp_ieee_underflow 0
		.amdhsa_exception_fp_ieee_inexact 0
		.amdhsa_exception_int_div_zero 0
	.end_amdhsa_kernel
	.section	.text._Z33warp_exclusive_scan_reduce_kernelIfLj61ELj61EENSt9enable_ifIXsr10test_utilsE35device_test_enabled_for_warp_size_vIXT1_EEEvE4typeEPT_S4_S4_S3_,"axG",@progbits,_Z33warp_exclusive_scan_reduce_kernelIfLj61ELj61EENSt9enable_ifIXsr10test_utilsE35device_test_enabled_for_warp_size_vIXT1_EEEvE4typeEPT_S4_S4_S3_,comdat
.Lfunc_end169:
	.size	_Z33warp_exclusive_scan_reduce_kernelIfLj61ELj61EENSt9enable_ifIXsr10test_utilsE35device_test_enabled_for_warp_size_vIXT1_EEEvE4typeEPT_S4_S4_S3_, .Lfunc_end169-_Z33warp_exclusive_scan_reduce_kernelIfLj61ELj61EENSt9enable_ifIXsr10test_utilsE35device_test_enabled_for_warp_size_vIXT1_EEEvE4typeEPT_S4_S4_S3_
                                        ; -- End function
	.set _Z33warp_exclusive_scan_reduce_kernelIfLj61ELj61EENSt9enable_ifIXsr10test_utilsE35device_test_enabled_for_warp_size_vIXT1_EEEvE4typeEPT_S4_S4_S3_.num_vgpr, 10
	.set _Z33warp_exclusive_scan_reduce_kernelIfLj61ELj61EENSt9enable_ifIXsr10test_utilsE35device_test_enabled_for_warp_size_vIXT1_EEEvE4typeEPT_S4_S4_S3_.num_agpr, 0
	.set _Z33warp_exclusive_scan_reduce_kernelIfLj61ELj61EENSt9enable_ifIXsr10test_utilsE35device_test_enabled_for_warp_size_vIXT1_EEEvE4typeEPT_S4_S4_S3_.numbered_sgpr, 10
	.set _Z33warp_exclusive_scan_reduce_kernelIfLj61ELj61EENSt9enable_ifIXsr10test_utilsE35device_test_enabled_for_warp_size_vIXT1_EEEvE4typeEPT_S4_S4_S3_.num_named_barrier, 0
	.set _Z33warp_exclusive_scan_reduce_kernelIfLj61ELj61EENSt9enable_ifIXsr10test_utilsE35device_test_enabled_for_warp_size_vIXT1_EEEvE4typeEPT_S4_S4_S3_.private_seg_size, 0
	.set _Z33warp_exclusive_scan_reduce_kernelIfLj61ELj61EENSt9enable_ifIXsr10test_utilsE35device_test_enabled_for_warp_size_vIXT1_EEEvE4typeEPT_S4_S4_S3_.uses_vcc, 1
	.set _Z33warp_exclusive_scan_reduce_kernelIfLj61ELj61EENSt9enable_ifIXsr10test_utilsE35device_test_enabled_for_warp_size_vIXT1_EEEvE4typeEPT_S4_S4_S3_.uses_flat_scratch, 0
	.set _Z33warp_exclusive_scan_reduce_kernelIfLj61ELj61EENSt9enable_ifIXsr10test_utilsE35device_test_enabled_for_warp_size_vIXT1_EEEvE4typeEPT_S4_S4_S3_.has_dyn_sized_stack, 0
	.set _Z33warp_exclusive_scan_reduce_kernelIfLj61ELj61EENSt9enable_ifIXsr10test_utilsE35device_test_enabled_for_warp_size_vIXT1_EEEvE4typeEPT_S4_S4_S3_.has_recursion, 0
	.set _Z33warp_exclusive_scan_reduce_kernelIfLj61ELj61EENSt9enable_ifIXsr10test_utilsE35device_test_enabled_for_warp_size_vIXT1_EEEvE4typeEPT_S4_S4_S3_.has_indirect_call, 0
	.section	.AMDGPU.csdata,"",@progbits
; Kernel info:
; codeLenInByte = 632
; TotalNumSgprs: 14
; NumVgprs: 10
; ScratchSize: 0
; MemoryBound: 0
; FloatMode: 240
; IeeeMode: 1
; LDSByteSize: 244 bytes/workgroup (compile time only)
; SGPRBlocks: 1
; VGPRBlocks: 2
; NumSGPRsForWavesPerEU: 14
; NumVGPRsForWavesPerEU: 10
; Occupancy: 10
; WaveLimiterHint : 0
; COMPUTE_PGM_RSRC2:SCRATCH_EN: 0
; COMPUTE_PGM_RSRC2:USER_SGPR: 6
; COMPUTE_PGM_RSRC2:TRAP_HANDLER: 0
; COMPUTE_PGM_RSRC2:TGID_X_EN: 1
; COMPUTE_PGM_RSRC2:TGID_Y_EN: 0
; COMPUTE_PGM_RSRC2:TGID_Z_EN: 0
; COMPUTE_PGM_RSRC2:TIDIG_COMP_CNT: 0
	.section	.text._Z33warp_exclusive_scan_reduce_kernelIfLj1ELj37EENSt9enable_ifIXsr10test_utilsE35device_test_enabled_for_warp_size_vIXT1_EEEvE4typeEPT_S4_S4_S3_,"axG",@progbits,_Z33warp_exclusive_scan_reduce_kernelIfLj1ELj37EENSt9enable_ifIXsr10test_utilsE35device_test_enabled_for_warp_size_vIXT1_EEEvE4typeEPT_S4_S4_S3_,comdat
	.protected	_Z33warp_exclusive_scan_reduce_kernelIfLj1ELj37EENSt9enable_ifIXsr10test_utilsE35device_test_enabled_for_warp_size_vIXT1_EEEvE4typeEPT_S4_S4_S3_ ; -- Begin function _Z33warp_exclusive_scan_reduce_kernelIfLj1ELj37EENSt9enable_ifIXsr10test_utilsE35device_test_enabled_for_warp_size_vIXT1_EEEvE4typeEPT_S4_S4_S3_
	.globl	_Z33warp_exclusive_scan_reduce_kernelIfLj1ELj37EENSt9enable_ifIXsr10test_utilsE35device_test_enabled_for_warp_size_vIXT1_EEEvE4typeEPT_S4_S4_S3_
	.p2align	8
	.type	_Z33warp_exclusive_scan_reduce_kernelIfLj1ELj37EENSt9enable_ifIXsr10test_utilsE35device_test_enabled_for_warp_size_vIXT1_EEEvE4typeEPT_S4_S4_S3_,@function
_Z33warp_exclusive_scan_reduce_kernelIfLj1ELj37EENSt9enable_ifIXsr10test_utilsE35device_test_enabled_for_warp_size_vIXT1_EEEvE4typeEPT_S4_S4_S3_: ; @_Z33warp_exclusive_scan_reduce_kernelIfLj1ELj37EENSt9enable_ifIXsr10test_utilsE35device_test_enabled_for_warp_size_vIXT1_EEEvE4typeEPT_S4_S4_S3_
; %bb.0:
	s_load_dword s8, s[4:5], 0x2c
	s_load_dwordx4 s[0:3], s[4:5], 0x0
	s_mov_b32 s7, 0
	v_mbcnt_lo_u32_b32 v0, -1, 0
	v_mbcnt_hi_u32_b32 v0, -1, v0
	s_waitcnt lgkmcnt(0)
	s_and_b32 s8, s8, 0xffff
	s_mul_i32 s6, s6, s8
	s_lshl_b64 s[8:9], s[6:7], 2
	s_mov_b32 s7, 0x6eb3e46
	v_mul_hi_u32 v1, v0, s7
	s_add_u32 s0, s0, s8
	s_addc_u32 s1, s1, s9
	s_load_dword s10, s[0:1], 0x0
	v_mul_u32_u24_e32 v1, 37, v1
	v_sub_u32_e32 v0, v0, v1
	v_lshlrev_b32_e32 v1, 2, v0
	v_cmp_eq_u32_e64 s[0:1], 0, v0
	v_readfirstlane_b32 s7, v0
	s_waitcnt lgkmcnt(0)
	v_mov_b32_e32 v2, s10
	v_cmp_ne_u32_e32 vcc, 0, v0
	s_and_b64 s[0:1], s[0:1], exec
	v_add_u32_e32 v0, -4, v1
	ds_write_b32 v1, v2
	; wave barrier
	s_cbranch_scc1 .LBB170_2
; %bb.1:
	ds_read_b32 v2, v0
	s_waitcnt lgkmcnt(0)
	v_add_f32_e32 v2, s10, v2
	s_branch .LBB170_3
.LBB170_2:
	v_mov_b32_e32 v2, s10
.LBB170_3:
	v_cndmask_b32_e64 v3, 0, 1, vcc
	v_cmp_ne_u32_e64 s[0:1], 1, v3
	s_andn2_b64 vcc, exec, vcc
	; wave barrier
	s_cbranch_vccnz .LBB170_5
; %bb.4:
	ds_write_b32 v1, v2
.LBB170_5:
	s_cmp_gt_u32 s7, 1
	s_cselect_b64 s[10:11], -1, 0
	s_cmp_lt_u32 s7, 2
	; wave barrier
	s_cbranch_scc1 .LBB170_7
; %bb.6:
	v_add_u32_e32 v3, -8, v1
	ds_read_b32 v3, v3
	s_waitcnt lgkmcnt(0)
	v_add_f32_e32 v2, v2, v3
.LBB170_7:
	s_andn2_b64 vcc, exec, s[10:11]
	; wave barrier
	s_cbranch_vccnz .LBB170_9
; %bb.8:
	ds_write_b32 v1, v2
.LBB170_9:
	s_cmp_gt_u32 s7, 3
	s_cselect_b64 s[10:11], -1, 0
	s_cmp_lt_u32 s7, 4
	; wave barrier
	s_cbranch_scc1 .LBB170_11
; %bb.10:
	v_add_u32_e32 v3, -16, v1
	ds_read_b32 v3, v3
	s_waitcnt lgkmcnt(0)
	v_add_f32_e32 v2, v2, v3
.LBB170_11:
	s_andn2_b64 vcc, exec, s[10:11]
	; wave barrier
	s_cbranch_vccnz .LBB170_13
; %bb.12:
	ds_write_b32 v1, v2
.LBB170_13:
	s_cmp_gt_u32 s7, 7
	s_cselect_b64 s[10:11], -1, 0
	s_cmp_lt_u32 s7, 8
	; wave barrier
	s_cbranch_scc1 .LBB170_15
; %bb.14:
	v_subrev_u32_e32 v3, 32, v1
	ds_read_b32 v3, v3
	s_waitcnt lgkmcnt(0)
	v_add_f32_e32 v2, v2, v3
.LBB170_15:
	s_andn2_b64 vcc, exec, s[10:11]
	; wave barrier
	s_cbranch_vccnz .LBB170_17
; %bb.16:
	ds_write_b32 v1, v2
.LBB170_17:
	s_cmp_gt_u32 s7, 15
	s_cselect_b64 s[10:11], -1, 0
	s_cmp_lt_u32 s7, 16
	; wave barrier
	s_cbranch_scc1 .LBB170_19
; %bb.18:
	v_subrev_u32_e32 v3, 64, v1
	ds_read_b32 v3, v3
	s_waitcnt lgkmcnt(0)
	v_add_f32_e32 v2, v2, v3
.LBB170_19:
	s_andn2_b64 vcc, exec, s[10:11]
	; wave barrier
	s_cbranch_vccnz .LBB170_21
; %bb.20:
	ds_write_b32 v1, v2
.LBB170_21:
	s_load_dwordx2 s[10:11], s[4:5], 0x10
	s_cmp_gt_u32 s7, 31
	s_cselect_b64 s[12:13], -1, 0
	s_cmp_lt_u32 s7, 32
	; wave barrier
	s_cbranch_scc1 .LBB170_23
; %bb.22:
	v_add_u32_e32 v3, 0xffffff80, v1
	ds_read_b32 v3, v3
	s_waitcnt lgkmcnt(0)
	v_add_f32_e32 v2, v2, v3
.LBB170_23:
	s_andn2_b64 vcc, exec, s[12:13]
	; wave barrier
	s_cbranch_vccnz .LBB170_25
; %bb.24:
	ds_write_b32 v1, v2
.LBB170_25:
	s_load_dword s4, s[4:5], 0x18
	s_and_b64 vcc, exec, s[0:1]
	v_mov_b32_e32 v1, 0
	; wave barrier
	s_cbranch_vccnz .LBB170_27
; %bb.26:
	ds_read_b32 v0, v0
	s_waitcnt lgkmcnt(0)
	v_add_f32_e32 v2, s4, v0
	s_branch .LBB170_28
.LBB170_27:
	s_waitcnt lgkmcnt(0)
	v_mov_b32_e32 v2, s4
.LBB170_28:
	ds_read_b32 v0, v1 offset:144
	s_add_u32 s0, s2, s8
	s_addc_u32 s1, s3, s9
	global_store_dword v1, v2, s[0:1]
	s_branch .LBB170_30
; %bb.29:
	s_endpgm
.LBB170_30:
	s_mul_hi_u32 s0, s6, 0xbacf914d
	s_sub_i32 s1, s6, s0
	s_lshr_b32 s1, s1, 1
	s_add_i32 s1, s1, s0
	s_lshr_b32 s0, s1, 3
	s_and_b32 s0, s0, 0x1ffffffc
	v_mov_b32_e32 v1, s0
	s_waitcnt lgkmcnt(0)
	global_store_dword v1, v0, s[10:11]
	s_endpgm
	.section	.rodata,"a",@progbits
	.p2align	6, 0x0
	.amdhsa_kernel _Z33warp_exclusive_scan_reduce_kernelIfLj1ELj37EENSt9enable_ifIXsr10test_utilsE35device_test_enabled_for_warp_size_vIXT1_EEEvE4typeEPT_S4_S4_S3_
		.amdhsa_group_segment_fixed_size 148
		.amdhsa_private_segment_fixed_size 0
		.amdhsa_kernarg_size 288
		.amdhsa_user_sgpr_count 6
		.amdhsa_user_sgpr_private_segment_buffer 1
		.amdhsa_user_sgpr_dispatch_ptr 0
		.amdhsa_user_sgpr_queue_ptr 0
		.amdhsa_user_sgpr_kernarg_segment_ptr 1
		.amdhsa_user_sgpr_dispatch_id 0
		.amdhsa_user_sgpr_flat_scratch_init 0
		.amdhsa_user_sgpr_private_segment_size 0
		.amdhsa_uses_dynamic_stack 0
		.amdhsa_system_sgpr_private_segment_wavefront_offset 0
		.amdhsa_system_sgpr_workgroup_id_x 1
		.amdhsa_system_sgpr_workgroup_id_y 0
		.amdhsa_system_sgpr_workgroup_id_z 0
		.amdhsa_system_sgpr_workgroup_info 0
		.amdhsa_system_vgpr_workitem_id 0
		.amdhsa_next_free_vgpr 4
		.amdhsa_next_free_sgpr 14
		.amdhsa_reserve_vcc 1
		.amdhsa_reserve_flat_scratch 0
		.amdhsa_float_round_mode_32 0
		.amdhsa_float_round_mode_16_64 0
		.amdhsa_float_denorm_mode_32 3
		.amdhsa_float_denorm_mode_16_64 3
		.amdhsa_dx10_clamp 1
		.amdhsa_ieee_mode 1
		.amdhsa_fp16_overflow 0
		.amdhsa_exception_fp_ieee_invalid_op 0
		.amdhsa_exception_fp_denorm_src 0
		.amdhsa_exception_fp_ieee_div_zero 0
		.amdhsa_exception_fp_ieee_overflow 0
		.amdhsa_exception_fp_ieee_underflow 0
		.amdhsa_exception_fp_ieee_inexact 0
		.amdhsa_exception_int_div_zero 0
	.end_amdhsa_kernel
	.section	.text._Z33warp_exclusive_scan_reduce_kernelIfLj1ELj37EENSt9enable_ifIXsr10test_utilsE35device_test_enabled_for_warp_size_vIXT1_EEEvE4typeEPT_S4_S4_S3_,"axG",@progbits,_Z33warp_exclusive_scan_reduce_kernelIfLj1ELj37EENSt9enable_ifIXsr10test_utilsE35device_test_enabled_for_warp_size_vIXT1_EEEvE4typeEPT_S4_S4_S3_,comdat
.Lfunc_end170:
	.size	_Z33warp_exclusive_scan_reduce_kernelIfLj1ELj37EENSt9enable_ifIXsr10test_utilsE35device_test_enabled_for_warp_size_vIXT1_EEEvE4typeEPT_S4_S4_S3_, .Lfunc_end170-_Z33warp_exclusive_scan_reduce_kernelIfLj1ELj37EENSt9enable_ifIXsr10test_utilsE35device_test_enabled_for_warp_size_vIXT1_EEEvE4typeEPT_S4_S4_S3_
                                        ; -- End function
	.set _Z33warp_exclusive_scan_reduce_kernelIfLj1ELj37EENSt9enable_ifIXsr10test_utilsE35device_test_enabled_for_warp_size_vIXT1_EEEvE4typeEPT_S4_S4_S3_.num_vgpr, 4
	.set _Z33warp_exclusive_scan_reduce_kernelIfLj1ELj37EENSt9enable_ifIXsr10test_utilsE35device_test_enabled_for_warp_size_vIXT1_EEEvE4typeEPT_S4_S4_S3_.num_agpr, 0
	.set _Z33warp_exclusive_scan_reduce_kernelIfLj1ELj37EENSt9enable_ifIXsr10test_utilsE35device_test_enabled_for_warp_size_vIXT1_EEEvE4typeEPT_S4_S4_S3_.numbered_sgpr, 14
	.set _Z33warp_exclusive_scan_reduce_kernelIfLj1ELj37EENSt9enable_ifIXsr10test_utilsE35device_test_enabled_for_warp_size_vIXT1_EEEvE4typeEPT_S4_S4_S3_.num_named_barrier, 0
	.set _Z33warp_exclusive_scan_reduce_kernelIfLj1ELj37EENSt9enable_ifIXsr10test_utilsE35device_test_enabled_for_warp_size_vIXT1_EEEvE4typeEPT_S4_S4_S3_.private_seg_size, 0
	.set _Z33warp_exclusive_scan_reduce_kernelIfLj1ELj37EENSt9enable_ifIXsr10test_utilsE35device_test_enabled_for_warp_size_vIXT1_EEEvE4typeEPT_S4_S4_S3_.uses_vcc, 1
	.set _Z33warp_exclusive_scan_reduce_kernelIfLj1ELj37EENSt9enable_ifIXsr10test_utilsE35device_test_enabled_for_warp_size_vIXT1_EEEvE4typeEPT_S4_S4_S3_.uses_flat_scratch, 0
	.set _Z33warp_exclusive_scan_reduce_kernelIfLj1ELj37EENSt9enable_ifIXsr10test_utilsE35device_test_enabled_for_warp_size_vIXT1_EEEvE4typeEPT_S4_S4_S3_.has_dyn_sized_stack, 0
	.set _Z33warp_exclusive_scan_reduce_kernelIfLj1ELj37EENSt9enable_ifIXsr10test_utilsE35device_test_enabled_for_warp_size_vIXT1_EEEvE4typeEPT_S4_S4_S3_.has_recursion, 0
	.set _Z33warp_exclusive_scan_reduce_kernelIfLj1ELj37EENSt9enable_ifIXsr10test_utilsE35device_test_enabled_for_warp_size_vIXT1_EEEvE4typeEPT_S4_S4_S3_.has_indirect_call, 0
	.section	.AMDGPU.csdata,"",@progbits
; Kernel info:
; codeLenInByte = 604
; TotalNumSgprs: 18
; NumVgprs: 4
; ScratchSize: 0
; MemoryBound: 0
; FloatMode: 240
; IeeeMode: 1
; LDSByteSize: 148 bytes/workgroup (compile time only)
; SGPRBlocks: 2
; VGPRBlocks: 0
; NumSGPRsForWavesPerEU: 18
; NumVGPRsForWavesPerEU: 4
; Occupancy: 10
; WaveLimiterHint : 0
; COMPUTE_PGM_RSRC2:SCRATCH_EN: 0
; COMPUTE_PGM_RSRC2:USER_SGPR: 6
; COMPUTE_PGM_RSRC2:TRAP_HANDLER: 0
; COMPUTE_PGM_RSRC2:TGID_X_EN: 1
; COMPUTE_PGM_RSRC2:TGID_Y_EN: 0
; COMPUTE_PGM_RSRC2:TGID_Z_EN: 0
; COMPUTE_PGM_RSRC2:TIDIG_COMP_CNT: 0
	.section	.text._Z33warp_exclusive_scan_reduce_kernelIfLj37ELj37EENSt9enable_ifIXsr10test_utilsE35device_test_enabled_for_warp_size_vIXT1_EEEvE4typeEPT_S4_S4_S3_,"axG",@progbits,_Z33warp_exclusive_scan_reduce_kernelIfLj37ELj37EENSt9enable_ifIXsr10test_utilsE35device_test_enabled_for_warp_size_vIXT1_EEEvE4typeEPT_S4_S4_S3_,comdat
	.protected	_Z33warp_exclusive_scan_reduce_kernelIfLj37ELj37EENSt9enable_ifIXsr10test_utilsE35device_test_enabled_for_warp_size_vIXT1_EEEvE4typeEPT_S4_S4_S3_ ; -- Begin function _Z33warp_exclusive_scan_reduce_kernelIfLj37ELj37EENSt9enable_ifIXsr10test_utilsE35device_test_enabled_for_warp_size_vIXT1_EEEvE4typeEPT_S4_S4_S3_
	.globl	_Z33warp_exclusive_scan_reduce_kernelIfLj37ELj37EENSt9enable_ifIXsr10test_utilsE35device_test_enabled_for_warp_size_vIXT1_EEEvE4typeEPT_S4_S4_S3_
	.p2align	8
	.type	_Z33warp_exclusive_scan_reduce_kernelIfLj37ELj37EENSt9enable_ifIXsr10test_utilsE35device_test_enabled_for_warp_size_vIXT1_EEEvE4typeEPT_S4_S4_S3_,@function
_Z33warp_exclusive_scan_reduce_kernelIfLj37ELj37EENSt9enable_ifIXsr10test_utilsE35device_test_enabled_for_warp_size_vIXT1_EEEvE4typeEPT_S4_S4_S3_: ; @_Z33warp_exclusive_scan_reduce_kernelIfLj37ELj37EENSt9enable_ifIXsr10test_utilsE35device_test_enabled_for_warp_size_vIXT1_EEEvE4typeEPT_S4_S4_S3_
; %bb.0:
	s_load_dword s7, s[4:5], 0x2c
	s_load_dwordx4 s[0:3], s[4:5], 0x0
	v_mov_b32_e32 v2, 0
	s_waitcnt lgkmcnt(0)
	s_and_b32 s7, s7, 0xffff
	s_mul_i32 s6, s6, s7
	v_add_u32_e32 v1, s6, v0
	v_lshlrev_b64 v[2:3], 2, v[1:2]
	v_mov_b32_e32 v5, s1
	v_add_co_u32_e32 v4, vcc, s0, v2
	v_addc_co_u32_e32 v5, vcc, v5, v3, vcc
	global_load_dword v5, v[4:5], off
	v_mbcnt_lo_u32_b32 v4, -1, 0
	s_mov_b32 s0, 0x6eb3e46
	v_mbcnt_hi_u32_b32 v6, -1, v4
	v_mul_hi_u32 v7, v6, s0
	v_mul_u32_u24_e32 v4, 0x6ec, v0
	s_movk_i32 s0, 0x94
	v_lshrrev_b32_e32 v4, 16, v4
	v_mul_u32_u24_e32 v7, 37, v7
	v_sub_u32_e32 v8, v6, v7
	v_lshlrev_b32_e32 v6, 2, v8
	v_mad_u32_u24 v7, v4, s0, v6
	v_cmp_ne_u32_e32 vcc, 0, v8
	v_add_u32_e32 v6, -4, v7
	s_waitcnt vmcnt(0)
	ds_write_b32 v7, v5
	; wave barrier
	s_and_saveexec_b64 s[0:1], vcc
	s_cbranch_execz .LBB171_2
; %bb.1:
	ds_read_b32 v9, v6
	s_waitcnt lgkmcnt(0)
	v_add_f32_e32 v5, v5, v9
.LBB171_2:
	s_or_b64 exec, exec, s[0:1]
	; wave barrier
	s_and_saveexec_b64 s[0:1], vcc
; %bb.3:
	ds_write_b32 v7, v5
; %bb.4:
	s_or_b64 exec, exec, s[0:1]
	v_cmp_lt_u32_e64 s[0:1], 1, v8
	; wave barrier
	s_and_saveexec_b64 s[6:7], s[0:1]
	s_cbranch_execz .LBB171_6
; %bb.5:
	v_add_u32_e32 v9, -8, v7
	ds_read_b32 v9, v9
	s_waitcnt lgkmcnt(0)
	v_add_f32_e32 v5, v5, v9
.LBB171_6:
	s_or_b64 exec, exec, s[6:7]
	; wave barrier
	s_and_saveexec_b64 s[6:7], s[0:1]
; %bb.7:
	ds_write_b32 v7, v5
; %bb.8:
	s_or_b64 exec, exec, s[6:7]
	v_cmp_lt_u32_e64 s[0:1], 3, v8
	; wave barrier
	s_and_saveexec_b64 s[6:7], s[0:1]
	s_cbranch_execz .LBB171_10
; %bb.9:
	v_add_u32_e32 v9, -16, v7
	ds_read_b32 v9, v9
	s_waitcnt lgkmcnt(0)
	v_add_f32_e32 v5, v5, v9
.LBB171_10:
	s_or_b64 exec, exec, s[6:7]
	; wave barrier
	s_and_saveexec_b64 s[6:7], s[0:1]
; %bb.11:
	ds_write_b32 v7, v5
; %bb.12:
	s_or_b64 exec, exec, s[6:7]
	v_cmp_lt_u32_e64 s[0:1], 7, v8
	; wave barrier
	s_and_saveexec_b64 s[6:7], s[0:1]
	s_cbranch_execz .LBB171_14
; %bb.13:
	v_subrev_u32_e32 v9, 32, v7
	ds_read_b32 v9, v9
	s_waitcnt lgkmcnt(0)
	v_add_f32_e32 v5, v5, v9
.LBB171_14:
	s_or_b64 exec, exec, s[6:7]
	; wave barrier
	s_and_saveexec_b64 s[6:7], s[0:1]
; %bb.15:
	ds_write_b32 v7, v5
; %bb.16:
	s_or_b64 exec, exec, s[6:7]
	v_cmp_lt_u32_e64 s[0:1], 15, v8
	; wave barrier
	s_and_saveexec_b64 s[6:7], s[0:1]
	s_cbranch_execz .LBB171_18
; %bb.17:
	v_subrev_u32_e32 v9, 64, v7
	ds_read_b32 v9, v9
	s_waitcnt lgkmcnt(0)
	v_add_f32_e32 v5, v5, v9
.LBB171_18:
	s_or_b64 exec, exec, s[6:7]
	; wave barrier
	s_and_saveexec_b64 s[6:7], s[0:1]
; %bb.19:
	ds_write_b32 v7, v5
; %bb.20:
	s_or_b64 exec, exec, s[6:7]
	s_load_dwordx2 s[6:7], s[4:5], 0x10
	v_cmp_lt_u32_e64 s[0:1], 31, v8
	; wave barrier
	s_and_saveexec_b64 s[8:9], s[0:1]
	s_cbranch_execz .LBB171_22
; %bb.21:
	v_add_u32_e32 v8, 0xffffff80, v7
	ds_read_b32 v8, v8
	s_waitcnt lgkmcnt(0)
	v_add_f32_e32 v5, v5, v8
.LBB171_22:
	s_or_b64 exec, exec, s[8:9]
	v_mul_u32_u24_e32 v8, 0x94, v4
	; wave barrier
	s_and_saveexec_b64 s[8:9], s[0:1]
; %bb.23:
	ds_write_b32 v7, v5
; %bb.24:
	s_or_b64 exec, exec, s[8:9]
	s_load_dword s4, s[4:5], 0x18
	; wave barrier
	ds_read_b32 v5, v8 offset:144
	s_waitcnt lgkmcnt(0)
	v_mov_b32_e32 v7, s4
	s_and_saveexec_b64 s[0:1], vcc
	s_cbranch_execz .LBB171_26
; %bb.25:
	ds_read_b32 v6, v6
	s_waitcnt lgkmcnt(0)
	v_add_f32_e32 v7, s4, v6
.LBB171_26:
	s_or_b64 exec, exec, s[0:1]
	v_mov_b32_e32 v6, s3
	v_add_co_u32_e32 v2, vcc, s2, v2
	v_addc_co_u32_e32 v3, vcc, v6, v3, vcc
	global_store_dword v[2:3], v7, off
	v_mul_lo_u16_e32 v2, 37, v4
	v_sub_u16_e32 v0, v0, v2
	v_cmp_eq_u16_e32 vcc, 0, v0
	s_and_saveexec_b64 s[0:1], vcc
	s_cbranch_execz .LBB171_28
; %bb.27:
	s_mov_b32 s0, 0xbacf914d
	v_mul_hi_u32 v0, v1, s0
	v_sub_u32_e32 v1, v1, v0
	v_lshrrev_b32_e32 v1, 1, v1
	v_add_u32_e32 v0, v1, v0
	v_lshrrev_b32_e32 v0, 3, v0
	v_and_b32_e32 v0, 0x1ffffffc, v0
	global_store_dword v0, v5, s[6:7]
.LBB171_28:
	s_endpgm
	.section	.rodata,"a",@progbits
	.p2align	6, 0x0
	.amdhsa_kernel _Z33warp_exclusive_scan_reduce_kernelIfLj37ELj37EENSt9enable_ifIXsr10test_utilsE35device_test_enabled_for_warp_size_vIXT1_EEEvE4typeEPT_S4_S4_S3_
		.amdhsa_group_segment_fixed_size 148
		.amdhsa_private_segment_fixed_size 0
		.amdhsa_kernarg_size 288
		.amdhsa_user_sgpr_count 6
		.amdhsa_user_sgpr_private_segment_buffer 1
		.amdhsa_user_sgpr_dispatch_ptr 0
		.amdhsa_user_sgpr_queue_ptr 0
		.amdhsa_user_sgpr_kernarg_segment_ptr 1
		.amdhsa_user_sgpr_dispatch_id 0
		.amdhsa_user_sgpr_flat_scratch_init 0
		.amdhsa_user_sgpr_private_segment_size 0
		.amdhsa_uses_dynamic_stack 0
		.amdhsa_system_sgpr_private_segment_wavefront_offset 0
		.amdhsa_system_sgpr_workgroup_id_x 1
		.amdhsa_system_sgpr_workgroup_id_y 0
		.amdhsa_system_sgpr_workgroup_id_z 0
		.amdhsa_system_sgpr_workgroup_info 0
		.amdhsa_system_vgpr_workitem_id 0
		.amdhsa_next_free_vgpr 10
		.amdhsa_next_free_sgpr 10
		.amdhsa_reserve_vcc 1
		.amdhsa_reserve_flat_scratch 0
		.amdhsa_float_round_mode_32 0
		.amdhsa_float_round_mode_16_64 0
		.amdhsa_float_denorm_mode_32 3
		.amdhsa_float_denorm_mode_16_64 3
		.amdhsa_dx10_clamp 1
		.amdhsa_ieee_mode 1
		.amdhsa_fp16_overflow 0
		.amdhsa_exception_fp_ieee_invalid_op 0
		.amdhsa_exception_fp_denorm_src 0
		.amdhsa_exception_fp_ieee_div_zero 0
		.amdhsa_exception_fp_ieee_overflow 0
		.amdhsa_exception_fp_ieee_underflow 0
		.amdhsa_exception_fp_ieee_inexact 0
		.amdhsa_exception_int_div_zero 0
	.end_amdhsa_kernel
	.section	.text._Z33warp_exclusive_scan_reduce_kernelIfLj37ELj37EENSt9enable_ifIXsr10test_utilsE35device_test_enabled_for_warp_size_vIXT1_EEEvE4typeEPT_S4_S4_S3_,"axG",@progbits,_Z33warp_exclusive_scan_reduce_kernelIfLj37ELj37EENSt9enable_ifIXsr10test_utilsE35device_test_enabled_for_warp_size_vIXT1_EEEvE4typeEPT_S4_S4_S3_,comdat
.Lfunc_end171:
	.size	_Z33warp_exclusive_scan_reduce_kernelIfLj37ELj37EENSt9enable_ifIXsr10test_utilsE35device_test_enabled_for_warp_size_vIXT1_EEEvE4typeEPT_S4_S4_S3_, .Lfunc_end171-_Z33warp_exclusive_scan_reduce_kernelIfLj37ELj37EENSt9enable_ifIXsr10test_utilsE35device_test_enabled_for_warp_size_vIXT1_EEEvE4typeEPT_S4_S4_S3_
                                        ; -- End function
	.set _Z33warp_exclusive_scan_reduce_kernelIfLj37ELj37EENSt9enable_ifIXsr10test_utilsE35device_test_enabled_for_warp_size_vIXT1_EEEvE4typeEPT_S4_S4_S3_.num_vgpr, 10
	.set _Z33warp_exclusive_scan_reduce_kernelIfLj37ELj37EENSt9enable_ifIXsr10test_utilsE35device_test_enabled_for_warp_size_vIXT1_EEEvE4typeEPT_S4_S4_S3_.num_agpr, 0
	.set _Z33warp_exclusive_scan_reduce_kernelIfLj37ELj37EENSt9enable_ifIXsr10test_utilsE35device_test_enabled_for_warp_size_vIXT1_EEEvE4typeEPT_S4_S4_S3_.numbered_sgpr, 10
	.set _Z33warp_exclusive_scan_reduce_kernelIfLj37ELj37EENSt9enable_ifIXsr10test_utilsE35device_test_enabled_for_warp_size_vIXT1_EEEvE4typeEPT_S4_S4_S3_.num_named_barrier, 0
	.set _Z33warp_exclusive_scan_reduce_kernelIfLj37ELj37EENSt9enable_ifIXsr10test_utilsE35device_test_enabled_for_warp_size_vIXT1_EEEvE4typeEPT_S4_S4_S3_.private_seg_size, 0
	.set _Z33warp_exclusive_scan_reduce_kernelIfLj37ELj37EENSt9enable_ifIXsr10test_utilsE35device_test_enabled_for_warp_size_vIXT1_EEEvE4typeEPT_S4_S4_S3_.uses_vcc, 1
	.set _Z33warp_exclusive_scan_reduce_kernelIfLj37ELj37EENSt9enable_ifIXsr10test_utilsE35device_test_enabled_for_warp_size_vIXT1_EEEvE4typeEPT_S4_S4_S3_.uses_flat_scratch, 0
	.set _Z33warp_exclusive_scan_reduce_kernelIfLj37ELj37EENSt9enable_ifIXsr10test_utilsE35device_test_enabled_for_warp_size_vIXT1_EEEvE4typeEPT_S4_S4_S3_.has_dyn_sized_stack, 0
	.set _Z33warp_exclusive_scan_reduce_kernelIfLj37ELj37EENSt9enable_ifIXsr10test_utilsE35device_test_enabled_for_warp_size_vIXT1_EEEvE4typeEPT_S4_S4_S3_.has_recursion, 0
	.set _Z33warp_exclusive_scan_reduce_kernelIfLj37ELj37EENSt9enable_ifIXsr10test_utilsE35device_test_enabled_for_warp_size_vIXT1_EEEvE4typeEPT_S4_S4_S3_.has_indirect_call, 0
	.section	.AMDGPU.csdata,"",@progbits
; Kernel info:
; codeLenInByte = 644
; TotalNumSgprs: 14
; NumVgprs: 10
; ScratchSize: 0
; MemoryBound: 0
; FloatMode: 240
; IeeeMode: 1
; LDSByteSize: 148 bytes/workgroup (compile time only)
; SGPRBlocks: 1
; VGPRBlocks: 2
; NumSGPRsForWavesPerEU: 14
; NumVGPRsForWavesPerEU: 10
; Occupancy: 10
; WaveLimiterHint : 0
; COMPUTE_PGM_RSRC2:SCRATCH_EN: 0
; COMPUTE_PGM_RSRC2:USER_SGPR: 6
; COMPUTE_PGM_RSRC2:TRAP_HANDLER: 0
; COMPUTE_PGM_RSRC2:TGID_X_EN: 1
; COMPUTE_PGM_RSRC2:TGID_Y_EN: 0
; COMPUTE_PGM_RSRC2:TGID_Z_EN: 0
; COMPUTE_PGM_RSRC2:TIDIG_COMP_CNT: 0
	.section	.text._Z33warp_exclusive_scan_reduce_kernelIfLj30ELj15EENSt9enable_ifIXsr10test_utilsE35device_test_enabled_for_warp_size_vIXT1_EEEvE4typeEPT_S4_S4_S3_,"axG",@progbits,_Z33warp_exclusive_scan_reduce_kernelIfLj30ELj15EENSt9enable_ifIXsr10test_utilsE35device_test_enabled_for_warp_size_vIXT1_EEEvE4typeEPT_S4_S4_S3_,comdat
	.protected	_Z33warp_exclusive_scan_reduce_kernelIfLj30ELj15EENSt9enable_ifIXsr10test_utilsE35device_test_enabled_for_warp_size_vIXT1_EEEvE4typeEPT_S4_S4_S3_ ; -- Begin function _Z33warp_exclusive_scan_reduce_kernelIfLj30ELj15EENSt9enable_ifIXsr10test_utilsE35device_test_enabled_for_warp_size_vIXT1_EEEvE4typeEPT_S4_S4_S3_
	.globl	_Z33warp_exclusive_scan_reduce_kernelIfLj30ELj15EENSt9enable_ifIXsr10test_utilsE35device_test_enabled_for_warp_size_vIXT1_EEEvE4typeEPT_S4_S4_S3_
	.p2align	8
	.type	_Z33warp_exclusive_scan_reduce_kernelIfLj30ELj15EENSt9enable_ifIXsr10test_utilsE35device_test_enabled_for_warp_size_vIXT1_EEEvE4typeEPT_S4_S4_S3_,@function
_Z33warp_exclusive_scan_reduce_kernelIfLj30ELj15EENSt9enable_ifIXsr10test_utilsE35device_test_enabled_for_warp_size_vIXT1_EEEvE4typeEPT_S4_S4_S3_: ; @_Z33warp_exclusive_scan_reduce_kernelIfLj30ELj15EENSt9enable_ifIXsr10test_utilsE35device_test_enabled_for_warp_size_vIXT1_EEEvE4typeEPT_S4_S4_S3_
; %bb.0:
	s_load_dword s7, s[4:5], 0x2c
	s_load_dwordx4 s[0:3], s[4:5], 0x0
	v_mov_b32_e32 v2, 0
	s_waitcnt lgkmcnt(0)
	s_and_b32 s7, s7, 0xffff
	s_mul_i32 s6, s6, s7
	v_add_u32_e32 v1, s6, v0
	v_lshlrev_b64 v[2:3], 2, v[1:2]
	v_mov_b32_e32 v5, s1
	v_add_co_u32_e32 v4, vcc, s0, v2
	v_addc_co_u32_e32 v5, vcc, v5, v3, vcc
	global_load_dword v5, v[4:5], off
	v_mbcnt_lo_u32_b32 v4, -1, 0
	s_mov_b32 s0, 0x11111112
	v_mbcnt_hi_u32_b32 v6, -1, v4
	v_mul_hi_u32 v7, v6, s0
	v_mul_u32_u24_e32 v4, 0x1112, v0
	v_lshrrev_b32_e32 v4, 16, v4
	v_mul_u32_u24_e32 v7, 15, v7
	v_sub_u32_e32 v8, v6, v7
	v_lshlrev_b32_e32 v6, 2, v8
	v_mad_u32_u24 v7, v4, 60, v6
	v_cmp_ne_u32_e32 vcc, 0, v8
	v_add_u32_e32 v6, -4, v7
	s_waitcnt vmcnt(0)
	ds_write_b32 v7, v5
	; wave barrier
	s_and_saveexec_b64 s[0:1], vcc
	s_cbranch_execz .LBB172_2
; %bb.1:
	ds_read_b32 v9, v6
	s_waitcnt lgkmcnt(0)
	v_add_f32_e32 v5, v5, v9
.LBB172_2:
	s_or_b64 exec, exec, s[0:1]
	; wave barrier
	s_and_saveexec_b64 s[0:1], vcc
; %bb.3:
	ds_write_b32 v7, v5
; %bb.4:
	s_or_b64 exec, exec, s[0:1]
	v_cmp_lt_u32_e64 s[0:1], 1, v8
	; wave barrier
	s_and_saveexec_b64 s[6:7], s[0:1]
	s_cbranch_execz .LBB172_6
; %bb.5:
	v_add_u32_e32 v9, -8, v7
	ds_read_b32 v9, v9
	s_waitcnt lgkmcnt(0)
	v_add_f32_e32 v5, v5, v9
.LBB172_6:
	s_or_b64 exec, exec, s[6:7]
	; wave barrier
	s_and_saveexec_b64 s[6:7], s[0:1]
; %bb.7:
	ds_write_b32 v7, v5
; %bb.8:
	s_or_b64 exec, exec, s[6:7]
	v_cmp_lt_u32_e64 s[0:1], 3, v8
	; wave barrier
	s_and_saveexec_b64 s[6:7], s[0:1]
	s_cbranch_execz .LBB172_10
; %bb.9:
	v_add_u32_e32 v9, -16, v7
	ds_read_b32 v9, v9
	s_waitcnt lgkmcnt(0)
	v_add_f32_e32 v5, v5, v9
.LBB172_10:
	s_or_b64 exec, exec, s[6:7]
	; wave barrier
	s_and_saveexec_b64 s[6:7], s[0:1]
; %bb.11:
	ds_write_b32 v7, v5
; %bb.12:
	s_or_b64 exec, exec, s[6:7]
	s_load_dwordx2 s[6:7], s[4:5], 0x10
	v_cmp_lt_u32_e64 s[0:1], 7, v8
	; wave barrier
	s_and_saveexec_b64 s[8:9], s[0:1]
	s_cbranch_execz .LBB172_14
; %bb.13:
	v_subrev_u32_e32 v8, 32, v7
	ds_read_b32 v8, v8
	s_waitcnt lgkmcnt(0)
	v_add_f32_e32 v5, v5, v8
.LBB172_14:
	s_or_b64 exec, exec, s[8:9]
	v_mul_u32_u24_e32 v8, 60, v4
	; wave barrier
	s_and_saveexec_b64 s[8:9], s[0:1]
; %bb.15:
	ds_write_b32 v7, v5
; %bb.16:
	s_or_b64 exec, exec, s[8:9]
	s_load_dword s4, s[4:5], 0x18
	; wave barrier
	ds_read_b32 v5, v8 offset:56
	s_waitcnt lgkmcnt(0)
	v_mov_b32_e32 v7, s4
	s_and_saveexec_b64 s[0:1], vcc
	s_cbranch_execz .LBB172_18
; %bb.17:
	ds_read_b32 v6, v6
	s_waitcnt lgkmcnt(0)
	v_add_f32_e32 v7, s4, v6
.LBB172_18:
	s_or_b64 exec, exec, s[0:1]
	v_mov_b32_e32 v6, s3
	v_add_co_u32_e32 v2, vcc, s2, v2
	v_addc_co_u32_e32 v3, vcc, v6, v3, vcc
	global_store_dword v[2:3], v7, off
	v_mul_lo_u16_e32 v2, 15, v4
	v_sub_u16_e32 v0, v0, v2
	v_cmp_eq_u16_e32 vcc, 0, v0
	s_and_saveexec_b64 s[0:1], vcc
	s_cbranch_execz .LBB172_20
; %bb.19:
	s_mov_b32 s0, 0x88888889
	v_mul_hi_u32 v0, v1, s0
	v_lshrrev_b32_e32 v0, 1, v0
	v_and_b32_e32 v0, 0x7ffffffc, v0
	global_store_dword v0, v5, s[6:7]
.LBB172_20:
	s_endpgm
	.section	.rodata,"a",@progbits
	.p2align	6, 0x0
	.amdhsa_kernel _Z33warp_exclusive_scan_reduce_kernelIfLj30ELj15EENSt9enable_ifIXsr10test_utilsE35device_test_enabled_for_warp_size_vIXT1_EEEvE4typeEPT_S4_S4_S3_
		.amdhsa_group_segment_fixed_size 120
		.amdhsa_private_segment_fixed_size 0
		.amdhsa_kernarg_size 288
		.amdhsa_user_sgpr_count 6
		.amdhsa_user_sgpr_private_segment_buffer 1
		.amdhsa_user_sgpr_dispatch_ptr 0
		.amdhsa_user_sgpr_queue_ptr 0
		.amdhsa_user_sgpr_kernarg_segment_ptr 1
		.amdhsa_user_sgpr_dispatch_id 0
		.amdhsa_user_sgpr_flat_scratch_init 0
		.amdhsa_user_sgpr_private_segment_size 0
		.amdhsa_uses_dynamic_stack 0
		.amdhsa_system_sgpr_private_segment_wavefront_offset 0
		.amdhsa_system_sgpr_workgroup_id_x 1
		.amdhsa_system_sgpr_workgroup_id_y 0
		.amdhsa_system_sgpr_workgroup_id_z 0
		.amdhsa_system_sgpr_workgroup_info 0
		.amdhsa_system_vgpr_workitem_id 0
		.amdhsa_next_free_vgpr 10
		.amdhsa_next_free_sgpr 10
		.amdhsa_reserve_vcc 1
		.amdhsa_reserve_flat_scratch 0
		.amdhsa_float_round_mode_32 0
		.amdhsa_float_round_mode_16_64 0
		.amdhsa_float_denorm_mode_32 3
		.amdhsa_float_denorm_mode_16_64 3
		.amdhsa_dx10_clamp 1
		.amdhsa_ieee_mode 1
		.amdhsa_fp16_overflow 0
		.amdhsa_exception_fp_ieee_invalid_op 0
		.amdhsa_exception_fp_denorm_src 0
		.amdhsa_exception_fp_ieee_div_zero 0
		.amdhsa_exception_fp_ieee_overflow 0
		.amdhsa_exception_fp_ieee_underflow 0
		.amdhsa_exception_fp_ieee_inexact 0
		.amdhsa_exception_int_div_zero 0
	.end_amdhsa_kernel
	.section	.text._Z33warp_exclusive_scan_reduce_kernelIfLj30ELj15EENSt9enable_ifIXsr10test_utilsE35device_test_enabled_for_warp_size_vIXT1_EEEvE4typeEPT_S4_S4_S3_,"axG",@progbits,_Z33warp_exclusive_scan_reduce_kernelIfLj30ELj15EENSt9enable_ifIXsr10test_utilsE35device_test_enabled_for_warp_size_vIXT1_EEEvE4typeEPT_S4_S4_S3_,comdat
.Lfunc_end172:
	.size	_Z33warp_exclusive_scan_reduce_kernelIfLj30ELj15EENSt9enable_ifIXsr10test_utilsE35device_test_enabled_for_warp_size_vIXT1_EEEvE4typeEPT_S4_S4_S3_, .Lfunc_end172-_Z33warp_exclusive_scan_reduce_kernelIfLj30ELj15EENSt9enable_ifIXsr10test_utilsE35device_test_enabled_for_warp_size_vIXT1_EEEvE4typeEPT_S4_S4_S3_
                                        ; -- End function
	.set _Z33warp_exclusive_scan_reduce_kernelIfLj30ELj15EENSt9enable_ifIXsr10test_utilsE35device_test_enabled_for_warp_size_vIXT1_EEEvE4typeEPT_S4_S4_S3_.num_vgpr, 10
	.set _Z33warp_exclusive_scan_reduce_kernelIfLj30ELj15EENSt9enable_ifIXsr10test_utilsE35device_test_enabled_for_warp_size_vIXT1_EEEvE4typeEPT_S4_S4_S3_.num_agpr, 0
	.set _Z33warp_exclusive_scan_reduce_kernelIfLj30ELj15EENSt9enable_ifIXsr10test_utilsE35device_test_enabled_for_warp_size_vIXT1_EEEvE4typeEPT_S4_S4_S3_.numbered_sgpr, 10
	.set _Z33warp_exclusive_scan_reduce_kernelIfLj30ELj15EENSt9enable_ifIXsr10test_utilsE35device_test_enabled_for_warp_size_vIXT1_EEEvE4typeEPT_S4_S4_S3_.num_named_barrier, 0
	.set _Z33warp_exclusive_scan_reduce_kernelIfLj30ELj15EENSt9enable_ifIXsr10test_utilsE35device_test_enabled_for_warp_size_vIXT1_EEEvE4typeEPT_S4_S4_S3_.private_seg_size, 0
	.set _Z33warp_exclusive_scan_reduce_kernelIfLj30ELj15EENSt9enable_ifIXsr10test_utilsE35device_test_enabled_for_warp_size_vIXT1_EEEvE4typeEPT_S4_S4_S3_.uses_vcc, 1
	.set _Z33warp_exclusive_scan_reduce_kernelIfLj30ELj15EENSt9enable_ifIXsr10test_utilsE35device_test_enabled_for_warp_size_vIXT1_EEEvE4typeEPT_S4_S4_S3_.uses_flat_scratch, 0
	.set _Z33warp_exclusive_scan_reduce_kernelIfLj30ELj15EENSt9enable_ifIXsr10test_utilsE35device_test_enabled_for_warp_size_vIXT1_EEEvE4typeEPT_S4_S4_S3_.has_dyn_sized_stack, 0
	.set _Z33warp_exclusive_scan_reduce_kernelIfLj30ELj15EENSt9enable_ifIXsr10test_utilsE35device_test_enabled_for_warp_size_vIXT1_EEEvE4typeEPT_S4_S4_S3_.has_recursion, 0
	.set _Z33warp_exclusive_scan_reduce_kernelIfLj30ELj15EENSt9enable_ifIXsr10test_utilsE35device_test_enabled_for_warp_size_vIXT1_EEEvE4typeEPT_S4_S4_S3_.has_indirect_call, 0
	.section	.AMDGPU.csdata,"",@progbits
; Kernel info:
; codeLenInByte = 508
; TotalNumSgprs: 14
; NumVgprs: 10
; ScratchSize: 0
; MemoryBound: 0
; FloatMode: 240
; IeeeMode: 1
; LDSByteSize: 120 bytes/workgroup (compile time only)
; SGPRBlocks: 1
; VGPRBlocks: 2
; NumSGPRsForWavesPerEU: 14
; NumVGPRsForWavesPerEU: 10
; Occupancy: 10
; WaveLimiterHint : 0
; COMPUTE_PGM_RSRC2:SCRATCH_EN: 0
; COMPUTE_PGM_RSRC2:USER_SGPR: 6
; COMPUTE_PGM_RSRC2:TRAP_HANDLER: 0
; COMPUTE_PGM_RSRC2:TGID_X_EN: 1
; COMPUTE_PGM_RSRC2:TGID_Y_EN: 0
; COMPUTE_PGM_RSRC2:TGID_Z_EN: 0
; COMPUTE_PGM_RSRC2:TIDIG_COMP_CNT: 0
	.section	.text._Z33warp_exclusive_scan_reduce_kernelIfLj60ELj15EENSt9enable_ifIXsr10test_utilsE35device_test_enabled_for_warp_size_vIXT1_EEEvE4typeEPT_S4_S4_S3_,"axG",@progbits,_Z33warp_exclusive_scan_reduce_kernelIfLj60ELj15EENSt9enable_ifIXsr10test_utilsE35device_test_enabled_for_warp_size_vIXT1_EEEvE4typeEPT_S4_S4_S3_,comdat
	.protected	_Z33warp_exclusive_scan_reduce_kernelIfLj60ELj15EENSt9enable_ifIXsr10test_utilsE35device_test_enabled_for_warp_size_vIXT1_EEEvE4typeEPT_S4_S4_S3_ ; -- Begin function _Z33warp_exclusive_scan_reduce_kernelIfLj60ELj15EENSt9enable_ifIXsr10test_utilsE35device_test_enabled_for_warp_size_vIXT1_EEEvE4typeEPT_S4_S4_S3_
	.globl	_Z33warp_exclusive_scan_reduce_kernelIfLj60ELj15EENSt9enable_ifIXsr10test_utilsE35device_test_enabled_for_warp_size_vIXT1_EEEvE4typeEPT_S4_S4_S3_
	.p2align	8
	.type	_Z33warp_exclusive_scan_reduce_kernelIfLj60ELj15EENSt9enable_ifIXsr10test_utilsE35device_test_enabled_for_warp_size_vIXT1_EEEvE4typeEPT_S4_S4_S3_,@function
_Z33warp_exclusive_scan_reduce_kernelIfLj60ELj15EENSt9enable_ifIXsr10test_utilsE35device_test_enabled_for_warp_size_vIXT1_EEEvE4typeEPT_S4_S4_S3_: ; @_Z33warp_exclusive_scan_reduce_kernelIfLj60ELj15EENSt9enable_ifIXsr10test_utilsE35device_test_enabled_for_warp_size_vIXT1_EEEvE4typeEPT_S4_S4_S3_
; %bb.0:
	s_load_dword s7, s[4:5], 0x2c
	s_load_dwordx4 s[0:3], s[4:5], 0x0
	v_mov_b32_e32 v2, 0
	s_waitcnt lgkmcnt(0)
	s_and_b32 s7, s7, 0xffff
	s_mul_i32 s6, s6, s7
	v_add_u32_e32 v1, s6, v0
	v_lshlrev_b64 v[2:3], 2, v[1:2]
	v_mov_b32_e32 v5, s1
	v_add_co_u32_e32 v4, vcc, s0, v2
	v_addc_co_u32_e32 v5, vcc, v5, v3, vcc
	global_load_dword v5, v[4:5], off
	v_mbcnt_lo_u32_b32 v4, -1, 0
	s_mov_b32 s0, 0x11111112
	v_mbcnt_hi_u32_b32 v6, -1, v4
	v_mul_hi_u32 v7, v6, s0
	v_mul_u32_u24_e32 v4, 0x1112, v0
	v_lshrrev_b32_e32 v4, 16, v4
	v_mul_u32_u24_e32 v7, 15, v7
	v_sub_u32_e32 v8, v6, v7
	v_lshlrev_b32_e32 v6, 2, v8
	v_mad_u32_u24 v7, v4, 60, v6
	v_cmp_ne_u32_e32 vcc, 0, v8
	v_add_u32_e32 v6, -4, v7
	s_waitcnt vmcnt(0)
	ds_write_b32 v7, v5
	; wave barrier
	s_and_saveexec_b64 s[0:1], vcc
	s_cbranch_execz .LBB173_2
; %bb.1:
	ds_read_b32 v9, v6
	s_waitcnt lgkmcnt(0)
	v_add_f32_e32 v5, v5, v9
.LBB173_2:
	s_or_b64 exec, exec, s[0:1]
	; wave barrier
	s_and_saveexec_b64 s[0:1], vcc
; %bb.3:
	ds_write_b32 v7, v5
; %bb.4:
	s_or_b64 exec, exec, s[0:1]
	v_cmp_lt_u32_e64 s[0:1], 1, v8
	; wave barrier
	s_and_saveexec_b64 s[6:7], s[0:1]
	s_cbranch_execz .LBB173_6
; %bb.5:
	v_add_u32_e32 v9, -8, v7
	ds_read_b32 v9, v9
	s_waitcnt lgkmcnt(0)
	v_add_f32_e32 v5, v5, v9
.LBB173_6:
	s_or_b64 exec, exec, s[6:7]
	; wave barrier
	s_and_saveexec_b64 s[6:7], s[0:1]
; %bb.7:
	ds_write_b32 v7, v5
; %bb.8:
	s_or_b64 exec, exec, s[6:7]
	v_cmp_lt_u32_e64 s[0:1], 3, v8
	; wave barrier
	s_and_saveexec_b64 s[6:7], s[0:1]
	s_cbranch_execz .LBB173_10
; %bb.9:
	v_add_u32_e32 v9, -16, v7
	ds_read_b32 v9, v9
	s_waitcnt lgkmcnt(0)
	v_add_f32_e32 v5, v5, v9
.LBB173_10:
	s_or_b64 exec, exec, s[6:7]
	; wave barrier
	s_and_saveexec_b64 s[6:7], s[0:1]
; %bb.11:
	ds_write_b32 v7, v5
; %bb.12:
	s_or_b64 exec, exec, s[6:7]
	s_load_dwordx2 s[6:7], s[4:5], 0x10
	v_cmp_lt_u32_e64 s[0:1], 7, v8
	; wave barrier
	s_and_saveexec_b64 s[8:9], s[0:1]
	s_cbranch_execz .LBB173_14
; %bb.13:
	v_subrev_u32_e32 v8, 32, v7
	ds_read_b32 v8, v8
	s_waitcnt lgkmcnt(0)
	v_add_f32_e32 v5, v5, v8
.LBB173_14:
	s_or_b64 exec, exec, s[8:9]
	v_mul_u32_u24_e32 v8, 60, v4
	; wave barrier
	s_and_saveexec_b64 s[8:9], s[0:1]
; %bb.15:
	ds_write_b32 v7, v5
; %bb.16:
	s_or_b64 exec, exec, s[8:9]
	s_load_dword s4, s[4:5], 0x18
	; wave barrier
	ds_read_b32 v5, v8 offset:56
	s_waitcnt lgkmcnt(0)
	v_mov_b32_e32 v7, s4
	s_and_saveexec_b64 s[0:1], vcc
	s_cbranch_execz .LBB173_18
; %bb.17:
	ds_read_b32 v6, v6
	s_waitcnt lgkmcnt(0)
	v_add_f32_e32 v7, s4, v6
.LBB173_18:
	s_or_b64 exec, exec, s[0:1]
	v_mov_b32_e32 v6, s3
	v_add_co_u32_e32 v2, vcc, s2, v2
	v_addc_co_u32_e32 v3, vcc, v6, v3, vcc
	global_store_dword v[2:3], v7, off
	v_mul_lo_u16_e32 v2, 15, v4
	v_sub_u16_e32 v0, v0, v2
	v_cmp_eq_u16_e32 vcc, 0, v0
	s_and_saveexec_b64 s[0:1], vcc
	s_cbranch_execz .LBB173_20
; %bb.19:
	s_mov_b32 s0, 0x88888889
	v_mul_hi_u32 v0, v1, s0
	v_lshrrev_b32_e32 v0, 1, v0
	v_and_b32_e32 v0, 0x7ffffffc, v0
	global_store_dword v0, v5, s[6:7]
.LBB173_20:
	s_endpgm
	.section	.rodata,"a",@progbits
	.p2align	6, 0x0
	.amdhsa_kernel _Z33warp_exclusive_scan_reduce_kernelIfLj60ELj15EENSt9enable_ifIXsr10test_utilsE35device_test_enabled_for_warp_size_vIXT1_EEEvE4typeEPT_S4_S4_S3_
		.amdhsa_group_segment_fixed_size 240
		.amdhsa_private_segment_fixed_size 0
		.amdhsa_kernarg_size 288
		.amdhsa_user_sgpr_count 6
		.amdhsa_user_sgpr_private_segment_buffer 1
		.amdhsa_user_sgpr_dispatch_ptr 0
		.amdhsa_user_sgpr_queue_ptr 0
		.amdhsa_user_sgpr_kernarg_segment_ptr 1
		.amdhsa_user_sgpr_dispatch_id 0
		.amdhsa_user_sgpr_flat_scratch_init 0
		.amdhsa_user_sgpr_private_segment_size 0
		.amdhsa_uses_dynamic_stack 0
		.amdhsa_system_sgpr_private_segment_wavefront_offset 0
		.amdhsa_system_sgpr_workgroup_id_x 1
		.amdhsa_system_sgpr_workgroup_id_y 0
		.amdhsa_system_sgpr_workgroup_id_z 0
		.amdhsa_system_sgpr_workgroup_info 0
		.amdhsa_system_vgpr_workitem_id 0
		.amdhsa_next_free_vgpr 10
		.amdhsa_next_free_sgpr 10
		.amdhsa_reserve_vcc 1
		.amdhsa_reserve_flat_scratch 0
		.amdhsa_float_round_mode_32 0
		.amdhsa_float_round_mode_16_64 0
		.amdhsa_float_denorm_mode_32 3
		.amdhsa_float_denorm_mode_16_64 3
		.amdhsa_dx10_clamp 1
		.amdhsa_ieee_mode 1
		.amdhsa_fp16_overflow 0
		.amdhsa_exception_fp_ieee_invalid_op 0
		.amdhsa_exception_fp_denorm_src 0
		.amdhsa_exception_fp_ieee_div_zero 0
		.amdhsa_exception_fp_ieee_overflow 0
		.amdhsa_exception_fp_ieee_underflow 0
		.amdhsa_exception_fp_ieee_inexact 0
		.amdhsa_exception_int_div_zero 0
	.end_amdhsa_kernel
	.section	.text._Z33warp_exclusive_scan_reduce_kernelIfLj60ELj15EENSt9enable_ifIXsr10test_utilsE35device_test_enabled_for_warp_size_vIXT1_EEEvE4typeEPT_S4_S4_S3_,"axG",@progbits,_Z33warp_exclusive_scan_reduce_kernelIfLj60ELj15EENSt9enable_ifIXsr10test_utilsE35device_test_enabled_for_warp_size_vIXT1_EEEvE4typeEPT_S4_S4_S3_,comdat
.Lfunc_end173:
	.size	_Z33warp_exclusive_scan_reduce_kernelIfLj60ELj15EENSt9enable_ifIXsr10test_utilsE35device_test_enabled_for_warp_size_vIXT1_EEEvE4typeEPT_S4_S4_S3_, .Lfunc_end173-_Z33warp_exclusive_scan_reduce_kernelIfLj60ELj15EENSt9enable_ifIXsr10test_utilsE35device_test_enabled_for_warp_size_vIXT1_EEEvE4typeEPT_S4_S4_S3_
                                        ; -- End function
	.set _Z33warp_exclusive_scan_reduce_kernelIfLj60ELj15EENSt9enable_ifIXsr10test_utilsE35device_test_enabled_for_warp_size_vIXT1_EEEvE4typeEPT_S4_S4_S3_.num_vgpr, 10
	.set _Z33warp_exclusive_scan_reduce_kernelIfLj60ELj15EENSt9enable_ifIXsr10test_utilsE35device_test_enabled_for_warp_size_vIXT1_EEEvE4typeEPT_S4_S4_S3_.num_agpr, 0
	.set _Z33warp_exclusive_scan_reduce_kernelIfLj60ELj15EENSt9enable_ifIXsr10test_utilsE35device_test_enabled_for_warp_size_vIXT1_EEEvE4typeEPT_S4_S4_S3_.numbered_sgpr, 10
	.set _Z33warp_exclusive_scan_reduce_kernelIfLj60ELj15EENSt9enable_ifIXsr10test_utilsE35device_test_enabled_for_warp_size_vIXT1_EEEvE4typeEPT_S4_S4_S3_.num_named_barrier, 0
	.set _Z33warp_exclusive_scan_reduce_kernelIfLj60ELj15EENSt9enable_ifIXsr10test_utilsE35device_test_enabled_for_warp_size_vIXT1_EEEvE4typeEPT_S4_S4_S3_.private_seg_size, 0
	.set _Z33warp_exclusive_scan_reduce_kernelIfLj60ELj15EENSt9enable_ifIXsr10test_utilsE35device_test_enabled_for_warp_size_vIXT1_EEEvE4typeEPT_S4_S4_S3_.uses_vcc, 1
	.set _Z33warp_exclusive_scan_reduce_kernelIfLj60ELj15EENSt9enable_ifIXsr10test_utilsE35device_test_enabled_for_warp_size_vIXT1_EEEvE4typeEPT_S4_S4_S3_.uses_flat_scratch, 0
	.set _Z33warp_exclusive_scan_reduce_kernelIfLj60ELj15EENSt9enable_ifIXsr10test_utilsE35device_test_enabled_for_warp_size_vIXT1_EEEvE4typeEPT_S4_S4_S3_.has_dyn_sized_stack, 0
	.set _Z33warp_exclusive_scan_reduce_kernelIfLj60ELj15EENSt9enable_ifIXsr10test_utilsE35device_test_enabled_for_warp_size_vIXT1_EEEvE4typeEPT_S4_S4_S3_.has_recursion, 0
	.set _Z33warp_exclusive_scan_reduce_kernelIfLj60ELj15EENSt9enable_ifIXsr10test_utilsE35device_test_enabled_for_warp_size_vIXT1_EEEvE4typeEPT_S4_S4_S3_.has_indirect_call, 0
	.section	.AMDGPU.csdata,"",@progbits
; Kernel info:
; codeLenInByte = 508
; TotalNumSgprs: 14
; NumVgprs: 10
; ScratchSize: 0
; MemoryBound: 0
; FloatMode: 240
; IeeeMode: 1
; LDSByteSize: 240 bytes/workgroup (compile time only)
; SGPRBlocks: 1
; VGPRBlocks: 2
; NumSGPRsForWavesPerEU: 14
; NumVGPRsForWavesPerEU: 10
; Occupancy: 10
; WaveLimiterHint : 0
; COMPUTE_PGM_RSRC2:SCRATCH_EN: 0
; COMPUTE_PGM_RSRC2:USER_SGPR: 6
; COMPUTE_PGM_RSRC2:TRAP_HANDLER: 0
; COMPUTE_PGM_RSRC2:TGID_X_EN: 1
; COMPUTE_PGM_RSRC2:TGID_Y_EN: 0
; COMPUTE_PGM_RSRC2:TGID_Z_EN: 0
; COMPUTE_PGM_RSRC2:TIDIG_COMP_CNT: 0
	.section	.text._Z33warp_exclusive_scan_reduce_kernelIfLj28ELj7EENSt9enable_ifIXsr10test_utilsE35device_test_enabled_for_warp_size_vIXT1_EEEvE4typeEPT_S4_S4_S3_,"axG",@progbits,_Z33warp_exclusive_scan_reduce_kernelIfLj28ELj7EENSt9enable_ifIXsr10test_utilsE35device_test_enabled_for_warp_size_vIXT1_EEEvE4typeEPT_S4_S4_S3_,comdat
	.protected	_Z33warp_exclusive_scan_reduce_kernelIfLj28ELj7EENSt9enable_ifIXsr10test_utilsE35device_test_enabled_for_warp_size_vIXT1_EEEvE4typeEPT_S4_S4_S3_ ; -- Begin function _Z33warp_exclusive_scan_reduce_kernelIfLj28ELj7EENSt9enable_ifIXsr10test_utilsE35device_test_enabled_for_warp_size_vIXT1_EEEvE4typeEPT_S4_S4_S3_
	.globl	_Z33warp_exclusive_scan_reduce_kernelIfLj28ELj7EENSt9enable_ifIXsr10test_utilsE35device_test_enabled_for_warp_size_vIXT1_EEEvE4typeEPT_S4_S4_S3_
	.p2align	8
	.type	_Z33warp_exclusive_scan_reduce_kernelIfLj28ELj7EENSt9enable_ifIXsr10test_utilsE35device_test_enabled_for_warp_size_vIXT1_EEEvE4typeEPT_S4_S4_S3_,@function
_Z33warp_exclusive_scan_reduce_kernelIfLj28ELj7EENSt9enable_ifIXsr10test_utilsE35device_test_enabled_for_warp_size_vIXT1_EEEvE4typeEPT_S4_S4_S3_: ; @_Z33warp_exclusive_scan_reduce_kernelIfLj28ELj7EENSt9enable_ifIXsr10test_utilsE35device_test_enabled_for_warp_size_vIXT1_EEEvE4typeEPT_S4_S4_S3_
; %bb.0:
	s_load_dword s7, s[4:5], 0x2c
	s_load_dwordx4 s[0:3], s[4:5], 0x0
	v_mov_b32_e32 v2, 0
	s_waitcnt lgkmcnt(0)
	s_and_b32 s7, s7, 0xffff
	s_mul_i32 s6, s6, s7
	v_add_u32_e32 v1, s6, v0
	v_lshlrev_b64 v[2:3], 2, v[1:2]
	v_mov_b32_e32 v5, s1
	v_add_co_u32_e32 v4, vcc, s0, v2
	v_addc_co_u32_e32 v5, vcc, v5, v3, vcc
	global_load_dword v5, v[4:5], off
	v_mbcnt_lo_u32_b32 v4, -1, 0
	s_mov_b32 s0, 0x24924925
	v_mbcnt_hi_u32_b32 v6, -1, v4
	v_mul_hi_u32 v7, v6, s0
	v_mul_u32_u24_e32 v4, 0x2493, v0
	v_lshrrev_b32_e32 v4, 16, v4
	v_mul_u32_u24_e32 v7, 7, v7
	v_sub_u32_e32 v8, v6, v7
	v_lshlrev_b32_e32 v6, 2, v8
	v_mad_u32_u24 v7, v4, 28, v6
	v_cmp_ne_u32_e32 vcc, 0, v8
	v_add_u32_e32 v6, -4, v7
	s_waitcnt vmcnt(0)
	ds_write_b32 v7, v5
	; wave barrier
	s_and_saveexec_b64 s[0:1], vcc
	s_cbranch_execz .LBB174_2
; %bb.1:
	ds_read_b32 v9, v6
	s_waitcnt lgkmcnt(0)
	v_add_f32_e32 v5, v5, v9
.LBB174_2:
	s_or_b64 exec, exec, s[0:1]
	; wave barrier
	s_and_saveexec_b64 s[0:1], vcc
; %bb.3:
	ds_write_b32 v7, v5
; %bb.4:
	s_or_b64 exec, exec, s[0:1]
	v_cmp_lt_u32_e64 s[0:1], 1, v8
	; wave barrier
	s_and_saveexec_b64 s[6:7], s[0:1]
	s_cbranch_execz .LBB174_6
; %bb.5:
	v_add_u32_e32 v9, -8, v7
	ds_read_b32 v9, v9
	s_waitcnt lgkmcnt(0)
	v_add_f32_e32 v5, v5, v9
.LBB174_6:
	s_or_b64 exec, exec, s[6:7]
	; wave barrier
	s_and_saveexec_b64 s[6:7], s[0:1]
; %bb.7:
	ds_write_b32 v7, v5
; %bb.8:
	s_or_b64 exec, exec, s[6:7]
	s_load_dwordx2 s[6:7], s[4:5], 0x10
	v_cmp_lt_u32_e64 s[0:1], 3, v8
	; wave barrier
	s_and_saveexec_b64 s[8:9], s[0:1]
	s_cbranch_execz .LBB174_10
; %bb.9:
	v_add_u32_e32 v8, -16, v7
	ds_read_b32 v8, v8
	s_waitcnt lgkmcnt(0)
	v_add_f32_e32 v5, v5, v8
.LBB174_10:
	s_or_b64 exec, exec, s[8:9]
	v_mul_u32_u24_e32 v8, 28, v4
	; wave barrier
	s_and_saveexec_b64 s[8:9], s[0:1]
; %bb.11:
	ds_write_b32 v7, v5
; %bb.12:
	s_or_b64 exec, exec, s[8:9]
	s_load_dword s4, s[4:5], 0x18
	; wave barrier
	ds_read_b32 v5, v8 offset:24
	s_waitcnt lgkmcnt(0)
	v_mov_b32_e32 v7, s4
	s_and_saveexec_b64 s[0:1], vcc
	s_cbranch_execz .LBB174_14
; %bb.13:
	ds_read_b32 v6, v6
	s_waitcnt lgkmcnt(0)
	v_add_f32_e32 v7, s4, v6
.LBB174_14:
	s_or_b64 exec, exec, s[0:1]
	v_mov_b32_e32 v6, s3
	v_add_co_u32_e32 v2, vcc, s2, v2
	v_addc_co_u32_e32 v3, vcc, v6, v3, vcc
	global_store_dword v[2:3], v7, off
	v_mul_lo_u16_e32 v2, 7, v4
	v_sub_u16_e32 v0, v0, v2
	v_cmp_eq_u16_e32 vcc, 0, v0
	s_and_saveexec_b64 s[0:1], vcc
	s_cbranch_execz .LBB174_16
; %bb.15:
	s_mov_b32 s0, 0x24924925
	v_mul_hi_u32 v0, v1, s0
	v_sub_u32_e32 v1, v1, v0
	v_lshrrev_b32_e32 v1, 1, v1
	v_add_u32_e32 v0, v1, v0
	v_and_b32_e32 v0, -4, v0
	global_store_dword v0, v5, s[6:7]
.LBB174_16:
	s_endpgm
	.section	.rodata,"a",@progbits
	.p2align	6, 0x0
	.amdhsa_kernel _Z33warp_exclusive_scan_reduce_kernelIfLj28ELj7EENSt9enable_ifIXsr10test_utilsE35device_test_enabled_for_warp_size_vIXT1_EEEvE4typeEPT_S4_S4_S3_
		.amdhsa_group_segment_fixed_size 112
		.amdhsa_private_segment_fixed_size 0
		.amdhsa_kernarg_size 288
		.amdhsa_user_sgpr_count 6
		.amdhsa_user_sgpr_private_segment_buffer 1
		.amdhsa_user_sgpr_dispatch_ptr 0
		.amdhsa_user_sgpr_queue_ptr 0
		.amdhsa_user_sgpr_kernarg_segment_ptr 1
		.amdhsa_user_sgpr_dispatch_id 0
		.amdhsa_user_sgpr_flat_scratch_init 0
		.amdhsa_user_sgpr_private_segment_size 0
		.amdhsa_uses_dynamic_stack 0
		.amdhsa_system_sgpr_private_segment_wavefront_offset 0
		.amdhsa_system_sgpr_workgroup_id_x 1
		.amdhsa_system_sgpr_workgroup_id_y 0
		.amdhsa_system_sgpr_workgroup_id_z 0
		.amdhsa_system_sgpr_workgroup_info 0
		.amdhsa_system_vgpr_workitem_id 0
		.amdhsa_next_free_vgpr 10
		.amdhsa_next_free_sgpr 10
		.amdhsa_reserve_vcc 1
		.amdhsa_reserve_flat_scratch 0
		.amdhsa_float_round_mode_32 0
		.amdhsa_float_round_mode_16_64 0
		.amdhsa_float_denorm_mode_32 3
		.amdhsa_float_denorm_mode_16_64 3
		.amdhsa_dx10_clamp 1
		.amdhsa_ieee_mode 1
		.amdhsa_fp16_overflow 0
		.amdhsa_exception_fp_ieee_invalid_op 0
		.amdhsa_exception_fp_denorm_src 0
		.amdhsa_exception_fp_ieee_div_zero 0
		.amdhsa_exception_fp_ieee_overflow 0
		.amdhsa_exception_fp_ieee_underflow 0
		.amdhsa_exception_fp_ieee_inexact 0
		.amdhsa_exception_int_div_zero 0
	.end_amdhsa_kernel
	.section	.text._Z33warp_exclusive_scan_reduce_kernelIfLj28ELj7EENSt9enable_ifIXsr10test_utilsE35device_test_enabled_for_warp_size_vIXT1_EEEvE4typeEPT_S4_S4_S3_,"axG",@progbits,_Z33warp_exclusive_scan_reduce_kernelIfLj28ELj7EENSt9enable_ifIXsr10test_utilsE35device_test_enabled_for_warp_size_vIXT1_EEEvE4typeEPT_S4_S4_S3_,comdat
.Lfunc_end174:
	.size	_Z33warp_exclusive_scan_reduce_kernelIfLj28ELj7EENSt9enable_ifIXsr10test_utilsE35device_test_enabled_for_warp_size_vIXT1_EEEvE4typeEPT_S4_S4_S3_, .Lfunc_end174-_Z33warp_exclusive_scan_reduce_kernelIfLj28ELj7EENSt9enable_ifIXsr10test_utilsE35device_test_enabled_for_warp_size_vIXT1_EEEvE4typeEPT_S4_S4_S3_
                                        ; -- End function
	.set _Z33warp_exclusive_scan_reduce_kernelIfLj28ELj7EENSt9enable_ifIXsr10test_utilsE35device_test_enabled_for_warp_size_vIXT1_EEEvE4typeEPT_S4_S4_S3_.num_vgpr, 10
	.set _Z33warp_exclusive_scan_reduce_kernelIfLj28ELj7EENSt9enable_ifIXsr10test_utilsE35device_test_enabled_for_warp_size_vIXT1_EEEvE4typeEPT_S4_S4_S3_.num_agpr, 0
	.set _Z33warp_exclusive_scan_reduce_kernelIfLj28ELj7EENSt9enable_ifIXsr10test_utilsE35device_test_enabled_for_warp_size_vIXT1_EEEvE4typeEPT_S4_S4_S3_.numbered_sgpr, 10
	.set _Z33warp_exclusive_scan_reduce_kernelIfLj28ELj7EENSt9enable_ifIXsr10test_utilsE35device_test_enabled_for_warp_size_vIXT1_EEEvE4typeEPT_S4_S4_S3_.num_named_barrier, 0
	.set _Z33warp_exclusive_scan_reduce_kernelIfLj28ELj7EENSt9enable_ifIXsr10test_utilsE35device_test_enabled_for_warp_size_vIXT1_EEEvE4typeEPT_S4_S4_S3_.private_seg_size, 0
	.set _Z33warp_exclusive_scan_reduce_kernelIfLj28ELj7EENSt9enable_ifIXsr10test_utilsE35device_test_enabled_for_warp_size_vIXT1_EEEvE4typeEPT_S4_S4_S3_.uses_vcc, 1
	.set _Z33warp_exclusive_scan_reduce_kernelIfLj28ELj7EENSt9enable_ifIXsr10test_utilsE35device_test_enabled_for_warp_size_vIXT1_EEEvE4typeEPT_S4_S4_S3_.uses_flat_scratch, 0
	.set _Z33warp_exclusive_scan_reduce_kernelIfLj28ELj7EENSt9enable_ifIXsr10test_utilsE35device_test_enabled_for_warp_size_vIXT1_EEEvE4typeEPT_S4_S4_S3_.has_dyn_sized_stack, 0
	.set _Z33warp_exclusive_scan_reduce_kernelIfLj28ELj7EENSt9enable_ifIXsr10test_utilsE35device_test_enabled_for_warp_size_vIXT1_EEEvE4typeEPT_S4_S4_S3_.has_recursion, 0
	.set _Z33warp_exclusive_scan_reduce_kernelIfLj28ELj7EENSt9enable_ifIXsr10test_utilsE35device_test_enabled_for_warp_size_vIXT1_EEEvE4typeEPT_S4_S4_S3_.has_indirect_call, 0
	.section	.AMDGPU.csdata,"",@progbits
; Kernel info:
; codeLenInByte = 456
; TotalNumSgprs: 14
; NumVgprs: 10
; ScratchSize: 0
; MemoryBound: 0
; FloatMode: 240
; IeeeMode: 1
; LDSByteSize: 112 bytes/workgroup (compile time only)
; SGPRBlocks: 1
; VGPRBlocks: 2
; NumSGPRsForWavesPerEU: 14
; NumVGPRsForWavesPerEU: 10
; Occupancy: 10
; WaveLimiterHint : 0
; COMPUTE_PGM_RSRC2:SCRATCH_EN: 0
; COMPUTE_PGM_RSRC2:USER_SGPR: 6
; COMPUTE_PGM_RSRC2:TRAP_HANDLER: 0
; COMPUTE_PGM_RSRC2:TGID_X_EN: 1
; COMPUTE_PGM_RSRC2:TGID_Y_EN: 0
; COMPUTE_PGM_RSRC2:TGID_Z_EN: 0
; COMPUTE_PGM_RSRC2:TIDIG_COMP_CNT: 0
	.section	.text._Z33warp_exclusive_scan_reduce_kernelIfLj63ELj7EENSt9enable_ifIXsr10test_utilsE35device_test_enabled_for_warp_size_vIXT1_EEEvE4typeEPT_S4_S4_S3_,"axG",@progbits,_Z33warp_exclusive_scan_reduce_kernelIfLj63ELj7EENSt9enable_ifIXsr10test_utilsE35device_test_enabled_for_warp_size_vIXT1_EEEvE4typeEPT_S4_S4_S3_,comdat
	.protected	_Z33warp_exclusive_scan_reduce_kernelIfLj63ELj7EENSt9enable_ifIXsr10test_utilsE35device_test_enabled_for_warp_size_vIXT1_EEEvE4typeEPT_S4_S4_S3_ ; -- Begin function _Z33warp_exclusive_scan_reduce_kernelIfLj63ELj7EENSt9enable_ifIXsr10test_utilsE35device_test_enabled_for_warp_size_vIXT1_EEEvE4typeEPT_S4_S4_S3_
	.globl	_Z33warp_exclusive_scan_reduce_kernelIfLj63ELj7EENSt9enable_ifIXsr10test_utilsE35device_test_enabled_for_warp_size_vIXT1_EEEvE4typeEPT_S4_S4_S3_
	.p2align	8
	.type	_Z33warp_exclusive_scan_reduce_kernelIfLj63ELj7EENSt9enable_ifIXsr10test_utilsE35device_test_enabled_for_warp_size_vIXT1_EEEvE4typeEPT_S4_S4_S3_,@function
_Z33warp_exclusive_scan_reduce_kernelIfLj63ELj7EENSt9enable_ifIXsr10test_utilsE35device_test_enabled_for_warp_size_vIXT1_EEEvE4typeEPT_S4_S4_S3_: ; @_Z33warp_exclusive_scan_reduce_kernelIfLj63ELj7EENSt9enable_ifIXsr10test_utilsE35device_test_enabled_for_warp_size_vIXT1_EEEvE4typeEPT_S4_S4_S3_
; %bb.0:
	s_load_dword s7, s[4:5], 0x2c
	s_load_dwordx4 s[0:3], s[4:5], 0x0
	v_mov_b32_e32 v2, 0
	s_waitcnt lgkmcnt(0)
	s_and_b32 s7, s7, 0xffff
	s_mul_i32 s6, s6, s7
	v_add_u32_e32 v1, s6, v0
	v_lshlrev_b64 v[2:3], 2, v[1:2]
	v_mov_b32_e32 v5, s1
	v_add_co_u32_e32 v4, vcc, s0, v2
	v_addc_co_u32_e32 v5, vcc, v5, v3, vcc
	global_load_dword v5, v[4:5], off
	v_mbcnt_lo_u32_b32 v4, -1, 0
	s_mov_b32 s0, 0x24924925
	v_mbcnt_hi_u32_b32 v6, -1, v4
	v_mul_hi_u32 v7, v6, s0
	v_mul_u32_u24_e32 v4, 0x2493, v0
	v_lshrrev_b32_e32 v4, 16, v4
	v_mul_u32_u24_e32 v7, 7, v7
	v_sub_u32_e32 v8, v6, v7
	v_lshlrev_b32_e32 v6, 2, v8
	v_mad_u32_u24 v7, v4, 28, v6
	v_cmp_ne_u32_e32 vcc, 0, v8
	v_add_u32_e32 v6, -4, v7
	s_waitcnt vmcnt(0)
	ds_write_b32 v7, v5
	; wave barrier
	s_and_saveexec_b64 s[0:1], vcc
	s_cbranch_execz .LBB175_2
; %bb.1:
	ds_read_b32 v9, v6
	s_waitcnt lgkmcnt(0)
	v_add_f32_e32 v5, v5, v9
.LBB175_2:
	s_or_b64 exec, exec, s[0:1]
	; wave barrier
	s_and_saveexec_b64 s[0:1], vcc
; %bb.3:
	ds_write_b32 v7, v5
; %bb.4:
	s_or_b64 exec, exec, s[0:1]
	v_cmp_lt_u32_e64 s[0:1], 1, v8
	; wave barrier
	s_and_saveexec_b64 s[6:7], s[0:1]
	s_cbranch_execz .LBB175_6
; %bb.5:
	v_add_u32_e32 v9, -8, v7
	ds_read_b32 v9, v9
	s_waitcnt lgkmcnt(0)
	v_add_f32_e32 v5, v5, v9
.LBB175_6:
	s_or_b64 exec, exec, s[6:7]
	; wave barrier
	s_and_saveexec_b64 s[6:7], s[0:1]
; %bb.7:
	ds_write_b32 v7, v5
; %bb.8:
	s_or_b64 exec, exec, s[6:7]
	s_load_dwordx2 s[6:7], s[4:5], 0x10
	v_cmp_lt_u32_e64 s[0:1], 3, v8
	; wave barrier
	s_and_saveexec_b64 s[8:9], s[0:1]
	s_cbranch_execz .LBB175_10
; %bb.9:
	v_add_u32_e32 v8, -16, v7
	ds_read_b32 v8, v8
	s_waitcnt lgkmcnt(0)
	v_add_f32_e32 v5, v5, v8
.LBB175_10:
	s_or_b64 exec, exec, s[8:9]
	v_mul_u32_u24_e32 v8, 28, v4
	; wave barrier
	s_and_saveexec_b64 s[8:9], s[0:1]
; %bb.11:
	ds_write_b32 v7, v5
; %bb.12:
	s_or_b64 exec, exec, s[8:9]
	s_load_dword s4, s[4:5], 0x18
	; wave barrier
	ds_read_b32 v5, v8 offset:24
	s_waitcnt lgkmcnt(0)
	v_mov_b32_e32 v7, s4
	s_and_saveexec_b64 s[0:1], vcc
	s_cbranch_execz .LBB175_14
; %bb.13:
	ds_read_b32 v6, v6
	s_waitcnt lgkmcnt(0)
	v_add_f32_e32 v7, s4, v6
.LBB175_14:
	s_or_b64 exec, exec, s[0:1]
	v_mov_b32_e32 v6, s3
	v_add_co_u32_e32 v2, vcc, s2, v2
	v_addc_co_u32_e32 v3, vcc, v6, v3, vcc
	global_store_dword v[2:3], v7, off
	v_mul_lo_u16_e32 v2, 7, v4
	v_sub_u16_e32 v0, v0, v2
	v_cmp_eq_u16_e32 vcc, 0, v0
	s_and_saveexec_b64 s[0:1], vcc
	s_cbranch_execz .LBB175_16
; %bb.15:
	s_mov_b32 s0, 0x24924925
	v_mul_hi_u32 v0, v1, s0
	v_sub_u32_e32 v1, v1, v0
	v_lshrrev_b32_e32 v1, 1, v1
	v_add_u32_e32 v0, v1, v0
	v_and_b32_e32 v0, -4, v0
	global_store_dword v0, v5, s[6:7]
.LBB175_16:
	s_endpgm
	.section	.rodata,"a",@progbits
	.p2align	6, 0x0
	.amdhsa_kernel _Z33warp_exclusive_scan_reduce_kernelIfLj63ELj7EENSt9enable_ifIXsr10test_utilsE35device_test_enabled_for_warp_size_vIXT1_EEEvE4typeEPT_S4_S4_S3_
		.amdhsa_group_segment_fixed_size 252
		.amdhsa_private_segment_fixed_size 0
		.amdhsa_kernarg_size 288
		.amdhsa_user_sgpr_count 6
		.amdhsa_user_sgpr_private_segment_buffer 1
		.amdhsa_user_sgpr_dispatch_ptr 0
		.amdhsa_user_sgpr_queue_ptr 0
		.amdhsa_user_sgpr_kernarg_segment_ptr 1
		.amdhsa_user_sgpr_dispatch_id 0
		.amdhsa_user_sgpr_flat_scratch_init 0
		.amdhsa_user_sgpr_private_segment_size 0
		.amdhsa_uses_dynamic_stack 0
		.amdhsa_system_sgpr_private_segment_wavefront_offset 0
		.amdhsa_system_sgpr_workgroup_id_x 1
		.amdhsa_system_sgpr_workgroup_id_y 0
		.amdhsa_system_sgpr_workgroup_id_z 0
		.amdhsa_system_sgpr_workgroup_info 0
		.amdhsa_system_vgpr_workitem_id 0
		.amdhsa_next_free_vgpr 10
		.amdhsa_next_free_sgpr 10
		.amdhsa_reserve_vcc 1
		.amdhsa_reserve_flat_scratch 0
		.amdhsa_float_round_mode_32 0
		.amdhsa_float_round_mode_16_64 0
		.amdhsa_float_denorm_mode_32 3
		.amdhsa_float_denorm_mode_16_64 3
		.amdhsa_dx10_clamp 1
		.amdhsa_ieee_mode 1
		.amdhsa_fp16_overflow 0
		.amdhsa_exception_fp_ieee_invalid_op 0
		.amdhsa_exception_fp_denorm_src 0
		.amdhsa_exception_fp_ieee_div_zero 0
		.amdhsa_exception_fp_ieee_overflow 0
		.amdhsa_exception_fp_ieee_underflow 0
		.amdhsa_exception_fp_ieee_inexact 0
		.amdhsa_exception_int_div_zero 0
	.end_amdhsa_kernel
	.section	.text._Z33warp_exclusive_scan_reduce_kernelIfLj63ELj7EENSt9enable_ifIXsr10test_utilsE35device_test_enabled_for_warp_size_vIXT1_EEEvE4typeEPT_S4_S4_S3_,"axG",@progbits,_Z33warp_exclusive_scan_reduce_kernelIfLj63ELj7EENSt9enable_ifIXsr10test_utilsE35device_test_enabled_for_warp_size_vIXT1_EEEvE4typeEPT_S4_S4_S3_,comdat
.Lfunc_end175:
	.size	_Z33warp_exclusive_scan_reduce_kernelIfLj63ELj7EENSt9enable_ifIXsr10test_utilsE35device_test_enabled_for_warp_size_vIXT1_EEEvE4typeEPT_S4_S4_S3_, .Lfunc_end175-_Z33warp_exclusive_scan_reduce_kernelIfLj63ELj7EENSt9enable_ifIXsr10test_utilsE35device_test_enabled_for_warp_size_vIXT1_EEEvE4typeEPT_S4_S4_S3_
                                        ; -- End function
	.set _Z33warp_exclusive_scan_reduce_kernelIfLj63ELj7EENSt9enable_ifIXsr10test_utilsE35device_test_enabled_for_warp_size_vIXT1_EEEvE4typeEPT_S4_S4_S3_.num_vgpr, 10
	.set _Z33warp_exclusive_scan_reduce_kernelIfLj63ELj7EENSt9enable_ifIXsr10test_utilsE35device_test_enabled_for_warp_size_vIXT1_EEEvE4typeEPT_S4_S4_S3_.num_agpr, 0
	.set _Z33warp_exclusive_scan_reduce_kernelIfLj63ELj7EENSt9enable_ifIXsr10test_utilsE35device_test_enabled_for_warp_size_vIXT1_EEEvE4typeEPT_S4_S4_S3_.numbered_sgpr, 10
	.set _Z33warp_exclusive_scan_reduce_kernelIfLj63ELj7EENSt9enable_ifIXsr10test_utilsE35device_test_enabled_for_warp_size_vIXT1_EEEvE4typeEPT_S4_S4_S3_.num_named_barrier, 0
	.set _Z33warp_exclusive_scan_reduce_kernelIfLj63ELj7EENSt9enable_ifIXsr10test_utilsE35device_test_enabled_for_warp_size_vIXT1_EEEvE4typeEPT_S4_S4_S3_.private_seg_size, 0
	.set _Z33warp_exclusive_scan_reduce_kernelIfLj63ELj7EENSt9enable_ifIXsr10test_utilsE35device_test_enabled_for_warp_size_vIXT1_EEEvE4typeEPT_S4_S4_S3_.uses_vcc, 1
	.set _Z33warp_exclusive_scan_reduce_kernelIfLj63ELj7EENSt9enable_ifIXsr10test_utilsE35device_test_enabled_for_warp_size_vIXT1_EEEvE4typeEPT_S4_S4_S3_.uses_flat_scratch, 0
	.set _Z33warp_exclusive_scan_reduce_kernelIfLj63ELj7EENSt9enable_ifIXsr10test_utilsE35device_test_enabled_for_warp_size_vIXT1_EEEvE4typeEPT_S4_S4_S3_.has_dyn_sized_stack, 0
	.set _Z33warp_exclusive_scan_reduce_kernelIfLj63ELj7EENSt9enable_ifIXsr10test_utilsE35device_test_enabled_for_warp_size_vIXT1_EEEvE4typeEPT_S4_S4_S3_.has_recursion, 0
	.set _Z33warp_exclusive_scan_reduce_kernelIfLj63ELj7EENSt9enable_ifIXsr10test_utilsE35device_test_enabled_for_warp_size_vIXT1_EEEvE4typeEPT_S4_S4_S3_.has_indirect_call, 0
	.section	.AMDGPU.csdata,"",@progbits
; Kernel info:
; codeLenInByte = 456
; TotalNumSgprs: 14
; NumVgprs: 10
; ScratchSize: 0
; MemoryBound: 0
; FloatMode: 240
; IeeeMode: 1
; LDSByteSize: 252 bytes/workgroup (compile time only)
; SGPRBlocks: 1
; VGPRBlocks: 2
; NumSGPRsForWavesPerEU: 14
; NumVGPRsForWavesPerEU: 10
; Occupancy: 10
; WaveLimiterHint : 0
; COMPUTE_PGM_RSRC2:SCRATCH_EN: 0
; COMPUTE_PGM_RSRC2:USER_SGPR: 6
; COMPUTE_PGM_RSRC2:TRAP_HANDLER: 0
; COMPUTE_PGM_RSRC2:TGID_X_EN: 1
; COMPUTE_PGM_RSRC2:TGID_Y_EN: 0
; COMPUTE_PGM_RSRC2:TGID_Z_EN: 0
; COMPUTE_PGM_RSRC2:TIDIG_COMP_CNT: 0
	.section	.text._Z33warp_exclusive_scan_reduce_kernelIfLj30ELj3EENSt9enable_ifIXsr10test_utilsE35device_test_enabled_for_warp_size_vIXT1_EEEvE4typeEPT_S4_S4_S3_,"axG",@progbits,_Z33warp_exclusive_scan_reduce_kernelIfLj30ELj3EENSt9enable_ifIXsr10test_utilsE35device_test_enabled_for_warp_size_vIXT1_EEEvE4typeEPT_S4_S4_S3_,comdat
	.protected	_Z33warp_exclusive_scan_reduce_kernelIfLj30ELj3EENSt9enable_ifIXsr10test_utilsE35device_test_enabled_for_warp_size_vIXT1_EEEvE4typeEPT_S4_S4_S3_ ; -- Begin function _Z33warp_exclusive_scan_reduce_kernelIfLj30ELj3EENSt9enable_ifIXsr10test_utilsE35device_test_enabled_for_warp_size_vIXT1_EEEvE4typeEPT_S4_S4_S3_
	.globl	_Z33warp_exclusive_scan_reduce_kernelIfLj30ELj3EENSt9enable_ifIXsr10test_utilsE35device_test_enabled_for_warp_size_vIXT1_EEEvE4typeEPT_S4_S4_S3_
	.p2align	8
	.type	_Z33warp_exclusive_scan_reduce_kernelIfLj30ELj3EENSt9enable_ifIXsr10test_utilsE35device_test_enabled_for_warp_size_vIXT1_EEEvE4typeEPT_S4_S4_S3_,@function
_Z33warp_exclusive_scan_reduce_kernelIfLj30ELj3EENSt9enable_ifIXsr10test_utilsE35device_test_enabled_for_warp_size_vIXT1_EEEvE4typeEPT_S4_S4_S3_: ; @_Z33warp_exclusive_scan_reduce_kernelIfLj30ELj3EENSt9enable_ifIXsr10test_utilsE35device_test_enabled_for_warp_size_vIXT1_EEEvE4typeEPT_S4_S4_S3_
; %bb.0:
	s_load_dword s7, s[4:5], 0x2c
	s_load_dwordx4 s[0:3], s[4:5], 0x0
	v_mov_b32_e32 v2, 0
	s_waitcnt lgkmcnt(0)
	s_and_b32 s7, s7, 0xffff
	s_mul_i32 s6, s6, s7
	v_add_u32_e32 v1, s6, v0
	v_lshlrev_b64 v[2:3], 2, v[1:2]
	v_mov_b32_e32 v5, s1
	v_add_co_u32_e32 v4, vcc, s0, v2
	v_addc_co_u32_e32 v5, vcc, v5, v3, vcc
	global_load_dword v5, v[4:5], off
	v_mbcnt_lo_u32_b32 v4, -1, 0
	s_mov_b32 s0, 0x55555556
	v_mbcnt_hi_u32_b32 v6, -1, v4
	v_mul_hi_u32 v7, v6, s0
	v_mul_u32_u24_e32 v4, 0x5556, v0
	v_lshrrev_b32_e32 v4, 16, v4
	v_mul_u32_u24_e32 v7, 3, v7
	v_sub_u32_e32 v8, v6, v7
	v_lshlrev_b32_e32 v6, 2, v8
	v_mad_u32_u24 v7, v4, 12, v6
	v_cmp_ne_u32_e32 vcc, 0, v8
	v_add_u32_e32 v6, -4, v7
	s_waitcnt vmcnt(0)
	ds_write_b32 v7, v5
	; wave barrier
	s_and_saveexec_b64 s[0:1], vcc
	s_cbranch_execz .LBB176_2
; %bb.1:
	ds_read_b32 v9, v6
	s_waitcnt lgkmcnt(0)
	v_add_f32_e32 v5, v5, v9
.LBB176_2:
	s_or_b64 exec, exec, s[0:1]
	s_load_dwordx2 s[6:7], s[4:5], 0x10
	v_mul_u32_u24_e32 v9, 12, v4
	; wave barrier
	s_and_saveexec_b64 s[0:1], vcc
; %bb.3:
	ds_write_b32 v7, v5
; %bb.4:
	s_or_b64 exec, exec, s[0:1]
	; wave barrier
	ds_read_b32 v10, v9
	v_cmp_lt_u32_e64 s[0:1], 1, v8
	; wave barrier
	s_and_saveexec_b64 s[8:9], s[0:1]
	s_cbranch_execz .LBB176_6
; %bb.5:
	s_waitcnt lgkmcnt(0)
	v_add_f32_e32 v5, v5, v10
	ds_write_b32 v7, v5
.LBB176_6:
	s_or_b64 exec, exec, s[8:9]
	s_load_dword s4, s[4:5], 0x18
	; wave barrier
	ds_read_b32 v5, v9 offset:8
	s_waitcnt lgkmcnt(0)
	v_mov_b32_e32 v7, s4
	s_and_saveexec_b64 s[0:1], vcc
	s_cbranch_execz .LBB176_8
; %bb.7:
	ds_read_b32 v6, v6
	s_waitcnt lgkmcnt(0)
	v_add_f32_e32 v7, s4, v6
.LBB176_8:
	s_or_b64 exec, exec, s[0:1]
	v_mov_b32_e32 v6, s3
	v_add_co_u32_e32 v2, vcc, s2, v2
	v_addc_co_u32_e32 v3, vcc, v6, v3, vcc
	global_store_dword v[2:3], v7, off
	v_mul_lo_u16_e32 v2, 3, v4
	v_sub_u16_e32 v0, v0, v2
	v_cmp_eq_u16_e32 vcc, 0, v0
	s_and_saveexec_b64 s[0:1], vcc
	s_cbranch_execz .LBB176_10
; %bb.9:
	s_mov_b32 s0, 0xaaaaaaab
	v_mul_hi_u32 v0, v1, s0
	v_mov_b32_e32 v1, 0
	v_mov_b32_e32 v2, s7
	v_lshrrev_b32_e32 v0, 1, v0
	v_lshlrev_b64 v[0:1], 2, v[0:1]
	v_add_co_u32_e32 v0, vcc, s6, v0
	v_addc_co_u32_e32 v1, vcc, v2, v1, vcc
	global_store_dword v[0:1], v5, off
.LBB176_10:
	s_endpgm
	.section	.rodata,"a",@progbits
	.p2align	6, 0x0
	.amdhsa_kernel _Z33warp_exclusive_scan_reduce_kernelIfLj30ELj3EENSt9enable_ifIXsr10test_utilsE35device_test_enabled_for_warp_size_vIXT1_EEEvE4typeEPT_S4_S4_S3_
		.amdhsa_group_segment_fixed_size 120
		.amdhsa_private_segment_fixed_size 0
		.amdhsa_kernarg_size 288
		.amdhsa_user_sgpr_count 6
		.amdhsa_user_sgpr_private_segment_buffer 1
		.amdhsa_user_sgpr_dispatch_ptr 0
		.amdhsa_user_sgpr_queue_ptr 0
		.amdhsa_user_sgpr_kernarg_segment_ptr 1
		.amdhsa_user_sgpr_dispatch_id 0
		.amdhsa_user_sgpr_flat_scratch_init 0
		.amdhsa_user_sgpr_private_segment_size 0
		.amdhsa_uses_dynamic_stack 0
		.amdhsa_system_sgpr_private_segment_wavefront_offset 0
		.amdhsa_system_sgpr_workgroup_id_x 1
		.amdhsa_system_sgpr_workgroup_id_y 0
		.amdhsa_system_sgpr_workgroup_id_z 0
		.amdhsa_system_sgpr_workgroup_info 0
		.amdhsa_system_vgpr_workitem_id 0
		.amdhsa_next_free_vgpr 11
		.amdhsa_next_free_sgpr 10
		.amdhsa_reserve_vcc 1
		.amdhsa_reserve_flat_scratch 0
		.amdhsa_float_round_mode_32 0
		.amdhsa_float_round_mode_16_64 0
		.amdhsa_float_denorm_mode_32 3
		.amdhsa_float_denorm_mode_16_64 3
		.amdhsa_dx10_clamp 1
		.amdhsa_ieee_mode 1
		.amdhsa_fp16_overflow 0
		.amdhsa_exception_fp_ieee_invalid_op 0
		.amdhsa_exception_fp_denorm_src 0
		.amdhsa_exception_fp_ieee_div_zero 0
		.amdhsa_exception_fp_ieee_overflow 0
		.amdhsa_exception_fp_ieee_underflow 0
		.amdhsa_exception_fp_ieee_inexact 0
		.amdhsa_exception_int_div_zero 0
	.end_amdhsa_kernel
	.section	.text._Z33warp_exclusive_scan_reduce_kernelIfLj30ELj3EENSt9enable_ifIXsr10test_utilsE35device_test_enabled_for_warp_size_vIXT1_EEEvE4typeEPT_S4_S4_S3_,"axG",@progbits,_Z33warp_exclusive_scan_reduce_kernelIfLj30ELj3EENSt9enable_ifIXsr10test_utilsE35device_test_enabled_for_warp_size_vIXT1_EEEvE4typeEPT_S4_S4_S3_,comdat
.Lfunc_end176:
	.size	_Z33warp_exclusive_scan_reduce_kernelIfLj30ELj3EENSt9enable_ifIXsr10test_utilsE35device_test_enabled_for_warp_size_vIXT1_EEEvE4typeEPT_S4_S4_S3_, .Lfunc_end176-_Z33warp_exclusive_scan_reduce_kernelIfLj30ELj3EENSt9enable_ifIXsr10test_utilsE35device_test_enabled_for_warp_size_vIXT1_EEEvE4typeEPT_S4_S4_S3_
                                        ; -- End function
	.set _Z33warp_exclusive_scan_reduce_kernelIfLj30ELj3EENSt9enable_ifIXsr10test_utilsE35device_test_enabled_for_warp_size_vIXT1_EEEvE4typeEPT_S4_S4_S3_.num_vgpr, 11
	.set _Z33warp_exclusive_scan_reduce_kernelIfLj30ELj3EENSt9enable_ifIXsr10test_utilsE35device_test_enabled_for_warp_size_vIXT1_EEEvE4typeEPT_S4_S4_S3_.num_agpr, 0
	.set _Z33warp_exclusive_scan_reduce_kernelIfLj30ELj3EENSt9enable_ifIXsr10test_utilsE35device_test_enabled_for_warp_size_vIXT1_EEEvE4typeEPT_S4_S4_S3_.numbered_sgpr, 10
	.set _Z33warp_exclusive_scan_reduce_kernelIfLj30ELj3EENSt9enable_ifIXsr10test_utilsE35device_test_enabled_for_warp_size_vIXT1_EEEvE4typeEPT_S4_S4_S3_.num_named_barrier, 0
	.set _Z33warp_exclusive_scan_reduce_kernelIfLj30ELj3EENSt9enable_ifIXsr10test_utilsE35device_test_enabled_for_warp_size_vIXT1_EEEvE4typeEPT_S4_S4_S3_.private_seg_size, 0
	.set _Z33warp_exclusive_scan_reduce_kernelIfLj30ELj3EENSt9enable_ifIXsr10test_utilsE35device_test_enabled_for_warp_size_vIXT1_EEEvE4typeEPT_S4_S4_S3_.uses_vcc, 1
	.set _Z33warp_exclusive_scan_reduce_kernelIfLj30ELj3EENSt9enable_ifIXsr10test_utilsE35device_test_enabled_for_warp_size_vIXT1_EEEvE4typeEPT_S4_S4_S3_.uses_flat_scratch, 0
	.set _Z33warp_exclusive_scan_reduce_kernelIfLj30ELj3EENSt9enable_ifIXsr10test_utilsE35device_test_enabled_for_warp_size_vIXT1_EEEvE4typeEPT_S4_S4_S3_.has_dyn_sized_stack, 0
	.set _Z33warp_exclusive_scan_reduce_kernelIfLj30ELj3EENSt9enable_ifIXsr10test_utilsE35device_test_enabled_for_warp_size_vIXT1_EEEvE4typeEPT_S4_S4_S3_.has_recursion, 0
	.set _Z33warp_exclusive_scan_reduce_kernelIfLj30ELj3EENSt9enable_ifIXsr10test_utilsE35device_test_enabled_for_warp_size_vIXT1_EEEvE4typeEPT_S4_S4_S3_.has_indirect_call, 0
	.section	.AMDGPU.csdata,"",@progbits
; Kernel info:
; codeLenInByte = 400
; TotalNumSgprs: 14
; NumVgprs: 11
; ScratchSize: 0
; MemoryBound: 0
; FloatMode: 240
; IeeeMode: 1
; LDSByteSize: 120 bytes/workgroup (compile time only)
; SGPRBlocks: 1
; VGPRBlocks: 2
; NumSGPRsForWavesPerEU: 14
; NumVGPRsForWavesPerEU: 11
; Occupancy: 10
; WaveLimiterHint : 0
; COMPUTE_PGM_RSRC2:SCRATCH_EN: 0
; COMPUTE_PGM_RSRC2:USER_SGPR: 6
; COMPUTE_PGM_RSRC2:TRAP_HANDLER: 0
; COMPUTE_PGM_RSRC2:TGID_X_EN: 1
; COMPUTE_PGM_RSRC2:TGID_Y_EN: 0
; COMPUTE_PGM_RSRC2:TGID_Z_EN: 0
; COMPUTE_PGM_RSRC2:TIDIG_COMP_CNT: 0
	.section	.text._Z33warp_exclusive_scan_reduce_kernelIfLj63ELj3EENSt9enable_ifIXsr10test_utilsE35device_test_enabled_for_warp_size_vIXT1_EEEvE4typeEPT_S4_S4_S3_,"axG",@progbits,_Z33warp_exclusive_scan_reduce_kernelIfLj63ELj3EENSt9enable_ifIXsr10test_utilsE35device_test_enabled_for_warp_size_vIXT1_EEEvE4typeEPT_S4_S4_S3_,comdat
	.protected	_Z33warp_exclusive_scan_reduce_kernelIfLj63ELj3EENSt9enable_ifIXsr10test_utilsE35device_test_enabled_for_warp_size_vIXT1_EEEvE4typeEPT_S4_S4_S3_ ; -- Begin function _Z33warp_exclusive_scan_reduce_kernelIfLj63ELj3EENSt9enable_ifIXsr10test_utilsE35device_test_enabled_for_warp_size_vIXT1_EEEvE4typeEPT_S4_S4_S3_
	.globl	_Z33warp_exclusive_scan_reduce_kernelIfLj63ELj3EENSt9enable_ifIXsr10test_utilsE35device_test_enabled_for_warp_size_vIXT1_EEEvE4typeEPT_S4_S4_S3_
	.p2align	8
	.type	_Z33warp_exclusive_scan_reduce_kernelIfLj63ELj3EENSt9enable_ifIXsr10test_utilsE35device_test_enabled_for_warp_size_vIXT1_EEEvE4typeEPT_S4_S4_S3_,@function
_Z33warp_exclusive_scan_reduce_kernelIfLj63ELj3EENSt9enable_ifIXsr10test_utilsE35device_test_enabled_for_warp_size_vIXT1_EEEvE4typeEPT_S4_S4_S3_: ; @_Z33warp_exclusive_scan_reduce_kernelIfLj63ELj3EENSt9enable_ifIXsr10test_utilsE35device_test_enabled_for_warp_size_vIXT1_EEEvE4typeEPT_S4_S4_S3_
; %bb.0:
	s_load_dword s7, s[4:5], 0x2c
	s_load_dwordx4 s[0:3], s[4:5], 0x0
	v_mov_b32_e32 v2, 0
	s_waitcnt lgkmcnt(0)
	s_and_b32 s7, s7, 0xffff
	s_mul_i32 s6, s6, s7
	v_add_u32_e32 v1, s6, v0
	v_lshlrev_b64 v[2:3], 2, v[1:2]
	v_mov_b32_e32 v5, s1
	v_add_co_u32_e32 v4, vcc, s0, v2
	v_addc_co_u32_e32 v5, vcc, v5, v3, vcc
	global_load_dword v5, v[4:5], off
	v_mbcnt_lo_u32_b32 v4, -1, 0
	s_mov_b32 s0, 0x55555556
	v_mbcnt_hi_u32_b32 v6, -1, v4
	v_mul_hi_u32 v7, v6, s0
	v_mul_u32_u24_e32 v4, 0x5556, v0
	v_lshrrev_b32_e32 v4, 16, v4
	v_mul_u32_u24_e32 v7, 3, v7
	v_sub_u32_e32 v8, v6, v7
	v_lshlrev_b32_e32 v6, 2, v8
	v_mad_u32_u24 v7, v4, 12, v6
	v_cmp_ne_u32_e32 vcc, 0, v8
	v_add_u32_e32 v6, -4, v7
	s_waitcnt vmcnt(0)
	ds_write_b32 v7, v5
	; wave barrier
	s_and_saveexec_b64 s[0:1], vcc
	s_cbranch_execz .LBB177_2
; %bb.1:
	ds_read_b32 v9, v6
	s_waitcnt lgkmcnt(0)
	v_add_f32_e32 v5, v5, v9
.LBB177_2:
	s_or_b64 exec, exec, s[0:1]
	s_load_dwordx2 s[6:7], s[4:5], 0x10
	v_mul_u32_u24_e32 v9, 12, v4
	; wave barrier
	s_and_saveexec_b64 s[0:1], vcc
; %bb.3:
	ds_write_b32 v7, v5
; %bb.4:
	s_or_b64 exec, exec, s[0:1]
	; wave barrier
	ds_read_b32 v10, v9
	v_cmp_lt_u32_e64 s[0:1], 1, v8
	; wave barrier
	s_and_saveexec_b64 s[8:9], s[0:1]
	s_cbranch_execz .LBB177_6
; %bb.5:
	s_waitcnt lgkmcnt(0)
	v_add_f32_e32 v5, v5, v10
	ds_write_b32 v7, v5
.LBB177_6:
	s_or_b64 exec, exec, s[8:9]
	s_load_dword s4, s[4:5], 0x18
	; wave barrier
	ds_read_b32 v5, v9 offset:8
	s_waitcnt lgkmcnt(0)
	v_mov_b32_e32 v7, s4
	s_and_saveexec_b64 s[0:1], vcc
	s_cbranch_execz .LBB177_8
; %bb.7:
	ds_read_b32 v6, v6
	s_waitcnt lgkmcnt(0)
	v_add_f32_e32 v7, s4, v6
.LBB177_8:
	s_or_b64 exec, exec, s[0:1]
	v_mov_b32_e32 v6, s3
	v_add_co_u32_e32 v2, vcc, s2, v2
	v_addc_co_u32_e32 v3, vcc, v6, v3, vcc
	global_store_dword v[2:3], v7, off
	v_mul_lo_u16_e32 v2, 3, v4
	v_sub_u16_e32 v0, v0, v2
	v_cmp_eq_u16_e32 vcc, 0, v0
	s_and_saveexec_b64 s[0:1], vcc
	s_cbranch_execz .LBB177_10
; %bb.9:
	s_mov_b32 s0, 0xaaaaaaab
	v_mul_hi_u32 v0, v1, s0
	v_mov_b32_e32 v1, 0
	v_mov_b32_e32 v2, s7
	v_lshrrev_b32_e32 v0, 1, v0
	v_lshlrev_b64 v[0:1], 2, v[0:1]
	v_add_co_u32_e32 v0, vcc, s6, v0
	v_addc_co_u32_e32 v1, vcc, v2, v1, vcc
	global_store_dword v[0:1], v5, off
.LBB177_10:
	s_endpgm
	.section	.rodata,"a",@progbits
	.p2align	6, 0x0
	.amdhsa_kernel _Z33warp_exclusive_scan_reduce_kernelIfLj63ELj3EENSt9enable_ifIXsr10test_utilsE35device_test_enabled_for_warp_size_vIXT1_EEEvE4typeEPT_S4_S4_S3_
		.amdhsa_group_segment_fixed_size 252
		.amdhsa_private_segment_fixed_size 0
		.amdhsa_kernarg_size 288
		.amdhsa_user_sgpr_count 6
		.amdhsa_user_sgpr_private_segment_buffer 1
		.amdhsa_user_sgpr_dispatch_ptr 0
		.amdhsa_user_sgpr_queue_ptr 0
		.amdhsa_user_sgpr_kernarg_segment_ptr 1
		.amdhsa_user_sgpr_dispatch_id 0
		.amdhsa_user_sgpr_flat_scratch_init 0
		.amdhsa_user_sgpr_private_segment_size 0
		.amdhsa_uses_dynamic_stack 0
		.amdhsa_system_sgpr_private_segment_wavefront_offset 0
		.amdhsa_system_sgpr_workgroup_id_x 1
		.amdhsa_system_sgpr_workgroup_id_y 0
		.amdhsa_system_sgpr_workgroup_id_z 0
		.amdhsa_system_sgpr_workgroup_info 0
		.amdhsa_system_vgpr_workitem_id 0
		.amdhsa_next_free_vgpr 11
		.amdhsa_next_free_sgpr 10
		.amdhsa_reserve_vcc 1
		.amdhsa_reserve_flat_scratch 0
		.amdhsa_float_round_mode_32 0
		.amdhsa_float_round_mode_16_64 0
		.amdhsa_float_denorm_mode_32 3
		.amdhsa_float_denorm_mode_16_64 3
		.amdhsa_dx10_clamp 1
		.amdhsa_ieee_mode 1
		.amdhsa_fp16_overflow 0
		.amdhsa_exception_fp_ieee_invalid_op 0
		.amdhsa_exception_fp_denorm_src 0
		.amdhsa_exception_fp_ieee_div_zero 0
		.amdhsa_exception_fp_ieee_overflow 0
		.amdhsa_exception_fp_ieee_underflow 0
		.amdhsa_exception_fp_ieee_inexact 0
		.amdhsa_exception_int_div_zero 0
	.end_amdhsa_kernel
	.section	.text._Z33warp_exclusive_scan_reduce_kernelIfLj63ELj3EENSt9enable_ifIXsr10test_utilsE35device_test_enabled_for_warp_size_vIXT1_EEEvE4typeEPT_S4_S4_S3_,"axG",@progbits,_Z33warp_exclusive_scan_reduce_kernelIfLj63ELj3EENSt9enable_ifIXsr10test_utilsE35device_test_enabled_for_warp_size_vIXT1_EEEvE4typeEPT_S4_S4_S3_,comdat
.Lfunc_end177:
	.size	_Z33warp_exclusive_scan_reduce_kernelIfLj63ELj3EENSt9enable_ifIXsr10test_utilsE35device_test_enabled_for_warp_size_vIXT1_EEEvE4typeEPT_S4_S4_S3_, .Lfunc_end177-_Z33warp_exclusive_scan_reduce_kernelIfLj63ELj3EENSt9enable_ifIXsr10test_utilsE35device_test_enabled_for_warp_size_vIXT1_EEEvE4typeEPT_S4_S4_S3_
                                        ; -- End function
	.set _Z33warp_exclusive_scan_reduce_kernelIfLj63ELj3EENSt9enable_ifIXsr10test_utilsE35device_test_enabled_for_warp_size_vIXT1_EEEvE4typeEPT_S4_S4_S3_.num_vgpr, 11
	.set _Z33warp_exclusive_scan_reduce_kernelIfLj63ELj3EENSt9enable_ifIXsr10test_utilsE35device_test_enabled_for_warp_size_vIXT1_EEEvE4typeEPT_S4_S4_S3_.num_agpr, 0
	.set _Z33warp_exclusive_scan_reduce_kernelIfLj63ELj3EENSt9enable_ifIXsr10test_utilsE35device_test_enabled_for_warp_size_vIXT1_EEEvE4typeEPT_S4_S4_S3_.numbered_sgpr, 10
	.set _Z33warp_exclusive_scan_reduce_kernelIfLj63ELj3EENSt9enable_ifIXsr10test_utilsE35device_test_enabled_for_warp_size_vIXT1_EEEvE4typeEPT_S4_S4_S3_.num_named_barrier, 0
	.set _Z33warp_exclusive_scan_reduce_kernelIfLj63ELj3EENSt9enable_ifIXsr10test_utilsE35device_test_enabled_for_warp_size_vIXT1_EEEvE4typeEPT_S4_S4_S3_.private_seg_size, 0
	.set _Z33warp_exclusive_scan_reduce_kernelIfLj63ELj3EENSt9enable_ifIXsr10test_utilsE35device_test_enabled_for_warp_size_vIXT1_EEEvE4typeEPT_S4_S4_S3_.uses_vcc, 1
	.set _Z33warp_exclusive_scan_reduce_kernelIfLj63ELj3EENSt9enable_ifIXsr10test_utilsE35device_test_enabled_for_warp_size_vIXT1_EEEvE4typeEPT_S4_S4_S3_.uses_flat_scratch, 0
	.set _Z33warp_exclusive_scan_reduce_kernelIfLj63ELj3EENSt9enable_ifIXsr10test_utilsE35device_test_enabled_for_warp_size_vIXT1_EEEvE4typeEPT_S4_S4_S3_.has_dyn_sized_stack, 0
	.set _Z33warp_exclusive_scan_reduce_kernelIfLj63ELj3EENSt9enable_ifIXsr10test_utilsE35device_test_enabled_for_warp_size_vIXT1_EEEvE4typeEPT_S4_S4_S3_.has_recursion, 0
	.set _Z33warp_exclusive_scan_reduce_kernelIfLj63ELj3EENSt9enable_ifIXsr10test_utilsE35device_test_enabled_for_warp_size_vIXT1_EEEvE4typeEPT_S4_S4_S3_.has_indirect_call, 0
	.section	.AMDGPU.csdata,"",@progbits
; Kernel info:
; codeLenInByte = 400
; TotalNumSgprs: 14
; NumVgprs: 11
; ScratchSize: 0
; MemoryBound: 0
; FloatMode: 240
; IeeeMode: 1
; LDSByteSize: 252 bytes/workgroup (compile time only)
; SGPRBlocks: 1
; VGPRBlocks: 2
; NumSGPRsForWavesPerEU: 14
; NumVGPRsForWavesPerEU: 11
; Occupancy: 10
; WaveLimiterHint : 0
; COMPUTE_PGM_RSRC2:SCRATCH_EN: 0
; COMPUTE_PGM_RSRC2:USER_SGPR: 6
; COMPUTE_PGM_RSRC2:TRAP_HANDLER: 0
; COMPUTE_PGM_RSRC2:TGID_X_EN: 1
; COMPUTE_PGM_RSRC2:TGID_Y_EN: 0
; COMPUTE_PGM_RSRC2:TGID_Z_EN: 0
; COMPUTE_PGM_RSRC2:TIDIG_COMP_CNT: 0
	.section	.text._Z33warp_exclusive_scan_reduce_kernelIiLj1ELj61EENSt9enable_ifIXsr10test_utilsE35device_test_enabled_for_warp_size_vIXT1_EEEvE4typeEPT_S4_S4_S3_,"axG",@progbits,_Z33warp_exclusive_scan_reduce_kernelIiLj1ELj61EENSt9enable_ifIXsr10test_utilsE35device_test_enabled_for_warp_size_vIXT1_EEEvE4typeEPT_S4_S4_S3_,comdat
	.protected	_Z33warp_exclusive_scan_reduce_kernelIiLj1ELj61EENSt9enable_ifIXsr10test_utilsE35device_test_enabled_for_warp_size_vIXT1_EEEvE4typeEPT_S4_S4_S3_ ; -- Begin function _Z33warp_exclusive_scan_reduce_kernelIiLj1ELj61EENSt9enable_ifIXsr10test_utilsE35device_test_enabled_for_warp_size_vIXT1_EEEvE4typeEPT_S4_S4_S3_
	.globl	_Z33warp_exclusive_scan_reduce_kernelIiLj1ELj61EENSt9enable_ifIXsr10test_utilsE35device_test_enabled_for_warp_size_vIXT1_EEEvE4typeEPT_S4_S4_S3_
	.p2align	8
	.type	_Z33warp_exclusive_scan_reduce_kernelIiLj1ELj61EENSt9enable_ifIXsr10test_utilsE35device_test_enabled_for_warp_size_vIXT1_EEEvE4typeEPT_S4_S4_S3_,@function
_Z33warp_exclusive_scan_reduce_kernelIiLj1ELj61EENSt9enable_ifIXsr10test_utilsE35device_test_enabled_for_warp_size_vIXT1_EEEvE4typeEPT_S4_S4_S3_: ; @_Z33warp_exclusive_scan_reduce_kernelIiLj1ELj61EENSt9enable_ifIXsr10test_utilsE35device_test_enabled_for_warp_size_vIXT1_EEEvE4typeEPT_S4_S4_S3_
; %bb.0:
	s_load_dword s8, s[4:5], 0x2c
	s_load_dwordx4 s[0:3], s[4:5], 0x0
	s_mov_b32 s7, 0
	v_mbcnt_lo_u32_b32 v0, -1, 0
	v_mbcnt_hi_u32_b32 v0, -1, v0
	s_waitcnt lgkmcnt(0)
	s_and_b32 s8, s8, 0xffff
	s_mul_i32 s6, s6, s8
	s_lshl_b64 s[8:9], s[6:7], 2
	s_mov_b32 s7, 0x4325c54
	v_mul_hi_u32 v1, v0, s7
	s_add_u32 s0, s0, s8
	s_addc_u32 s1, s1, s9
	s_load_dword s10, s[0:1], 0x0
	v_mul_u32_u24_e32 v1, 61, v1
	v_sub_u32_e32 v0, v0, v1
	v_lshlrev_b32_e32 v1, 2, v0
	v_cmp_eq_u32_e64 s[0:1], 0, v0
	v_readfirstlane_b32 s7, v0
	s_waitcnt lgkmcnt(0)
	v_mov_b32_e32 v2, s10
	v_cmp_ne_u32_e32 vcc, 0, v0
	s_and_b64 s[0:1], s[0:1], exec
	v_add_u32_e32 v0, -4, v1
	ds_write_b32 v1, v2
	; wave barrier
	s_cbranch_scc1 .LBB178_2
; %bb.1:
	ds_read_b32 v2, v0
	s_waitcnt lgkmcnt(0)
	v_add_u32_e32 v2, s10, v2
	s_branch .LBB178_3
.LBB178_2:
	v_mov_b32_e32 v2, s10
.LBB178_3:
	v_cndmask_b32_e64 v3, 0, 1, vcc
	v_cmp_ne_u32_e64 s[0:1], 1, v3
	s_andn2_b64 vcc, exec, vcc
	; wave barrier
	s_cbranch_vccnz .LBB178_5
; %bb.4:
	ds_write_b32 v1, v2
.LBB178_5:
	s_cmp_gt_u32 s7, 1
	s_cselect_b64 s[10:11], -1, 0
	s_cmp_lt_u32 s7, 2
	; wave barrier
	s_cbranch_scc1 .LBB178_7
; %bb.6:
	v_add_u32_e32 v3, -8, v1
	ds_read_b32 v3, v3
	s_waitcnt lgkmcnt(0)
	v_add_u32_e32 v2, v3, v2
.LBB178_7:
	s_andn2_b64 vcc, exec, s[10:11]
	; wave barrier
	s_cbranch_vccnz .LBB178_9
; %bb.8:
	ds_write_b32 v1, v2
.LBB178_9:
	s_cmp_gt_u32 s7, 3
	s_cselect_b64 s[10:11], -1, 0
	s_cmp_lt_u32 s7, 4
	; wave barrier
	s_cbranch_scc1 .LBB178_11
; %bb.10:
	v_add_u32_e32 v3, -16, v1
	ds_read_b32 v3, v3
	s_waitcnt lgkmcnt(0)
	v_add_u32_e32 v2, v3, v2
.LBB178_11:
	s_andn2_b64 vcc, exec, s[10:11]
	; wave barrier
	s_cbranch_vccnz .LBB178_13
; %bb.12:
	ds_write_b32 v1, v2
.LBB178_13:
	s_cmp_gt_u32 s7, 7
	s_cselect_b64 s[10:11], -1, 0
	s_cmp_lt_u32 s7, 8
	; wave barrier
	s_cbranch_scc1 .LBB178_15
; %bb.14:
	v_subrev_u32_e32 v3, 32, v1
	ds_read_b32 v3, v3
	s_waitcnt lgkmcnt(0)
	v_add_u32_e32 v2, v3, v2
.LBB178_15:
	s_andn2_b64 vcc, exec, s[10:11]
	; wave barrier
	s_cbranch_vccnz .LBB178_17
; %bb.16:
	ds_write_b32 v1, v2
.LBB178_17:
	s_cmp_gt_u32 s7, 15
	s_cselect_b64 s[10:11], -1, 0
	s_cmp_lt_u32 s7, 16
	; wave barrier
	s_cbranch_scc1 .LBB178_19
; %bb.18:
	v_subrev_u32_e32 v3, 64, v1
	ds_read_b32 v3, v3
	s_waitcnt lgkmcnt(0)
	v_add_u32_e32 v2, v3, v2
.LBB178_19:
	s_andn2_b64 vcc, exec, s[10:11]
	; wave barrier
	s_cbranch_vccnz .LBB178_21
; %bb.20:
	ds_write_b32 v1, v2
.LBB178_21:
	s_load_dwordx2 s[10:11], s[4:5], 0x10
	s_cmp_gt_u32 s7, 31
	s_cselect_b64 s[12:13], -1, 0
	s_cmp_lt_u32 s7, 32
	; wave barrier
	s_cbranch_scc1 .LBB178_23
; %bb.22:
	v_add_u32_e32 v3, 0xffffff80, v1
	ds_read_b32 v3, v3
	s_waitcnt lgkmcnt(0)
	v_add_u32_e32 v2, v3, v2
.LBB178_23:
	s_andn2_b64 vcc, exec, s[12:13]
	; wave barrier
	s_cbranch_vccnz .LBB178_25
; %bb.24:
	ds_write_b32 v1, v2
.LBB178_25:
	s_load_dword s4, s[4:5], 0x18
	s_and_b64 vcc, exec, s[0:1]
	v_mov_b32_e32 v1, 0
	; wave barrier
	s_cbranch_vccnz .LBB178_27
; %bb.26:
	ds_read_b32 v0, v0
	s_waitcnt lgkmcnt(0)
	v_add_u32_e32 v2, s4, v0
	s_branch .LBB178_28
.LBB178_27:
	s_waitcnt lgkmcnt(0)
	v_mov_b32_e32 v2, s4
.LBB178_28:
	ds_read_b32 v0, v1 offset:240
	s_add_u32 s0, s2, s8
	s_addc_u32 s1, s3, s9
	global_store_dword v1, v2, s[0:1]
	s_branch .LBB178_30
; %bb.29:
	s_endpgm
.LBB178_30:
	s_mul_hi_u32 s0, s6, 0x4325c53f
	s_lshr_b32 s0, s0, 2
	s_and_b32 s0, s0, 0x1ffffffc
	v_mov_b32_e32 v1, s0
	s_waitcnt lgkmcnt(0)
	global_store_dword v1, v0, s[10:11]
	s_endpgm
	.section	.rodata,"a",@progbits
	.p2align	6, 0x0
	.amdhsa_kernel _Z33warp_exclusive_scan_reduce_kernelIiLj1ELj61EENSt9enable_ifIXsr10test_utilsE35device_test_enabled_for_warp_size_vIXT1_EEEvE4typeEPT_S4_S4_S3_
		.amdhsa_group_segment_fixed_size 244
		.amdhsa_private_segment_fixed_size 0
		.amdhsa_kernarg_size 288
		.amdhsa_user_sgpr_count 6
		.amdhsa_user_sgpr_private_segment_buffer 1
		.amdhsa_user_sgpr_dispatch_ptr 0
		.amdhsa_user_sgpr_queue_ptr 0
		.amdhsa_user_sgpr_kernarg_segment_ptr 1
		.amdhsa_user_sgpr_dispatch_id 0
		.amdhsa_user_sgpr_flat_scratch_init 0
		.amdhsa_user_sgpr_private_segment_size 0
		.amdhsa_uses_dynamic_stack 0
		.amdhsa_system_sgpr_private_segment_wavefront_offset 0
		.amdhsa_system_sgpr_workgroup_id_x 1
		.amdhsa_system_sgpr_workgroup_id_y 0
		.amdhsa_system_sgpr_workgroup_id_z 0
		.amdhsa_system_sgpr_workgroup_info 0
		.amdhsa_system_vgpr_workitem_id 0
		.amdhsa_next_free_vgpr 4
		.amdhsa_next_free_sgpr 14
		.amdhsa_reserve_vcc 1
		.amdhsa_reserve_flat_scratch 0
		.amdhsa_float_round_mode_32 0
		.amdhsa_float_round_mode_16_64 0
		.amdhsa_float_denorm_mode_32 3
		.amdhsa_float_denorm_mode_16_64 3
		.amdhsa_dx10_clamp 1
		.amdhsa_ieee_mode 1
		.amdhsa_fp16_overflow 0
		.amdhsa_exception_fp_ieee_invalid_op 0
		.amdhsa_exception_fp_denorm_src 0
		.amdhsa_exception_fp_ieee_div_zero 0
		.amdhsa_exception_fp_ieee_overflow 0
		.amdhsa_exception_fp_ieee_underflow 0
		.amdhsa_exception_fp_ieee_inexact 0
		.amdhsa_exception_int_div_zero 0
	.end_amdhsa_kernel
	.section	.text._Z33warp_exclusive_scan_reduce_kernelIiLj1ELj61EENSt9enable_ifIXsr10test_utilsE35device_test_enabled_for_warp_size_vIXT1_EEEvE4typeEPT_S4_S4_S3_,"axG",@progbits,_Z33warp_exclusive_scan_reduce_kernelIiLj1ELj61EENSt9enable_ifIXsr10test_utilsE35device_test_enabled_for_warp_size_vIXT1_EEEvE4typeEPT_S4_S4_S3_,comdat
.Lfunc_end178:
	.size	_Z33warp_exclusive_scan_reduce_kernelIiLj1ELj61EENSt9enable_ifIXsr10test_utilsE35device_test_enabled_for_warp_size_vIXT1_EEEvE4typeEPT_S4_S4_S3_, .Lfunc_end178-_Z33warp_exclusive_scan_reduce_kernelIiLj1ELj61EENSt9enable_ifIXsr10test_utilsE35device_test_enabled_for_warp_size_vIXT1_EEEvE4typeEPT_S4_S4_S3_
                                        ; -- End function
	.set _Z33warp_exclusive_scan_reduce_kernelIiLj1ELj61EENSt9enable_ifIXsr10test_utilsE35device_test_enabled_for_warp_size_vIXT1_EEEvE4typeEPT_S4_S4_S3_.num_vgpr, 4
	.set _Z33warp_exclusive_scan_reduce_kernelIiLj1ELj61EENSt9enable_ifIXsr10test_utilsE35device_test_enabled_for_warp_size_vIXT1_EEEvE4typeEPT_S4_S4_S3_.num_agpr, 0
	.set _Z33warp_exclusive_scan_reduce_kernelIiLj1ELj61EENSt9enable_ifIXsr10test_utilsE35device_test_enabled_for_warp_size_vIXT1_EEEvE4typeEPT_S4_S4_S3_.numbered_sgpr, 14
	.set _Z33warp_exclusive_scan_reduce_kernelIiLj1ELj61EENSt9enable_ifIXsr10test_utilsE35device_test_enabled_for_warp_size_vIXT1_EEEvE4typeEPT_S4_S4_S3_.num_named_barrier, 0
	.set _Z33warp_exclusive_scan_reduce_kernelIiLj1ELj61EENSt9enable_ifIXsr10test_utilsE35device_test_enabled_for_warp_size_vIXT1_EEEvE4typeEPT_S4_S4_S3_.private_seg_size, 0
	.set _Z33warp_exclusive_scan_reduce_kernelIiLj1ELj61EENSt9enable_ifIXsr10test_utilsE35device_test_enabled_for_warp_size_vIXT1_EEEvE4typeEPT_S4_S4_S3_.uses_vcc, 1
	.set _Z33warp_exclusive_scan_reduce_kernelIiLj1ELj61EENSt9enable_ifIXsr10test_utilsE35device_test_enabled_for_warp_size_vIXT1_EEEvE4typeEPT_S4_S4_S3_.uses_flat_scratch, 0
	.set _Z33warp_exclusive_scan_reduce_kernelIiLj1ELj61EENSt9enable_ifIXsr10test_utilsE35device_test_enabled_for_warp_size_vIXT1_EEEvE4typeEPT_S4_S4_S3_.has_dyn_sized_stack, 0
	.set _Z33warp_exclusive_scan_reduce_kernelIiLj1ELj61EENSt9enable_ifIXsr10test_utilsE35device_test_enabled_for_warp_size_vIXT1_EEEvE4typeEPT_S4_S4_S3_.has_recursion, 0
	.set _Z33warp_exclusive_scan_reduce_kernelIiLj1ELj61EENSt9enable_ifIXsr10test_utilsE35device_test_enabled_for_warp_size_vIXT1_EEEvE4typeEPT_S4_S4_S3_.has_indirect_call, 0
	.section	.AMDGPU.csdata,"",@progbits
; Kernel info:
; codeLenInByte = 592
; TotalNumSgprs: 18
; NumVgprs: 4
; ScratchSize: 0
; MemoryBound: 0
; FloatMode: 240
; IeeeMode: 1
; LDSByteSize: 244 bytes/workgroup (compile time only)
; SGPRBlocks: 2
; VGPRBlocks: 0
; NumSGPRsForWavesPerEU: 18
; NumVGPRsForWavesPerEU: 4
; Occupancy: 10
; WaveLimiterHint : 0
; COMPUTE_PGM_RSRC2:SCRATCH_EN: 0
; COMPUTE_PGM_RSRC2:USER_SGPR: 6
; COMPUTE_PGM_RSRC2:TRAP_HANDLER: 0
; COMPUTE_PGM_RSRC2:TGID_X_EN: 1
; COMPUTE_PGM_RSRC2:TGID_Y_EN: 0
; COMPUTE_PGM_RSRC2:TGID_Z_EN: 0
; COMPUTE_PGM_RSRC2:TIDIG_COMP_CNT: 0
	.section	.text._Z33warp_exclusive_scan_reduce_kernelIiLj61ELj61EENSt9enable_ifIXsr10test_utilsE35device_test_enabled_for_warp_size_vIXT1_EEEvE4typeEPT_S4_S4_S3_,"axG",@progbits,_Z33warp_exclusive_scan_reduce_kernelIiLj61ELj61EENSt9enable_ifIXsr10test_utilsE35device_test_enabled_for_warp_size_vIXT1_EEEvE4typeEPT_S4_S4_S3_,comdat
	.protected	_Z33warp_exclusive_scan_reduce_kernelIiLj61ELj61EENSt9enable_ifIXsr10test_utilsE35device_test_enabled_for_warp_size_vIXT1_EEEvE4typeEPT_S4_S4_S3_ ; -- Begin function _Z33warp_exclusive_scan_reduce_kernelIiLj61ELj61EENSt9enable_ifIXsr10test_utilsE35device_test_enabled_for_warp_size_vIXT1_EEEvE4typeEPT_S4_S4_S3_
	.globl	_Z33warp_exclusive_scan_reduce_kernelIiLj61ELj61EENSt9enable_ifIXsr10test_utilsE35device_test_enabled_for_warp_size_vIXT1_EEEvE4typeEPT_S4_S4_S3_
	.p2align	8
	.type	_Z33warp_exclusive_scan_reduce_kernelIiLj61ELj61EENSt9enable_ifIXsr10test_utilsE35device_test_enabled_for_warp_size_vIXT1_EEEvE4typeEPT_S4_S4_S3_,@function
_Z33warp_exclusive_scan_reduce_kernelIiLj61ELj61EENSt9enable_ifIXsr10test_utilsE35device_test_enabled_for_warp_size_vIXT1_EEEvE4typeEPT_S4_S4_S3_: ; @_Z33warp_exclusive_scan_reduce_kernelIiLj61ELj61EENSt9enable_ifIXsr10test_utilsE35device_test_enabled_for_warp_size_vIXT1_EEEvE4typeEPT_S4_S4_S3_
; %bb.0:
	s_load_dword s7, s[4:5], 0x2c
	s_load_dwordx4 s[0:3], s[4:5], 0x0
	v_mov_b32_e32 v2, 0
	s_waitcnt lgkmcnt(0)
	s_and_b32 s7, s7, 0xffff
	s_mul_i32 s6, s6, s7
	v_add_u32_e32 v1, s6, v0
	v_lshlrev_b64 v[2:3], 2, v[1:2]
	v_mov_b32_e32 v5, s1
	v_add_co_u32_e32 v4, vcc, s0, v2
	v_addc_co_u32_e32 v5, vcc, v5, v3, vcc
	global_load_dword v5, v[4:5], off
	v_mbcnt_lo_u32_b32 v4, -1, 0
	s_mov_b32 s0, 0x4325c54
	v_mbcnt_hi_u32_b32 v6, -1, v4
	v_mul_hi_u32 v7, v6, s0
	v_mul_u32_u24_e32 v4, 0x433, v0
	s_movk_i32 s0, 0xf4
	v_lshrrev_b32_e32 v4, 16, v4
	v_mul_u32_u24_e32 v7, 61, v7
	v_sub_u32_e32 v8, v6, v7
	v_lshlrev_b32_e32 v6, 2, v8
	v_mad_u32_u24 v7, v4, s0, v6
	v_cmp_ne_u32_e32 vcc, 0, v8
	v_add_u32_e32 v6, -4, v7
	s_waitcnt vmcnt(0)
	ds_write_b32 v7, v5
	; wave barrier
	s_and_saveexec_b64 s[0:1], vcc
	s_cbranch_execz .LBB179_2
; %bb.1:
	ds_read_b32 v9, v6
	s_waitcnt lgkmcnt(0)
	v_add_u32_e32 v5, v9, v5
.LBB179_2:
	s_or_b64 exec, exec, s[0:1]
	; wave barrier
	s_and_saveexec_b64 s[0:1], vcc
; %bb.3:
	ds_write_b32 v7, v5
; %bb.4:
	s_or_b64 exec, exec, s[0:1]
	v_cmp_lt_u32_e64 s[0:1], 1, v8
	; wave barrier
	s_and_saveexec_b64 s[6:7], s[0:1]
	s_cbranch_execz .LBB179_6
; %bb.5:
	v_add_u32_e32 v9, -8, v7
	ds_read_b32 v9, v9
	s_waitcnt lgkmcnt(0)
	v_add_u32_e32 v5, v9, v5
.LBB179_6:
	s_or_b64 exec, exec, s[6:7]
	; wave barrier
	s_and_saveexec_b64 s[6:7], s[0:1]
; %bb.7:
	ds_write_b32 v7, v5
; %bb.8:
	s_or_b64 exec, exec, s[6:7]
	v_cmp_lt_u32_e64 s[0:1], 3, v8
	; wave barrier
	s_and_saveexec_b64 s[6:7], s[0:1]
	s_cbranch_execz .LBB179_10
; %bb.9:
	v_add_u32_e32 v9, -16, v7
	ds_read_b32 v9, v9
	s_waitcnt lgkmcnt(0)
	v_add_u32_e32 v5, v9, v5
.LBB179_10:
	s_or_b64 exec, exec, s[6:7]
	; wave barrier
	s_and_saveexec_b64 s[6:7], s[0:1]
; %bb.11:
	ds_write_b32 v7, v5
; %bb.12:
	s_or_b64 exec, exec, s[6:7]
	v_cmp_lt_u32_e64 s[0:1], 7, v8
	; wave barrier
	s_and_saveexec_b64 s[6:7], s[0:1]
	s_cbranch_execz .LBB179_14
; %bb.13:
	v_subrev_u32_e32 v9, 32, v7
	ds_read_b32 v9, v9
	s_waitcnt lgkmcnt(0)
	v_add_u32_e32 v5, v9, v5
.LBB179_14:
	s_or_b64 exec, exec, s[6:7]
	; wave barrier
	s_and_saveexec_b64 s[6:7], s[0:1]
; %bb.15:
	ds_write_b32 v7, v5
; %bb.16:
	s_or_b64 exec, exec, s[6:7]
	v_cmp_lt_u32_e64 s[0:1], 15, v8
	; wave barrier
	s_and_saveexec_b64 s[6:7], s[0:1]
	s_cbranch_execz .LBB179_18
; %bb.17:
	v_subrev_u32_e32 v9, 64, v7
	ds_read_b32 v9, v9
	s_waitcnt lgkmcnt(0)
	v_add_u32_e32 v5, v9, v5
.LBB179_18:
	s_or_b64 exec, exec, s[6:7]
	; wave barrier
	s_and_saveexec_b64 s[6:7], s[0:1]
; %bb.19:
	ds_write_b32 v7, v5
; %bb.20:
	s_or_b64 exec, exec, s[6:7]
	s_load_dwordx2 s[6:7], s[4:5], 0x10
	v_cmp_lt_u32_e64 s[0:1], 31, v8
	; wave barrier
	s_and_saveexec_b64 s[8:9], s[0:1]
	s_cbranch_execz .LBB179_22
; %bb.21:
	v_add_u32_e32 v8, 0xffffff80, v7
	ds_read_b32 v8, v8
	s_waitcnt lgkmcnt(0)
	v_add_u32_e32 v5, v8, v5
.LBB179_22:
	s_or_b64 exec, exec, s[8:9]
	v_mul_u32_u24_e32 v8, 0xf4, v4
	; wave barrier
	s_and_saveexec_b64 s[8:9], s[0:1]
; %bb.23:
	ds_write_b32 v7, v5
; %bb.24:
	s_or_b64 exec, exec, s[8:9]
	s_load_dword s4, s[4:5], 0x18
	; wave barrier
	ds_read_b32 v5, v8 offset:240
	s_waitcnt lgkmcnt(0)
	v_mov_b32_e32 v7, s4
	s_and_saveexec_b64 s[0:1], vcc
	s_cbranch_execz .LBB179_26
; %bb.25:
	ds_read_b32 v6, v6
	s_waitcnt lgkmcnt(0)
	v_add_u32_e32 v7, s4, v6
.LBB179_26:
	s_or_b64 exec, exec, s[0:1]
	v_mov_b32_e32 v6, s3
	v_add_co_u32_e32 v2, vcc, s2, v2
	v_addc_co_u32_e32 v3, vcc, v6, v3, vcc
	global_store_dword v[2:3], v7, off
	v_mul_lo_u16_e32 v2, 61, v4
	v_sub_u16_e32 v0, v0, v2
	v_cmp_eq_u16_e32 vcc, 0, v0
	s_and_saveexec_b64 s[0:1], vcc
	s_cbranch_execz .LBB179_28
; %bb.27:
	s_mov_b32 s0, 0x4325c53f
	v_mul_hi_u32 v0, v1, s0
	v_lshrrev_b32_e32 v0, 2, v0
	v_and_b32_e32 v0, 0x1ffffffc, v0
	global_store_dword v0, v5, s[6:7]
.LBB179_28:
	s_endpgm
	.section	.rodata,"a",@progbits
	.p2align	6, 0x0
	.amdhsa_kernel _Z33warp_exclusive_scan_reduce_kernelIiLj61ELj61EENSt9enable_ifIXsr10test_utilsE35device_test_enabled_for_warp_size_vIXT1_EEEvE4typeEPT_S4_S4_S3_
		.amdhsa_group_segment_fixed_size 244
		.amdhsa_private_segment_fixed_size 0
		.amdhsa_kernarg_size 288
		.amdhsa_user_sgpr_count 6
		.amdhsa_user_sgpr_private_segment_buffer 1
		.amdhsa_user_sgpr_dispatch_ptr 0
		.amdhsa_user_sgpr_queue_ptr 0
		.amdhsa_user_sgpr_kernarg_segment_ptr 1
		.amdhsa_user_sgpr_dispatch_id 0
		.amdhsa_user_sgpr_flat_scratch_init 0
		.amdhsa_user_sgpr_private_segment_size 0
		.amdhsa_uses_dynamic_stack 0
		.amdhsa_system_sgpr_private_segment_wavefront_offset 0
		.amdhsa_system_sgpr_workgroup_id_x 1
		.amdhsa_system_sgpr_workgroup_id_y 0
		.amdhsa_system_sgpr_workgroup_id_z 0
		.amdhsa_system_sgpr_workgroup_info 0
		.amdhsa_system_vgpr_workitem_id 0
		.amdhsa_next_free_vgpr 10
		.amdhsa_next_free_sgpr 10
		.amdhsa_reserve_vcc 1
		.amdhsa_reserve_flat_scratch 0
		.amdhsa_float_round_mode_32 0
		.amdhsa_float_round_mode_16_64 0
		.amdhsa_float_denorm_mode_32 3
		.amdhsa_float_denorm_mode_16_64 3
		.amdhsa_dx10_clamp 1
		.amdhsa_ieee_mode 1
		.amdhsa_fp16_overflow 0
		.amdhsa_exception_fp_ieee_invalid_op 0
		.amdhsa_exception_fp_denorm_src 0
		.amdhsa_exception_fp_ieee_div_zero 0
		.amdhsa_exception_fp_ieee_overflow 0
		.amdhsa_exception_fp_ieee_underflow 0
		.amdhsa_exception_fp_ieee_inexact 0
		.amdhsa_exception_int_div_zero 0
	.end_amdhsa_kernel
	.section	.text._Z33warp_exclusive_scan_reduce_kernelIiLj61ELj61EENSt9enable_ifIXsr10test_utilsE35device_test_enabled_for_warp_size_vIXT1_EEEvE4typeEPT_S4_S4_S3_,"axG",@progbits,_Z33warp_exclusive_scan_reduce_kernelIiLj61ELj61EENSt9enable_ifIXsr10test_utilsE35device_test_enabled_for_warp_size_vIXT1_EEEvE4typeEPT_S4_S4_S3_,comdat
.Lfunc_end179:
	.size	_Z33warp_exclusive_scan_reduce_kernelIiLj61ELj61EENSt9enable_ifIXsr10test_utilsE35device_test_enabled_for_warp_size_vIXT1_EEEvE4typeEPT_S4_S4_S3_, .Lfunc_end179-_Z33warp_exclusive_scan_reduce_kernelIiLj61ELj61EENSt9enable_ifIXsr10test_utilsE35device_test_enabled_for_warp_size_vIXT1_EEEvE4typeEPT_S4_S4_S3_
                                        ; -- End function
	.set _Z33warp_exclusive_scan_reduce_kernelIiLj61ELj61EENSt9enable_ifIXsr10test_utilsE35device_test_enabled_for_warp_size_vIXT1_EEEvE4typeEPT_S4_S4_S3_.num_vgpr, 10
	.set _Z33warp_exclusive_scan_reduce_kernelIiLj61ELj61EENSt9enable_ifIXsr10test_utilsE35device_test_enabled_for_warp_size_vIXT1_EEEvE4typeEPT_S4_S4_S3_.num_agpr, 0
	.set _Z33warp_exclusive_scan_reduce_kernelIiLj61ELj61EENSt9enable_ifIXsr10test_utilsE35device_test_enabled_for_warp_size_vIXT1_EEEvE4typeEPT_S4_S4_S3_.numbered_sgpr, 10
	.set _Z33warp_exclusive_scan_reduce_kernelIiLj61ELj61EENSt9enable_ifIXsr10test_utilsE35device_test_enabled_for_warp_size_vIXT1_EEEvE4typeEPT_S4_S4_S3_.num_named_barrier, 0
	.set _Z33warp_exclusive_scan_reduce_kernelIiLj61ELj61EENSt9enable_ifIXsr10test_utilsE35device_test_enabled_for_warp_size_vIXT1_EEEvE4typeEPT_S4_S4_S3_.private_seg_size, 0
	.set _Z33warp_exclusive_scan_reduce_kernelIiLj61ELj61EENSt9enable_ifIXsr10test_utilsE35device_test_enabled_for_warp_size_vIXT1_EEEvE4typeEPT_S4_S4_S3_.uses_vcc, 1
	.set _Z33warp_exclusive_scan_reduce_kernelIiLj61ELj61EENSt9enable_ifIXsr10test_utilsE35device_test_enabled_for_warp_size_vIXT1_EEEvE4typeEPT_S4_S4_S3_.uses_flat_scratch, 0
	.set _Z33warp_exclusive_scan_reduce_kernelIiLj61ELj61EENSt9enable_ifIXsr10test_utilsE35device_test_enabled_for_warp_size_vIXT1_EEEvE4typeEPT_S4_S4_S3_.has_dyn_sized_stack, 0
	.set _Z33warp_exclusive_scan_reduce_kernelIiLj61ELj61EENSt9enable_ifIXsr10test_utilsE35device_test_enabled_for_warp_size_vIXT1_EEEvE4typeEPT_S4_S4_S3_.has_recursion, 0
	.set _Z33warp_exclusive_scan_reduce_kernelIiLj61ELj61EENSt9enable_ifIXsr10test_utilsE35device_test_enabled_for_warp_size_vIXT1_EEEvE4typeEPT_S4_S4_S3_.has_indirect_call, 0
	.section	.AMDGPU.csdata,"",@progbits
; Kernel info:
; codeLenInByte = 632
; TotalNumSgprs: 14
; NumVgprs: 10
; ScratchSize: 0
; MemoryBound: 0
; FloatMode: 240
; IeeeMode: 1
; LDSByteSize: 244 bytes/workgroup (compile time only)
; SGPRBlocks: 1
; VGPRBlocks: 2
; NumSGPRsForWavesPerEU: 14
; NumVGPRsForWavesPerEU: 10
; Occupancy: 10
; WaveLimiterHint : 0
; COMPUTE_PGM_RSRC2:SCRATCH_EN: 0
; COMPUTE_PGM_RSRC2:USER_SGPR: 6
; COMPUTE_PGM_RSRC2:TRAP_HANDLER: 0
; COMPUTE_PGM_RSRC2:TGID_X_EN: 1
; COMPUTE_PGM_RSRC2:TGID_Y_EN: 0
; COMPUTE_PGM_RSRC2:TGID_Z_EN: 0
; COMPUTE_PGM_RSRC2:TIDIG_COMP_CNT: 0
	.section	.text._Z33warp_exclusive_scan_reduce_kernelIiLj1ELj37EENSt9enable_ifIXsr10test_utilsE35device_test_enabled_for_warp_size_vIXT1_EEEvE4typeEPT_S4_S4_S3_,"axG",@progbits,_Z33warp_exclusive_scan_reduce_kernelIiLj1ELj37EENSt9enable_ifIXsr10test_utilsE35device_test_enabled_for_warp_size_vIXT1_EEEvE4typeEPT_S4_S4_S3_,comdat
	.protected	_Z33warp_exclusive_scan_reduce_kernelIiLj1ELj37EENSt9enable_ifIXsr10test_utilsE35device_test_enabled_for_warp_size_vIXT1_EEEvE4typeEPT_S4_S4_S3_ ; -- Begin function _Z33warp_exclusive_scan_reduce_kernelIiLj1ELj37EENSt9enable_ifIXsr10test_utilsE35device_test_enabled_for_warp_size_vIXT1_EEEvE4typeEPT_S4_S4_S3_
	.globl	_Z33warp_exclusive_scan_reduce_kernelIiLj1ELj37EENSt9enable_ifIXsr10test_utilsE35device_test_enabled_for_warp_size_vIXT1_EEEvE4typeEPT_S4_S4_S3_
	.p2align	8
	.type	_Z33warp_exclusive_scan_reduce_kernelIiLj1ELj37EENSt9enable_ifIXsr10test_utilsE35device_test_enabled_for_warp_size_vIXT1_EEEvE4typeEPT_S4_S4_S3_,@function
_Z33warp_exclusive_scan_reduce_kernelIiLj1ELj37EENSt9enable_ifIXsr10test_utilsE35device_test_enabled_for_warp_size_vIXT1_EEEvE4typeEPT_S4_S4_S3_: ; @_Z33warp_exclusive_scan_reduce_kernelIiLj1ELj37EENSt9enable_ifIXsr10test_utilsE35device_test_enabled_for_warp_size_vIXT1_EEEvE4typeEPT_S4_S4_S3_
; %bb.0:
	s_load_dword s8, s[4:5], 0x2c
	s_load_dwordx4 s[0:3], s[4:5], 0x0
	s_mov_b32 s7, 0
	v_mbcnt_lo_u32_b32 v0, -1, 0
	v_mbcnt_hi_u32_b32 v0, -1, v0
	s_waitcnt lgkmcnt(0)
	s_and_b32 s8, s8, 0xffff
	s_mul_i32 s6, s6, s8
	s_lshl_b64 s[8:9], s[6:7], 2
	s_mov_b32 s7, 0x6eb3e46
	v_mul_hi_u32 v1, v0, s7
	s_add_u32 s0, s0, s8
	s_addc_u32 s1, s1, s9
	s_load_dword s10, s[0:1], 0x0
	v_mul_u32_u24_e32 v1, 37, v1
	v_sub_u32_e32 v0, v0, v1
	v_lshlrev_b32_e32 v1, 2, v0
	v_cmp_eq_u32_e64 s[0:1], 0, v0
	v_readfirstlane_b32 s7, v0
	s_waitcnt lgkmcnt(0)
	v_mov_b32_e32 v2, s10
	v_cmp_ne_u32_e32 vcc, 0, v0
	s_and_b64 s[0:1], s[0:1], exec
	v_add_u32_e32 v0, -4, v1
	ds_write_b32 v1, v2
	; wave barrier
	s_cbranch_scc1 .LBB180_2
; %bb.1:
	ds_read_b32 v2, v0
	s_waitcnt lgkmcnt(0)
	v_add_u32_e32 v2, s10, v2
	s_branch .LBB180_3
.LBB180_2:
	v_mov_b32_e32 v2, s10
.LBB180_3:
	v_cndmask_b32_e64 v3, 0, 1, vcc
	v_cmp_ne_u32_e64 s[0:1], 1, v3
	s_andn2_b64 vcc, exec, vcc
	; wave barrier
	s_cbranch_vccnz .LBB180_5
; %bb.4:
	ds_write_b32 v1, v2
.LBB180_5:
	s_cmp_gt_u32 s7, 1
	s_cselect_b64 s[10:11], -1, 0
	s_cmp_lt_u32 s7, 2
	; wave barrier
	s_cbranch_scc1 .LBB180_7
; %bb.6:
	v_add_u32_e32 v3, -8, v1
	ds_read_b32 v3, v3
	s_waitcnt lgkmcnt(0)
	v_add_u32_e32 v2, v3, v2
.LBB180_7:
	s_andn2_b64 vcc, exec, s[10:11]
	; wave barrier
	s_cbranch_vccnz .LBB180_9
; %bb.8:
	ds_write_b32 v1, v2
.LBB180_9:
	s_cmp_gt_u32 s7, 3
	s_cselect_b64 s[10:11], -1, 0
	s_cmp_lt_u32 s7, 4
	; wave barrier
	s_cbranch_scc1 .LBB180_11
; %bb.10:
	v_add_u32_e32 v3, -16, v1
	ds_read_b32 v3, v3
	s_waitcnt lgkmcnt(0)
	v_add_u32_e32 v2, v3, v2
.LBB180_11:
	s_andn2_b64 vcc, exec, s[10:11]
	; wave barrier
	s_cbranch_vccnz .LBB180_13
; %bb.12:
	ds_write_b32 v1, v2
.LBB180_13:
	s_cmp_gt_u32 s7, 7
	s_cselect_b64 s[10:11], -1, 0
	s_cmp_lt_u32 s7, 8
	; wave barrier
	s_cbranch_scc1 .LBB180_15
; %bb.14:
	v_subrev_u32_e32 v3, 32, v1
	ds_read_b32 v3, v3
	s_waitcnt lgkmcnt(0)
	v_add_u32_e32 v2, v3, v2
.LBB180_15:
	s_andn2_b64 vcc, exec, s[10:11]
	; wave barrier
	s_cbranch_vccnz .LBB180_17
; %bb.16:
	ds_write_b32 v1, v2
.LBB180_17:
	s_cmp_gt_u32 s7, 15
	s_cselect_b64 s[10:11], -1, 0
	s_cmp_lt_u32 s7, 16
	; wave barrier
	s_cbranch_scc1 .LBB180_19
; %bb.18:
	v_subrev_u32_e32 v3, 64, v1
	ds_read_b32 v3, v3
	s_waitcnt lgkmcnt(0)
	v_add_u32_e32 v2, v3, v2
.LBB180_19:
	s_andn2_b64 vcc, exec, s[10:11]
	; wave barrier
	s_cbranch_vccnz .LBB180_21
; %bb.20:
	ds_write_b32 v1, v2
.LBB180_21:
	s_load_dwordx2 s[10:11], s[4:5], 0x10
	s_cmp_gt_u32 s7, 31
	s_cselect_b64 s[12:13], -1, 0
	s_cmp_lt_u32 s7, 32
	; wave barrier
	s_cbranch_scc1 .LBB180_23
; %bb.22:
	v_add_u32_e32 v3, 0xffffff80, v1
	ds_read_b32 v3, v3
	s_waitcnt lgkmcnt(0)
	v_add_u32_e32 v2, v3, v2
.LBB180_23:
	s_andn2_b64 vcc, exec, s[12:13]
	; wave barrier
	s_cbranch_vccnz .LBB180_25
; %bb.24:
	ds_write_b32 v1, v2
.LBB180_25:
	s_load_dword s4, s[4:5], 0x18
	s_and_b64 vcc, exec, s[0:1]
	v_mov_b32_e32 v1, 0
	; wave barrier
	s_cbranch_vccnz .LBB180_27
; %bb.26:
	ds_read_b32 v0, v0
	s_waitcnt lgkmcnt(0)
	v_add_u32_e32 v2, s4, v0
	s_branch .LBB180_28
.LBB180_27:
	s_waitcnt lgkmcnt(0)
	v_mov_b32_e32 v2, s4
.LBB180_28:
	ds_read_b32 v0, v1 offset:144
	s_add_u32 s0, s2, s8
	s_addc_u32 s1, s3, s9
	global_store_dword v1, v2, s[0:1]
	s_branch .LBB180_30
; %bb.29:
	s_endpgm
.LBB180_30:
	s_mul_hi_u32 s0, s6, 0xbacf914d
	s_sub_i32 s1, s6, s0
	s_lshr_b32 s1, s1, 1
	s_add_i32 s1, s1, s0
	s_lshr_b32 s0, s1, 3
	s_and_b32 s0, s0, 0x1ffffffc
	v_mov_b32_e32 v1, s0
	s_waitcnt lgkmcnt(0)
	global_store_dword v1, v0, s[10:11]
	s_endpgm
	.section	.rodata,"a",@progbits
	.p2align	6, 0x0
	.amdhsa_kernel _Z33warp_exclusive_scan_reduce_kernelIiLj1ELj37EENSt9enable_ifIXsr10test_utilsE35device_test_enabled_for_warp_size_vIXT1_EEEvE4typeEPT_S4_S4_S3_
		.amdhsa_group_segment_fixed_size 148
		.amdhsa_private_segment_fixed_size 0
		.amdhsa_kernarg_size 288
		.amdhsa_user_sgpr_count 6
		.amdhsa_user_sgpr_private_segment_buffer 1
		.amdhsa_user_sgpr_dispatch_ptr 0
		.amdhsa_user_sgpr_queue_ptr 0
		.amdhsa_user_sgpr_kernarg_segment_ptr 1
		.amdhsa_user_sgpr_dispatch_id 0
		.amdhsa_user_sgpr_flat_scratch_init 0
		.amdhsa_user_sgpr_private_segment_size 0
		.amdhsa_uses_dynamic_stack 0
		.amdhsa_system_sgpr_private_segment_wavefront_offset 0
		.amdhsa_system_sgpr_workgroup_id_x 1
		.amdhsa_system_sgpr_workgroup_id_y 0
		.amdhsa_system_sgpr_workgroup_id_z 0
		.amdhsa_system_sgpr_workgroup_info 0
		.amdhsa_system_vgpr_workitem_id 0
		.amdhsa_next_free_vgpr 4
		.amdhsa_next_free_sgpr 14
		.amdhsa_reserve_vcc 1
		.amdhsa_reserve_flat_scratch 0
		.amdhsa_float_round_mode_32 0
		.amdhsa_float_round_mode_16_64 0
		.amdhsa_float_denorm_mode_32 3
		.amdhsa_float_denorm_mode_16_64 3
		.amdhsa_dx10_clamp 1
		.amdhsa_ieee_mode 1
		.amdhsa_fp16_overflow 0
		.amdhsa_exception_fp_ieee_invalid_op 0
		.amdhsa_exception_fp_denorm_src 0
		.amdhsa_exception_fp_ieee_div_zero 0
		.amdhsa_exception_fp_ieee_overflow 0
		.amdhsa_exception_fp_ieee_underflow 0
		.amdhsa_exception_fp_ieee_inexact 0
		.amdhsa_exception_int_div_zero 0
	.end_amdhsa_kernel
	.section	.text._Z33warp_exclusive_scan_reduce_kernelIiLj1ELj37EENSt9enable_ifIXsr10test_utilsE35device_test_enabled_for_warp_size_vIXT1_EEEvE4typeEPT_S4_S4_S3_,"axG",@progbits,_Z33warp_exclusive_scan_reduce_kernelIiLj1ELj37EENSt9enable_ifIXsr10test_utilsE35device_test_enabled_for_warp_size_vIXT1_EEEvE4typeEPT_S4_S4_S3_,comdat
.Lfunc_end180:
	.size	_Z33warp_exclusive_scan_reduce_kernelIiLj1ELj37EENSt9enable_ifIXsr10test_utilsE35device_test_enabled_for_warp_size_vIXT1_EEEvE4typeEPT_S4_S4_S3_, .Lfunc_end180-_Z33warp_exclusive_scan_reduce_kernelIiLj1ELj37EENSt9enable_ifIXsr10test_utilsE35device_test_enabled_for_warp_size_vIXT1_EEEvE4typeEPT_S4_S4_S3_
                                        ; -- End function
	.set _Z33warp_exclusive_scan_reduce_kernelIiLj1ELj37EENSt9enable_ifIXsr10test_utilsE35device_test_enabled_for_warp_size_vIXT1_EEEvE4typeEPT_S4_S4_S3_.num_vgpr, 4
	.set _Z33warp_exclusive_scan_reduce_kernelIiLj1ELj37EENSt9enable_ifIXsr10test_utilsE35device_test_enabled_for_warp_size_vIXT1_EEEvE4typeEPT_S4_S4_S3_.num_agpr, 0
	.set _Z33warp_exclusive_scan_reduce_kernelIiLj1ELj37EENSt9enable_ifIXsr10test_utilsE35device_test_enabled_for_warp_size_vIXT1_EEEvE4typeEPT_S4_S4_S3_.numbered_sgpr, 14
	.set _Z33warp_exclusive_scan_reduce_kernelIiLj1ELj37EENSt9enable_ifIXsr10test_utilsE35device_test_enabled_for_warp_size_vIXT1_EEEvE4typeEPT_S4_S4_S3_.num_named_barrier, 0
	.set _Z33warp_exclusive_scan_reduce_kernelIiLj1ELj37EENSt9enable_ifIXsr10test_utilsE35device_test_enabled_for_warp_size_vIXT1_EEEvE4typeEPT_S4_S4_S3_.private_seg_size, 0
	.set _Z33warp_exclusive_scan_reduce_kernelIiLj1ELj37EENSt9enable_ifIXsr10test_utilsE35device_test_enabled_for_warp_size_vIXT1_EEEvE4typeEPT_S4_S4_S3_.uses_vcc, 1
	.set _Z33warp_exclusive_scan_reduce_kernelIiLj1ELj37EENSt9enable_ifIXsr10test_utilsE35device_test_enabled_for_warp_size_vIXT1_EEEvE4typeEPT_S4_S4_S3_.uses_flat_scratch, 0
	.set _Z33warp_exclusive_scan_reduce_kernelIiLj1ELj37EENSt9enable_ifIXsr10test_utilsE35device_test_enabled_for_warp_size_vIXT1_EEEvE4typeEPT_S4_S4_S3_.has_dyn_sized_stack, 0
	.set _Z33warp_exclusive_scan_reduce_kernelIiLj1ELj37EENSt9enable_ifIXsr10test_utilsE35device_test_enabled_for_warp_size_vIXT1_EEEvE4typeEPT_S4_S4_S3_.has_recursion, 0
	.set _Z33warp_exclusive_scan_reduce_kernelIiLj1ELj37EENSt9enable_ifIXsr10test_utilsE35device_test_enabled_for_warp_size_vIXT1_EEEvE4typeEPT_S4_S4_S3_.has_indirect_call, 0
	.section	.AMDGPU.csdata,"",@progbits
; Kernel info:
; codeLenInByte = 604
; TotalNumSgprs: 18
; NumVgprs: 4
; ScratchSize: 0
; MemoryBound: 0
; FloatMode: 240
; IeeeMode: 1
; LDSByteSize: 148 bytes/workgroup (compile time only)
; SGPRBlocks: 2
; VGPRBlocks: 0
; NumSGPRsForWavesPerEU: 18
; NumVGPRsForWavesPerEU: 4
; Occupancy: 10
; WaveLimiterHint : 0
; COMPUTE_PGM_RSRC2:SCRATCH_EN: 0
; COMPUTE_PGM_RSRC2:USER_SGPR: 6
; COMPUTE_PGM_RSRC2:TRAP_HANDLER: 0
; COMPUTE_PGM_RSRC2:TGID_X_EN: 1
; COMPUTE_PGM_RSRC2:TGID_Y_EN: 0
; COMPUTE_PGM_RSRC2:TGID_Z_EN: 0
; COMPUTE_PGM_RSRC2:TIDIG_COMP_CNT: 0
	.section	.text._Z33warp_exclusive_scan_reduce_kernelIiLj37ELj37EENSt9enable_ifIXsr10test_utilsE35device_test_enabled_for_warp_size_vIXT1_EEEvE4typeEPT_S4_S4_S3_,"axG",@progbits,_Z33warp_exclusive_scan_reduce_kernelIiLj37ELj37EENSt9enable_ifIXsr10test_utilsE35device_test_enabled_for_warp_size_vIXT1_EEEvE4typeEPT_S4_S4_S3_,comdat
	.protected	_Z33warp_exclusive_scan_reduce_kernelIiLj37ELj37EENSt9enable_ifIXsr10test_utilsE35device_test_enabled_for_warp_size_vIXT1_EEEvE4typeEPT_S4_S4_S3_ ; -- Begin function _Z33warp_exclusive_scan_reduce_kernelIiLj37ELj37EENSt9enable_ifIXsr10test_utilsE35device_test_enabled_for_warp_size_vIXT1_EEEvE4typeEPT_S4_S4_S3_
	.globl	_Z33warp_exclusive_scan_reduce_kernelIiLj37ELj37EENSt9enable_ifIXsr10test_utilsE35device_test_enabled_for_warp_size_vIXT1_EEEvE4typeEPT_S4_S4_S3_
	.p2align	8
	.type	_Z33warp_exclusive_scan_reduce_kernelIiLj37ELj37EENSt9enable_ifIXsr10test_utilsE35device_test_enabled_for_warp_size_vIXT1_EEEvE4typeEPT_S4_S4_S3_,@function
_Z33warp_exclusive_scan_reduce_kernelIiLj37ELj37EENSt9enable_ifIXsr10test_utilsE35device_test_enabled_for_warp_size_vIXT1_EEEvE4typeEPT_S4_S4_S3_: ; @_Z33warp_exclusive_scan_reduce_kernelIiLj37ELj37EENSt9enable_ifIXsr10test_utilsE35device_test_enabled_for_warp_size_vIXT1_EEEvE4typeEPT_S4_S4_S3_
; %bb.0:
	s_load_dword s7, s[4:5], 0x2c
	s_load_dwordx4 s[0:3], s[4:5], 0x0
	v_mov_b32_e32 v2, 0
	s_waitcnt lgkmcnt(0)
	s_and_b32 s7, s7, 0xffff
	s_mul_i32 s6, s6, s7
	v_add_u32_e32 v1, s6, v0
	v_lshlrev_b64 v[2:3], 2, v[1:2]
	v_mov_b32_e32 v5, s1
	v_add_co_u32_e32 v4, vcc, s0, v2
	v_addc_co_u32_e32 v5, vcc, v5, v3, vcc
	global_load_dword v5, v[4:5], off
	v_mbcnt_lo_u32_b32 v4, -1, 0
	s_mov_b32 s0, 0x6eb3e46
	v_mbcnt_hi_u32_b32 v6, -1, v4
	v_mul_hi_u32 v7, v6, s0
	v_mul_u32_u24_e32 v4, 0x6ec, v0
	s_movk_i32 s0, 0x94
	v_lshrrev_b32_e32 v4, 16, v4
	v_mul_u32_u24_e32 v7, 37, v7
	v_sub_u32_e32 v8, v6, v7
	v_lshlrev_b32_e32 v6, 2, v8
	v_mad_u32_u24 v7, v4, s0, v6
	v_cmp_ne_u32_e32 vcc, 0, v8
	v_add_u32_e32 v6, -4, v7
	s_waitcnt vmcnt(0)
	ds_write_b32 v7, v5
	; wave barrier
	s_and_saveexec_b64 s[0:1], vcc
	s_cbranch_execz .LBB181_2
; %bb.1:
	ds_read_b32 v9, v6
	s_waitcnt lgkmcnt(0)
	v_add_u32_e32 v5, v9, v5
.LBB181_2:
	s_or_b64 exec, exec, s[0:1]
	; wave barrier
	s_and_saveexec_b64 s[0:1], vcc
; %bb.3:
	ds_write_b32 v7, v5
; %bb.4:
	s_or_b64 exec, exec, s[0:1]
	v_cmp_lt_u32_e64 s[0:1], 1, v8
	; wave barrier
	s_and_saveexec_b64 s[6:7], s[0:1]
	s_cbranch_execz .LBB181_6
; %bb.5:
	v_add_u32_e32 v9, -8, v7
	ds_read_b32 v9, v9
	s_waitcnt lgkmcnt(0)
	v_add_u32_e32 v5, v9, v5
.LBB181_6:
	s_or_b64 exec, exec, s[6:7]
	; wave barrier
	s_and_saveexec_b64 s[6:7], s[0:1]
; %bb.7:
	ds_write_b32 v7, v5
; %bb.8:
	s_or_b64 exec, exec, s[6:7]
	v_cmp_lt_u32_e64 s[0:1], 3, v8
	; wave barrier
	s_and_saveexec_b64 s[6:7], s[0:1]
	s_cbranch_execz .LBB181_10
; %bb.9:
	v_add_u32_e32 v9, -16, v7
	ds_read_b32 v9, v9
	s_waitcnt lgkmcnt(0)
	v_add_u32_e32 v5, v9, v5
.LBB181_10:
	s_or_b64 exec, exec, s[6:7]
	; wave barrier
	s_and_saveexec_b64 s[6:7], s[0:1]
; %bb.11:
	ds_write_b32 v7, v5
; %bb.12:
	s_or_b64 exec, exec, s[6:7]
	v_cmp_lt_u32_e64 s[0:1], 7, v8
	; wave barrier
	s_and_saveexec_b64 s[6:7], s[0:1]
	s_cbranch_execz .LBB181_14
; %bb.13:
	v_subrev_u32_e32 v9, 32, v7
	ds_read_b32 v9, v9
	s_waitcnt lgkmcnt(0)
	v_add_u32_e32 v5, v9, v5
.LBB181_14:
	s_or_b64 exec, exec, s[6:7]
	; wave barrier
	s_and_saveexec_b64 s[6:7], s[0:1]
; %bb.15:
	ds_write_b32 v7, v5
; %bb.16:
	s_or_b64 exec, exec, s[6:7]
	v_cmp_lt_u32_e64 s[0:1], 15, v8
	; wave barrier
	s_and_saveexec_b64 s[6:7], s[0:1]
	s_cbranch_execz .LBB181_18
; %bb.17:
	v_subrev_u32_e32 v9, 64, v7
	ds_read_b32 v9, v9
	s_waitcnt lgkmcnt(0)
	v_add_u32_e32 v5, v9, v5
.LBB181_18:
	s_or_b64 exec, exec, s[6:7]
	; wave barrier
	s_and_saveexec_b64 s[6:7], s[0:1]
; %bb.19:
	ds_write_b32 v7, v5
; %bb.20:
	s_or_b64 exec, exec, s[6:7]
	s_load_dwordx2 s[6:7], s[4:5], 0x10
	v_cmp_lt_u32_e64 s[0:1], 31, v8
	; wave barrier
	s_and_saveexec_b64 s[8:9], s[0:1]
	s_cbranch_execz .LBB181_22
; %bb.21:
	v_add_u32_e32 v8, 0xffffff80, v7
	ds_read_b32 v8, v8
	s_waitcnt lgkmcnt(0)
	v_add_u32_e32 v5, v8, v5
.LBB181_22:
	s_or_b64 exec, exec, s[8:9]
	v_mul_u32_u24_e32 v8, 0x94, v4
	; wave barrier
	s_and_saveexec_b64 s[8:9], s[0:1]
; %bb.23:
	ds_write_b32 v7, v5
; %bb.24:
	s_or_b64 exec, exec, s[8:9]
	s_load_dword s4, s[4:5], 0x18
	; wave barrier
	ds_read_b32 v5, v8 offset:144
	s_waitcnt lgkmcnt(0)
	v_mov_b32_e32 v7, s4
	s_and_saveexec_b64 s[0:1], vcc
	s_cbranch_execz .LBB181_26
; %bb.25:
	ds_read_b32 v6, v6
	s_waitcnt lgkmcnt(0)
	v_add_u32_e32 v7, s4, v6
.LBB181_26:
	s_or_b64 exec, exec, s[0:1]
	v_mov_b32_e32 v6, s3
	v_add_co_u32_e32 v2, vcc, s2, v2
	v_addc_co_u32_e32 v3, vcc, v6, v3, vcc
	global_store_dword v[2:3], v7, off
	v_mul_lo_u16_e32 v2, 37, v4
	v_sub_u16_e32 v0, v0, v2
	v_cmp_eq_u16_e32 vcc, 0, v0
	s_and_saveexec_b64 s[0:1], vcc
	s_cbranch_execz .LBB181_28
; %bb.27:
	s_mov_b32 s0, 0xbacf914d
	v_mul_hi_u32 v0, v1, s0
	v_sub_u32_e32 v1, v1, v0
	v_lshrrev_b32_e32 v1, 1, v1
	v_add_u32_e32 v0, v1, v0
	v_lshrrev_b32_e32 v0, 3, v0
	v_and_b32_e32 v0, 0x1ffffffc, v0
	global_store_dword v0, v5, s[6:7]
.LBB181_28:
	s_endpgm
	.section	.rodata,"a",@progbits
	.p2align	6, 0x0
	.amdhsa_kernel _Z33warp_exclusive_scan_reduce_kernelIiLj37ELj37EENSt9enable_ifIXsr10test_utilsE35device_test_enabled_for_warp_size_vIXT1_EEEvE4typeEPT_S4_S4_S3_
		.amdhsa_group_segment_fixed_size 148
		.amdhsa_private_segment_fixed_size 0
		.amdhsa_kernarg_size 288
		.amdhsa_user_sgpr_count 6
		.amdhsa_user_sgpr_private_segment_buffer 1
		.amdhsa_user_sgpr_dispatch_ptr 0
		.amdhsa_user_sgpr_queue_ptr 0
		.amdhsa_user_sgpr_kernarg_segment_ptr 1
		.amdhsa_user_sgpr_dispatch_id 0
		.amdhsa_user_sgpr_flat_scratch_init 0
		.amdhsa_user_sgpr_private_segment_size 0
		.amdhsa_uses_dynamic_stack 0
		.amdhsa_system_sgpr_private_segment_wavefront_offset 0
		.amdhsa_system_sgpr_workgroup_id_x 1
		.amdhsa_system_sgpr_workgroup_id_y 0
		.amdhsa_system_sgpr_workgroup_id_z 0
		.amdhsa_system_sgpr_workgroup_info 0
		.amdhsa_system_vgpr_workitem_id 0
		.amdhsa_next_free_vgpr 10
		.amdhsa_next_free_sgpr 10
		.amdhsa_reserve_vcc 1
		.amdhsa_reserve_flat_scratch 0
		.amdhsa_float_round_mode_32 0
		.amdhsa_float_round_mode_16_64 0
		.amdhsa_float_denorm_mode_32 3
		.amdhsa_float_denorm_mode_16_64 3
		.amdhsa_dx10_clamp 1
		.amdhsa_ieee_mode 1
		.amdhsa_fp16_overflow 0
		.amdhsa_exception_fp_ieee_invalid_op 0
		.amdhsa_exception_fp_denorm_src 0
		.amdhsa_exception_fp_ieee_div_zero 0
		.amdhsa_exception_fp_ieee_overflow 0
		.amdhsa_exception_fp_ieee_underflow 0
		.amdhsa_exception_fp_ieee_inexact 0
		.amdhsa_exception_int_div_zero 0
	.end_amdhsa_kernel
	.section	.text._Z33warp_exclusive_scan_reduce_kernelIiLj37ELj37EENSt9enable_ifIXsr10test_utilsE35device_test_enabled_for_warp_size_vIXT1_EEEvE4typeEPT_S4_S4_S3_,"axG",@progbits,_Z33warp_exclusive_scan_reduce_kernelIiLj37ELj37EENSt9enable_ifIXsr10test_utilsE35device_test_enabled_for_warp_size_vIXT1_EEEvE4typeEPT_S4_S4_S3_,comdat
.Lfunc_end181:
	.size	_Z33warp_exclusive_scan_reduce_kernelIiLj37ELj37EENSt9enable_ifIXsr10test_utilsE35device_test_enabled_for_warp_size_vIXT1_EEEvE4typeEPT_S4_S4_S3_, .Lfunc_end181-_Z33warp_exclusive_scan_reduce_kernelIiLj37ELj37EENSt9enable_ifIXsr10test_utilsE35device_test_enabled_for_warp_size_vIXT1_EEEvE4typeEPT_S4_S4_S3_
                                        ; -- End function
	.set _Z33warp_exclusive_scan_reduce_kernelIiLj37ELj37EENSt9enable_ifIXsr10test_utilsE35device_test_enabled_for_warp_size_vIXT1_EEEvE4typeEPT_S4_S4_S3_.num_vgpr, 10
	.set _Z33warp_exclusive_scan_reduce_kernelIiLj37ELj37EENSt9enable_ifIXsr10test_utilsE35device_test_enabled_for_warp_size_vIXT1_EEEvE4typeEPT_S4_S4_S3_.num_agpr, 0
	.set _Z33warp_exclusive_scan_reduce_kernelIiLj37ELj37EENSt9enable_ifIXsr10test_utilsE35device_test_enabled_for_warp_size_vIXT1_EEEvE4typeEPT_S4_S4_S3_.numbered_sgpr, 10
	.set _Z33warp_exclusive_scan_reduce_kernelIiLj37ELj37EENSt9enable_ifIXsr10test_utilsE35device_test_enabled_for_warp_size_vIXT1_EEEvE4typeEPT_S4_S4_S3_.num_named_barrier, 0
	.set _Z33warp_exclusive_scan_reduce_kernelIiLj37ELj37EENSt9enable_ifIXsr10test_utilsE35device_test_enabled_for_warp_size_vIXT1_EEEvE4typeEPT_S4_S4_S3_.private_seg_size, 0
	.set _Z33warp_exclusive_scan_reduce_kernelIiLj37ELj37EENSt9enable_ifIXsr10test_utilsE35device_test_enabled_for_warp_size_vIXT1_EEEvE4typeEPT_S4_S4_S3_.uses_vcc, 1
	.set _Z33warp_exclusive_scan_reduce_kernelIiLj37ELj37EENSt9enable_ifIXsr10test_utilsE35device_test_enabled_for_warp_size_vIXT1_EEEvE4typeEPT_S4_S4_S3_.uses_flat_scratch, 0
	.set _Z33warp_exclusive_scan_reduce_kernelIiLj37ELj37EENSt9enable_ifIXsr10test_utilsE35device_test_enabled_for_warp_size_vIXT1_EEEvE4typeEPT_S4_S4_S3_.has_dyn_sized_stack, 0
	.set _Z33warp_exclusive_scan_reduce_kernelIiLj37ELj37EENSt9enable_ifIXsr10test_utilsE35device_test_enabled_for_warp_size_vIXT1_EEEvE4typeEPT_S4_S4_S3_.has_recursion, 0
	.set _Z33warp_exclusive_scan_reduce_kernelIiLj37ELj37EENSt9enable_ifIXsr10test_utilsE35device_test_enabled_for_warp_size_vIXT1_EEEvE4typeEPT_S4_S4_S3_.has_indirect_call, 0
	.section	.AMDGPU.csdata,"",@progbits
; Kernel info:
; codeLenInByte = 644
; TotalNumSgprs: 14
; NumVgprs: 10
; ScratchSize: 0
; MemoryBound: 0
; FloatMode: 240
; IeeeMode: 1
; LDSByteSize: 148 bytes/workgroup (compile time only)
; SGPRBlocks: 1
; VGPRBlocks: 2
; NumSGPRsForWavesPerEU: 14
; NumVGPRsForWavesPerEU: 10
; Occupancy: 10
; WaveLimiterHint : 0
; COMPUTE_PGM_RSRC2:SCRATCH_EN: 0
; COMPUTE_PGM_RSRC2:USER_SGPR: 6
; COMPUTE_PGM_RSRC2:TRAP_HANDLER: 0
; COMPUTE_PGM_RSRC2:TGID_X_EN: 1
; COMPUTE_PGM_RSRC2:TGID_Y_EN: 0
; COMPUTE_PGM_RSRC2:TGID_Z_EN: 0
; COMPUTE_PGM_RSRC2:TIDIG_COMP_CNT: 0
	.section	.text._Z33warp_exclusive_scan_reduce_kernelIiLj30ELj15EENSt9enable_ifIXsr10test_utilsE35device_test_enabled_for_warp_size_vIXT1_EEEvE4typeEPT_S4_S4_S3_,"axG",@progbits,_Z33warp_exclusive_scan_reduce_kernelIiLj30ELj15EENSt9enable_ifIXsr10test_utilsE35device_test_enabled_for_warp_size_vIXT1_EEEvE4typeEPT_S4_S4_S3_,comdat
	.protected	_Z33warp_exclusive_scan_reduce_kernelIiLj30ELj15EENSt9enable_ifIXsr10test_utilsE35device_test_enabled_for_warp_size_vIXT1_EEEvE4typeEPT_S4_S4_S3_ ; -- Begin function _Z33warp_exclusive_scan_reduce_kernelIiLj30ELj15EENSt9enable_ifIXsr10test_utilsE35device_test_enabled_for_warp_size_vIXT1_EEEvE4typeEPT_S4_S4_S3_
	.globl	_Z33warp_exclusive_scan_reduce_kernelIiLj30ELj15EENSt9enable_ifIXsr10test_utilsE35device_test_enabled_for_warp_size_vIXT1_EEEvE4typeEPT_S4_S4_S3_
	.p2align	8
	.type	_Z33warp_exclusive_scan_reduce_kernelIiLj30ELj15EENSt9enable_ifIXsr10test_utilsE35device_test_enabled_for_warp_size_vIXT1_EEEvE4typeEPT_S4_S4_S3_,@function
_Z33warp_exclusive_scan_reduce_kernelIiLj30ELj15EENSt9enable_ifIXsr10test_utilsE35device_test_enabled_for_warp_size_vIXT1_EEEvE4typeEPT_S4_S4_S3_: ; @_Z33warp_exclusive_scan_reduce_kernelIiLj30ELj15EENSt9enable_ifIXsr10test_utilsE35device_test_enabled_for_warp_size_vIXT1_EEEvE4typeEPT_S4_S4_S3_
; %bb.0:
	s_load_dword s7, s[4:5], 0x2c
	s_load_dwordx4 s[0:3], s[4:5], 0x0
	v_mov_b32_e32 v2, 0
	s_waitcnt lgkmcnt(0)
	s_and_b32 s7, s7, 0xffff
	s_mul_i32 s6, s6, s7
	v_add_u32_e32 v1, s6, v0
	v_lshlrev_b64 v[2:3], 2, v[1:2]
	v_mov_b32_e32 v5, s1
	v_add_co_u32_e32 v4, vcc, s0, v2
	v_addc_co_u32_e32 v5, vcc, v5, v3, vcc
	global_load_dword v5, v[4:5], off
	v_mbcnt_lo_u32_b32 v4, -1, 0
	s_mov_b32 s0, 0x11111112
	v_mbcnt_hi_u32_b32 v6, -1, v4
	v_mul_hi_u32 v7, v6, s0
	v_mul_u32_u24_e32 v4, 0x1112, v0
	v_lshrrev_b32_e32 v4, 16, v4
	v_mul_u32_u24_e32 v7, 15, v7
	v_sub_u32_e32 v8, v6, v7
	v_lshlrev_b32_e32 v6, 2, v8
	v_mad_u32_u24 v7, v4, 60, v6
	v_cmp_ne_u32_e32 vcc, 0, v8
	v_add_u32_e32 v6, -4, v7
	s_waitcnt vmcnt(0)
	ds_write_b32 v7, v5
	; wave barrier
	s_and_saveexec_b64 s[0:1], vcc
	s_cbranch_execz .LBB182_2
; %bb.1:
	ds_read_b32 v9, v6
	s_waitcnt lgkmcnt(0)
	v_add_u32_e32 v5, v9, v5
.LBB182_2:
	s_or_b64 exec, exec, s[0:1]
	; wave barrier
	s_and_saveexec_b64 s[0:1], vcc
; %bb.3:
	ds_write_b32 v7, v5
; %bb.4:
	s_or_b64 exec, exec, s[0:1]
	v_cmp_lt_u32_e64 s[0:1], 1, v8
	; wave barrier
	s_and_saveexec_b64 s[6:7], s[0:1]
	s_cbranch_execz .LBB182_6
; %bb.5:
	v_add_u32_e32 v9, -8, v7
	ds_read_b32 v9, v9
	s_waitcnt lgkmcnt(0)
	v_add_u32_e32 v5, v9, v5
.LBB182_6:
	s_or_b64 exec, exec, s[6:7]
	; wave barrier
	s_and_saveexec_b64 s[6:7], s[0:1]
; %bb.7:
	ds_write_b32 v7, v5
; %bb.8:
	s_or_b64 exec, exec, s[6:7]
	v_cmp_lt_u32_e64 s[0:1], 3, v8
	; wave barrier
	s_and_saveexec_b64 s[6:7], s[0:1]
	s_cbranch_execz .LBB182_10
; %bb.9:
	v_add_u32_e32 v9, -16, v7
	ds_read_b32 v9, v9
	s_waitcnt lgkmcnt(0)
	v_add_u32_e32 v5, v9, v5
.LBB182_10:
	s_or_b64 exec, exec, s[6:7]
	; wave barrier
	s_and_saveexec_b64 s[6:7], s[0:1]
; %bb.11:
	ds_write_b32 v7, v5
; %bb.12:
	s_or_b64 exec, exec, s[6:7]
	s_load_dwordx2 s[6:7], s[4:5], 0x10
	v_cmp_lt_u32_e64 s[0:1], 7, v8
	; wave barrier
	s_and_saveexec_b64 s[8:9], s[0:1]
	s_cbranch_execz .LBB182_14
; %bb.13:
	v_subrev_u32_e32 v8, 32, v7
	ds_read_b32 v8, v8
	s_waitcnt lgkmcnt(0)
	v_add_u32_e32 v5, v8, v5
.LBB182_14:
	s_or_b64 exec, exec, s[8:9]
	v_mul_u32_u24_e32 v8, 60, v4
	; wave barrier
	s_and_saveexec_b64 s[8:9], s[0:1]
; %bb.15:
	ds_write_b32 v7, v5
; %bb.16:
	s_or_b64 exec, exec, s[8:9]
	s_load_dword s4, s[4:5], 0x18
	; wave barrier
	ds_read_b32 v5, v8 offset:56
	s_waitcnt lgkmcnt(0)
	v_mov_b32_e32 v7, s4
	s_and_saveexec_b64 s[0:1], vcc
	s_cbranch_execz .LBB182_18
; %bb.17:
	ds_read_b32 v6, v6
	s_waitcnt lgkmcnt(0)
	v_add_u32_e32 v7, s4, v6
.LBB182_18:
	s_or_b64 exec, exec, s[0:1]
	v_mov_b32_e32 v6, s3
	v_add_co_u32_e32 v2, vcc, s2, v2
	v_addc_co_u32_e32 v3, vcc, v6, v3, vcc
	global_store_dword v[2:3], v7, off
	v_mul_lo_u16_e32 v2, 15, v4
	v_sub_u16_e32 v0, v0, v2
	v_cmp_eq_u16_e32 vcc, 0, v0
	s_and_saveexec_b64 s[0:1], vcc
	s_cbranch_execz .LBB182_20
; %bb.19:
	s_mov_b32 s0, 0x88888889
	v_mul_hi_u32 v0, v1, s0
	v_lshrrev_b32_e32 v0, 1, v0
	v_and_b32_e32 v0, 0x7ffffffc, v0
	global_store_dword v0, v5, s[6:7]
.LBB182_20:
	s_endpgm
	.section	.rodata,"a",@progbits
	.p2align	6, 0x0
	.amdhsa_kernel _Z33warp_exclusive_scan_reduce_kernelIiLj30ELj15EENSt9enable_ifIXsr10test_utilsE35device_test_enabled_for_warp_size_vIXT1_EEEvE4typeEPT_S4_S4_S3_
		.amdhsa_group_segment_fixed_size 120
		.amdhsa_private_segment_fixed_size 0
		.amdhsa_kernarg_size 288
		.amdhsa_user_sgpr_count 6
		.amdhsa_user_sgpr_private_segment_buffer 1
		.amdhsa_user_sgpr_dispatch_ptr 0
		.amdhsa_user_sgpr_queue_ptr 0
		.amdhsa_user_sgpr_kernarg_segment_ptr 1
		.amdhsa_user_sgpr_dispatch_id 0
		.amdhsa_user_sgpr_flat_scratch_init 0
		.amdhsa_user_sgpr_private_segment_size 0
		.amdhsa_uses_dynamic_stack 0
		.amdhsa_system_sgpr_private_segment_wavefront_offset 0
		.amdhsa_system_sgpr_workgroup_id_x 1
		.amdhsa_system_sgpr_workgroup_id_y 0
		.amdhsa_system_sgpr_workgroup_id_z 0
		.amdhsa_system_sgpr_workgroup_info 0
		.amdhsa_system_vgpr_workitem_id 0
		.amdhsa_next_free_vgpr 10
		.amdhsa_next_free_sgpr 10
		.amdhsa_reserve_vcc 1
		.amdhsa_reserve_flat_scratch 0
		.amdhsa_float_round_mode_32 0
		.amdhsa_float_round_mode_16_64 0
		.amdhsa_float_denorm_mode_32 3
		.amdhsa_float_denorm_mode_16_64 3
		.amdhsa_dx10_clamp 1
		.amdhsa_ieee_mode 1
		.amdhsa_fp16_overflow 0
		.amdhsa_exception_fp_ieee_invalid_op 0
		.amdhsa_exception_fp_denorm_src 0
		.amdhsa_exception_fp_ieee_div_zero 0
		.amdhsa_exception_fp_ieee_overflow 0
		.amdhsa_exception_fp_ieee_underflow 0
		.amdhsa_exception_fp_ieee_inexact 0
		.amdhsa_exception_int_div_zero 0
	.end_amdhsa_kernel
	.section	.text._Z33warp_exclusive_scan_reduce_kernelIiLj30ELj15EENSt9enable_ifIXsr10test_utilsE35device_test_enabled_for_warp_size_vIXT1_EEEvE4typeEPT_S4_S4_S3_,"axG",@progbits,_Z33warp_exclusive_scan_reduce_kernelIiLj30ELj15EENSt9enable_ifIXsr10test_utilsE35device_test_enabled_for_warp_size_vIXT1_EEEvE4typeEPT_S4_S4_S3_,comdat
.Lfunc_end182:
	.size	_Z33warp_exclusive_scan_reduce_kernelIiLj30ELj15EENSt9enable_ifIXsr10test_utilsE35device_test_enabled_for_warp_size_vIXT1_EEEvE4typeEPT_S4_S4_S3_, .Lfunc_end182-_Z33warp_exclusive_scan_reduce_kernelIiLj30ELj15EENSt9enable_ifIXsr10test_utilsE35device_test_enabled_for_warp_size_vIXT1_EEEvE4typeEPT_S4_S4_S3_
                                        ; -- End function
	.set _Z33warp_exclusive_scan_reduce_kernelIiLj30ELj15EENSt9enable_ifIXsr10test_utilsE35device_test_enabled_for_warp_size_vIXT1_EEEvE4typeEPT_S4_S4_S3_.num_vgpr, 10
	.set _Z33warp_exclusive_scan_reduce_kernelIiLj30ELj15EENSt9enable_ifIXsr10test_utilsE35device_test_enabled_for_warp_size_vIXT1_EEEvE4typeEPT_S4_S4_S3_.num_agpr, 0
	.set _Z33warp_exclusive_scan_reduce_kernelIiLj30ELj15EENSt9enable_ifIXsr10test_utilsE35device_test_enabled_for_warp_size_vIXT1_EEEvE4typeEPT_S4_S4_S3_.numbered_sgpr, 10
	.set _Z33warp_exclusive_scan_reduce_kernelIiLj30ELj15EENSt9enable_ifIXsr10test_utilsE35device_test_enabled_for_warp_size_vIXT1_EEEvE4typeEPT_S4_S4_S3_.num_named_barrier, 0
	.set _Z33warp_exclusive_scan_reduce_kernelIiLj30ELj15EENSt9enable_ifIXsr10test_utilsE35device_test_enabled_for_warp_size_vIXT1_EEEvE4typeEPT_S4_S4_S3_.private_seg_size, 0
	.set _Z33warp_exclusive_scan_reduce_kernelIiLj30ELj15EENSt9enable_ifIXsr10test_utilsE35device_test_enabled_for_warp_size_vIXT1_EEEvE4typeEPT_S4_S4_S3_.uses_vcc, 1
	.set _Z33warp_exclusive_scan_reduce_kernelIiLj30ELj15EENSt9enable_ifIXsr10test_utilsE35device_test_enabled_for_warp_size_vIXT1_EEEvE4typeEPT_S4_S4_S3_.uses_flat_scratch, 0
	.set _Z33warp_exclusive_scan_reduce_kernelIiLj30ELj15EENSt9enable_ifIXsr10test_utilsE35device_test_enabled_for_warp_size_vIXT1_EEEvE4typeEPT_S4_S4_S3_.has_dyn_sized_stack, 0
	.set _Z33warp_exclusive_scan_reduce_kernelIiLj30ELj15EENSt9enable_ifIXsr10test_utilsE35device_test_enabled_for_warp_size_vIXT1_EEEvE4typeEPT_S4_S4_S3_.has_recursion, 0
	.set _Z33warp_exclusive_scan_reduce_kernelIiLj30ELj15EENSt9enable_ifIXsr10test_utilsE35device_test_enabled_for_warp_size_vIXT1_EEEvE4typeEPT_S4_S4_S3_.has_indirect_call, 0
	.section	.AMDGPU.csdata,"",@progbits
; Kernel info:
; codeLenInByte = 508
; TotalNumSgprs: 14
; NumVgprs: 10
; ScratchSize: 0
; MemoryBound: 0
; FloatMode: 240
; IeeeMode: 1
; LDSByteSize: 120 bytes/workgroup (compile time only)
; SGPRBlocks: 1
; VGPRBlocks: 2
; NumSGPRsForWavesPerEU: 14
; NumVGPRsForWavesPerEU: 10
; Occupancy: 10
; WaveLimiterHint : 0
; COMPUTE_PGM_RSRC2:SCRATCH_EN: 0
; COMPUTE_PGM_RSRC2:USER_SGPR: 6
; COMPUTE_PGM_RSRC2:TRAP_HANDLER: 0
; COMPUTE_PGM_RSRC2:TGID_X_EN: 1
; COMPUTE_PGM_RSRC2:TGID_Y_EN: 0
; COMPUTE_PGM_RSRC2:TGID_Z_EN: 0
; COMPUTE_PGM_RSRC2:TIDIG_COMP_CNT: 0
	.section	.text._Z33warp_exclusive_scan_reduce_kernelIiLj60ELj15EENSt9enable_ifIXsr10test_utilsE35device_test_enabled_for_warp_size_vIXT1_EEEvE4typeEPT_S4_S4_S3_,"axG",@progbits,_Z33warp_exclusive_scan_reduce_kernelIiLj60ELj15EENSt9enable_ifIXsr10test_utilsE35device_test_enabled_for_warp_size_vIXT1_EEEvE4typeEPT_S4_S4_S3_,comdat
	.protected	_Z33warp_exclusive_scan_reduce_kernelIiLj60ELj15EENSt9enable_ifIXsr10test_utilsE35device_test_enabled_for_warp_size_vIXT1_EEEvE4typeEPT_S4_S4_S3_ ; -- Begin function _Z33warp_exclusive_scan_reduce_kernelIiLj60ELj15EENSt9enable_ifIXsr10test_utilsE35device_test_enabled_for_warp_size_vIXT1_EEEvE4typeEPT_S4_S4_S3_
	.globl	_Z33warp_exclusive_scan_reduce_kernelIiLj60ELj15EENSt9enable_ifIXsr10test_utilsE35device_test_enabled_for_warp_size_vIXT1_EEEvE4typeEPT_S4_S4_S3_
	.p2align	8
	.type	_Z33warp_exclusive_scan_reduce_kernelIiLj60ELj15EENSt9enable_ifIXsr10test_utilsE35device_test_enabled_for_warp_size_vIXT1_EEEvE4typeEPT_S4_S4_S3_,@function
_Z33warp_exclusive_scan_reduce_kernelIiLj60ELj15EENSt9enable_ifIXsr10test_utilsE35device_test_enabled_for_warp_size_vIXT1_EEEvE4typeEPT_S4_S4_S3_: ; @_Z33warp_exclusive_scan_reduce_kernelIiLj60ELj15EENSt9enable_ifIXsr10test_utilsE35device_test_enabled_for_warp_size_vIXT1_EEEvE4typeEPT_S4_S4_S3_
; %bb.0:
	s_load_dword s7, s[4:5], 0x2c
	s_load_dwordx4 s[0:3], s[4:5], 0x0
	v_mov_b32_e32 v2, 0
	s_waitcnt lgkmcnt(0)
	s_and_b32 s7, s7, 0xffff
	s_mul_i32 s6, s6, s7
	v_add_u32_e32 v1, s6, v0
	v_lshlrev_b64 v[2:3], 2, v[1:2]
	v_mov_b32_e32 v5, s1
	v_add_co_u32_e32 v4, vcc, s0, v2
	v_addc_co_u32_e32 v5, vcc, v5, v3, vcc
	global_load_dword v5, v[4:5], off
	v_mbcnt_lo_u32_b32 v4, -1, 0
	s_mov_b32 s0, 0x11111112
	v_mbcnt_hi_u32_b32 v6, -1, v4
	v_mul_hi_u32 v7, v6, s0
	v_mul_u32_u24_e32 v4, 0x1112, v0
	v_lshrrev_b32_e32 v4, 16, v4
	v_mul_u32_u24_e32 v7, 15, v7
	v_sub_u32_e32 v8, v6, v7
	v_lshlrev_b32_e32 v6, 2, v8
	v_mad_u32_u24 v7, v4, 60, v6
	v_cmp_ne_u32_e32 vcc, 0, v8
	v_add_u32_e32 v6, -4, v7
	s_waitcnt vmcnt(0)
	ds_write_b32 v7, v5
	; wave barrier
	s_and_saveexec_b64 s[0:1], vcc
	s_cbranch_execz .LBB183_2
; %bb.1:
	ds_read_b32 v9, v6
	s_waitcnt lgkmcnt(0)
	v_add_u32_e32 v5, v9, v5
.LBB183_2:
	s_or_b64 exec, exec, s[0:1]
	; wave barrier
	s_and_saveexec_b64 s[0:1], vcc
; %bb.3:
	ds_write_b32 v7, v5
; %bb.4:
	s_or_b64 exec, exec, s[0:1]
	v_cmp_lt_u32_e64 s[0:1], 1, v8
	; wave barrier
	s_and_saveexec_b64 s[6:7], s[0:1]
	s_cbranch_execz .LBB183_6
; %bb.5:
	v_add_u32_e32 v9, -8, v7
	ds_read_b32 v9, v9
	s_waitcnt lgkmcnt(0)
	v_add_u32_e32 v5, v9, v5
.LBB183_6:
	s_or_b64 exec, exec, s[6:7]
	; wave barrier
	s_and_saveexec_b64 s[6:7], s[0:1]
; %bb.7:
	ds_write_b32 v7, v5
; %bb.8:
	s_or_b64 exec, exec, s[6:7]
	v_cmp_lt_u32_e64 s[0:1], 3, v8
	; wave barrier
	s_and_saveexec_b64 s[6:7], s[0:1]
	s_cbranch_execz .LBB183_10
; %bb.9:
	v_add_u32_e32 v9, -16, v7
	ds_read_b32 v9, v9
	s_waitcnt lgkmcnt(0)
	v_add_u32_e32 v5, v9, v5
.LBB183_10:
	s_or_b64 exec, exec, s[6:7]
	; wave barrier
	s_and_saveexec_b64 s[6:7], s[0:1]
; %bb.11:
	ds_write_b32 v7, v5
; %bb.12:
	s_or_b64 exec, exec, s[6:7]
	s_load_dwordx2 s[6:7], s[4:5], 0x10
	v_cmp_lt_u32_e64 s[0:1], 7, v8
	; wave barrier
	s_and_saveexec_b64 s[8:9], s[0:1]
	s_cbranch_execz .LBB183_14
; %bb.13:
	v_subrev_u32_e32 v8, 32, v7
	ds_read_b32 v8, v8
	s_waitcnt lgkmcnt(0)
	v_add_u32_e32 v5, v8, v5
.LBB183_14:
	s_or_b64 exec, exec, s[8:9]
	v_mul_u32_u24_e32 v8, 60, v4
	; wave barrier
	s_and_saveexec_b64 s[8:9], s[0:1]
; %bb.15:
	ds_write_b32 v7, v5
; %bb.16:
	s_or_b64 exec, exec, s[8:9]
	s_load_dword s4, s[4:5], 0x18
	; wave barrier
	ds_read_b32 v5, v8 offset:56
	s_waitcnt lgkmcnt(0)
	v_mov_b32_e32 v7, s4
	s_and_saveexec_b64 s[0:1], vcc
	s_cbranch_execz .LBB183_18
; %bb.17:
	ds_read_b32 v6, v6
	s_waitcnt lgkmcnt(0)
	v_add_u32_e32 v7, s4, v6
.LBB183_18:
	s_or_b64 exec, exec, s[0:1]
	v_mov_b32_e32 v6, s3
	v_add_co_u32_e32 v2, vcc, s2, v2
	v_addc_co_u32_e32 v3, vcc, v6, v3, vcc
	global_store_dword v[2:3], v7, off
	v_mul_lo_u16_e32 v2, 15, v4
	v_sub_u16_e32 v0, v0, v2
	v_cmp_eq_u16_e32 vcc, 0, v0
	s_and_saveexec_b64 s[0:1], vcc
	s_cbranch_execz .LBB183_20
; %bb.19:
	s_mov_b32 s0, 0x88888889
	v_mul_hi_u32 v0, v1, s0
	v_lshrrev_b32_e32 v0, 1, v0
	v_and_b32_e32 v0, 0x7ffffffc, v0
	global_store_dword v0, v5, s[6:7]
.LBB183_20:
	s_endpgm
	.section	.rodata,"a",@progbits
	.p2align	6, 0x0
	.amdhsa_kernel _Z33warp_exclusive_scan_reduce_kernelIiLj60ELj15EENSt9enable_ifIXsr10test_utilsE35device_test_enabled_for_warp_size_vIXT1_EEEvE4typeEPT_S4_S4_S3_
		.amdhsa_group_segment_fixed_size 240
		.amdhsa_private_segment_fixed_size 0
		.amdhsa_kernarg_size 288
		.amdhsa_user_sgpr_count 6
		.amdhsa_user_sgpr_private_segment_buffer 1
		.amdhsa_user_sgpr_dispatch_ptr 0
		.amdhsa_user_sgpr_queue_ptr 0
		.amdhsa_user_sgpr_kernarg_segment_ptr 1
		.amdhsa_user_sgpr_dispatch_id 0
		.amdhsa_user_sgpr_flat_scratch_init 0
		.amdhsa_user_sgpr_private_segment_size 0
		.amdhsa_uses_dynamic_stack 0
		.amdhsa_system_sgpr_private_segment_wavefront_offset 0
		.amdhsa_system_sgpr_workgroup_id_x 1
		.amdhsa_system_sgpr_workgroup_id_y 0
		.amdhsa_system_sgpr_workgroup_id_z 0
		.amdhsa_system_sgpr_workgroup_info 0
		.amdhsa_system_vgpr_workitem_id 0
		.amdhsa_next_free_vgpr 10
		.amdhsa_next_free_sgpr 10
		.amdhsa_reserve_vcc 1
		.amdhsa_reserve_flat_scratch 0
		.amdhsa_float_round_mode_32 0
		.amdhsa_float_round_mode_16_64 0
		.amdhsa_float_denorm_mode_32 3
		.amdhsa_float_denorm_mode_16_64 3
		.amdhsa_dx10_clamp 1
		.amdhsa_ieee_mode 1
		.amdhsa_fp16_overflow 0
		.amdhsa_exception_fp_ieee_invalid_op 0
		.amdhsa_exception_fp_denorm_src 0
		.amdhsa_exception_fp_ieee_div_zero 0
		.amdhsa_exception_fp_ieee_overflow 0
		.amdhsa_exception_fp_ieee_underflow 0
		.amdhsa_exception_fp_ieee_inexact 0
		.amdhsa_exception_int_div_zero 0
	.end_amdhsa_kernel
	.section	.text._Z33warp_exclusive_scan_reduce_kernelIiLj60ELj15EENSt9enable_ifIXsr10test_utilsE35device_test_enabled_for_warp_size_vIXT1_EEEvE4typeEPT_S4_S4_S3_,"axG",@progbits,_Z33warp_exclusive_scan_reduce_kernelIiLj60ELj15EENSt9enable_ifIXsr10test_utilsE35device_test_enabled_for_warp_size_vIXT1_EEEvE4typeEPT_S4_S4_S3_,comdat
.Lfunc_end183:
	.size	_Z33warp_exclusive_scan_reduce_kernelIiLj60ELj15EENSt9enable_ifIXsr10test_utilsE35device_test_enabled_for_warp_size_vIXT1_EEEvE4typeEPT_S4_S4_S3_, .Lfunc_end183-_Z33warp_exclusive_scan_reduce_kernelIiLj60ELj15EENSt9enable_ifIXsr10test_utilsE35device_test_enabled_for_warp_size_vIXT1_EEEvE4typeEPT_S4_S4_S3_
                                        ; -- End function
	.set _Z33warp_exclusive_scan_reduce_kernelIiLj60ELj15EENSt9enable_ifIXsr10test_utilsE35device_test_enabled_for_warp_size_vIXT1_EEEvE4typeEPT_S4_S4_S3_.num_vgpr, 10
	.set _Z33warp_exclusive_scan_reduce_kernelIiLj60ELj15EENSt9enable_ifIXsr10test_utilsE35device_test_enabled_for_warp_size_vIXT1_EEEvE4typeEPT_S4_S4_S3_.num_agpr, 0
	.set _Z33warp_exclusive_scan_reduce_kernelIiLj60ELj15EENSt9enable_ifIXsr10test_utilsE35device_test_enabled_for_warp_size_vIXT1_EEEvE4typeEPT_S4_S4_S3_.numbered_sgpr, 10
	.set _Z33warp_exclusive_scan_reduce_kernelIiLj60ELj15EENSt9enable_ifIXsr10test_utilsE35device_test_enabled_for_warp_size_vIXT1_EEEvE4typeEPT_S4_S4_S3_.num_named_barrier, 0
	.set _Z33warp_exclusive_scan_reduce_kernelIiLj60ELj15EENSt9enable_ifIXsr10test_utilsE35device_test_enabled_for_warp_size_vIXT1_EEEvE4typeEPT_S4_S4_S3_.private_seg_size, 0
	.set _Z33warp_exclusive_scan_reduce_kernelIiLj60ELj15EENSt9enable_ifIXsr10test_utilsE35device_test_enabled_for_warp_size_vIXT1_EEEvE4typeEPT_S4_S4_S3_.uses_vcc, 1
	.set _Z33warp_exclusive_scan_reduce_kernelIiLj60ELj15EENSt9enable_ifIXsr10test_utilsE35device_test_enabled_for_warp_size_vIXT1_EEEvE4typeEPT_S4_S4_S3_.uses_flat_scratch, 0
	.set _Z33warp_exclusive_scan_reduce_kernelIiLj60ELj15EENSt9enable_ifIXsr10test_utilsE35device_test_enabled_for_warp_size_vIXT1_EEEvE4typeEPT_S4_S4_S3_.has_dyn_sized_stack, 0
	.set _Z33warp_exclusive_scan_reduce_kernelIiLj60ELj15EENSt9enable_ifIXsr10test_utilsE35device_test_enabled_for_warp_size_vIXT1_EEEvE4typeEPT_S4_S4_S3_.has_recursion, 0
	.set _Z33warp_exclusive_scan_reduce_kernelIiLj60ELj15EENSt9enable_ifIXsr10test_utilsE35device_test_enabled_for_warp_size_vIXT1_EEEvE4typeEPT_S4_S4_S3_.has_indirect_call, 0
	.section	.AMDGPU.csdata,"",@progbits
; Kernel info:
; codeLenInByte = 508
; TotalNumSgprs: 14
; NumVgprs: 10
; ScratchSize: 0
; MemoryBound: 0
; FloatMode: 240
; IeeeMode: 1
; LDSByteSize: 240 bytes/workgroup (compile time only)
; SGPRBlocks: 1
; VGPRBlocks: 2
; NumSGPRsForWavesPerEU: 14
; NumVGPRsForWavesPerEU: 10
; Occupancy: 10
; WaveLimiterHint : 0
; COMPUTE_PGM_RSRC2:SCRATCH_EN: 0
; COMPUTE_PGM_RSRC2:USER_SGPR: 6
; COMPUTE_PGM_RSRC2:TRAP_HANDLER: 0
; COMPUTE_PGM_RSRC2:TGID_X_EN: 1
; COMPUTE_PGM_RSRC2:TGID_Y_EN: 0
; COMPUTE_PGM_RSRC2:TGID_Z_EN: 0
; COMPUTE_PGM_RSRC2:TIDIG_COMP_CNT: 0
	.section	.text._Z33warp_exclusive_scan_reduce_kernelIiLj28ELj7EENSt9enable_ifIXsr10test_utilsE35device_test_enabled_for_warp_size_vIXT1_EEEvE4typeEPT_S4_S4_S3_,"axG",@progbits,_Z33warp_exclusive_scan_reduce_kernelIiLj28ELj7EENSt9enable_ifIXsr10test_utilsE35device_test_enabled_for_warp_size_vIXT1_EEEvE4typeEPT_S4_S4_S3_,comdat
	.protected	_Z33warp_exclusive_scan_reduce_kernelIiLj28ELj7EENSt9enable_ifIXsr10test_utilsE35device_test_enabled_for_warp_size_vIXT1_EEEvE4typeEPT_S4_S4_S3_ ; -- Begin function _Z33warp_exclusive_scan_reduce_kernelIiLj28ELj7EENSt9enable_ifIXsr10test_utilsE35device_test_enabled_for_warp_size_vIXT1_EEEvE4typeEPT_S4_S4_S3_
	.globl	_Z33warp_exclusive_scan_reduce_kernelIiLj28ELj7EENSt9enable_ifIXsr10test_utilsE35device_test_enabled_for_warp_size_vIXT1_EEEvE4typeEPT_S4_S4_S3_
	.p2align	8
	.type	_Z33warp_exclusive_scan_reduce_kernelIiLj28ELj7EENSt9enable_ifIXsr10test_utilsE35device_test_enabled_for_warp_size_vIXT1_EEEvE4typeEPT_S4_S4_S3_,@function
_Z33warp_exclusive_scan_reduce_kernelIiLj28ELj7EENSt9enable_ifIXsr10test_utilsE35device_test_enabled_for_warp_size_vIXT1_EEEvE4typeEPT_S4_S4_S3_: ; @_Z33warp_exclusive_scan_reduce_kernelIiLj28ELj7EENSt9enable_ifIXsr10test_utilsE35device_test_enabled_for_warp_size_vIXT1_EEEvE4typeEPT_S4_S4_S3_
; %bb.0:
	s_load_dword s7, s[4:5], 0x2c
	s_load_dwordx4 s[0:3], s[4:5], 0x0
	v_mov_b32_e32 v2, 0
	s_waitcnt lgkmcnt(0)
	s_and_b32 s7, s7, 0xffff
	s_mul_i32 s6, s6, s7
	v_add_u32_e32 v1, s6, v0
	v_lshlrev_b64 v[2:3], 2, v[1:2]
	v_mov_b32_e32 v5, s1
	v_add_co_u32_e32 v4, vcc, s0, v2
	v_addc_co_u32_e32 v5, vcc, v5, v3, vcc
	global_load_dword v5, v[4:5], off
	v_mbcnt_lo_u32_b32 v4, -1, 0
	s_mov_b32 s0, 0x24924925
	v_mbcnt_hi_u32_b32 v6, -1, v4
	v_mul_hi_u32 v7, v6, s0
	v_mul_u32_u24_e32 v4, 0x2493, v0
	v_lshrrev_b32_e32 v4, 16, v4
	v_mul_u32_u24_e32 v7, 7, v7
	v_sub_u32_e32 v8, v6, v7
	v_lshlrev_b32_e32 v6, 2, v8
	v_mad_u32_u24 v7, v4, 28, v6
	v_cmp_ne_u32_e32 vcc, 0, v8
	v_add_u32_e32 v6, -4, v7
	s_waitcnt vmcnt(0)
	ds_write_b32 v7, v5
	; wave barrier
	s_and_saveexec_b64 s[0:1], vcc
	s_cbranch_execz .LBB184_2
; %bb.1:
	ds_read_b32 v9, v6
	s_waitcnt lgkmcnt(0)
	v_add_u32_e32 v5, v9, v5
.LBB184_2:
	s_or_b64 exec, exec, s[0:1]
	; wave barrier
	s_and_saveexec_b64 s[0:1], vcc
; %bb.3:
	ds_write_b32 v7, v5
; %bb.4:
	s_or_b64 exec, exec, s[0:1]
	v_cmp_lt_u32_e64 s[0:1], 1, v8
	; wave barrier
	s_and_saveexec_b64 s[6:7], s[0:1]
	s_cbranch_execz .LBB184_6
; %bb.5:
	v_add_u32_e32 v9, -8, v7
	ds_read_b32 v9, v9
	s_waitcnt lgkmcnt(0)
	v_add_u32_e32 v5, v9, v5
.LBB184_6:
	s_or_b64 exec, exec, s[6:7]
	; wave barrier
	s_and_saveexec_b64 s[6:7], s[0:1]
; %bb.7:
	ds_write_b32 v7, v5
; %bb.8:
	s_or_b64 exec, exec, s[6:7]
	s_load_dwordx2 s[6:7], s[4:5], 0x10
	v_cmp_lt_u32_e64 s[0:1], 3, v8
	; wave barrier
	s_and_saveexec_b64 s[8:9], s[0:1]
	s_cbranch_execz .LBB184_10
; %bb.9:
	v_add_u32_e32 v8, -16, v7
	ds_read_b32 v8, v8
	s_waitcnt lgkmcnt(0)
	v_add_u32_e32 v5, v8, v5
.LBB184_10:
	s_or_b64 exec, exec, s[8:9]
	v_mul_u32_u24_e32 v8, 28, v4
	; wave barrier
	s_and_saveexec_b64 s[8:9], s[0:1]
; %bb.11:
	ds_write_b32 v7, v5
; %bb.12:
	s_or_b64 exec, exec, s[8:9]
	s_load_dword s4, s[4:5], 0x18
	; wave barrier
	ds_read_b32 v5, v8 offset:24
	s_waitcnt lgkmcnt(0)
	v_mov_b32_e32 v7, s4
	s_and_saveexec_b64 s[0:1], vcc
	s_cbranch_execz .LBB184_14
; %bb.13:
	ds_read_b32 v6, v6
	s_waitcnt lgkmcnt(0)
	v_add_u32_e32 v7, s4, v6
.LBB184_14:
	s_or_b64 exec, exec, s[0:1]
	v_mov_b32_e32 v6, s3
	v_add_co_u32_e32 v2, vcc, s2, v2
	v_addc_co_u32_e32 v3, vcc, v6, v3, vcc
	global_store_dword v[2:3], v7, off
	v_mul_lo_u16_e32 v2, 7, v4
	v_sub_u16_e32 v0, v0, v2
	v_cmp_eq_u16_e32 vcc, 0, v0
	s_and_saveexec_b64 s[0:1], vcc
	s_cbranch_execz .LBB184_16
; %bb.15:
	s_mov_b32 s0, 0x24924925
	v_mul_hi_u32 v0, v1, s0
	v_sub_u32_e32 v1, v1, v0
	v_lshrrev_b32_e32 v1, 1, v1
	v_add_u32_e32 v0, v1, v0
	v_and_b32_e32 v0, -4, v0
	global_store_dword v0, v5, s[6:7]
.LBB184_16:
	s_endpgm
	.section	.rodata,"a",@progbits
	.p2align	6, 0x0
	.amdhsa_kernel _Z33warp_exclusive_scan_reduce_kernelIiLj28ELj7EENSt9enable_ifIXsr10test_utilsE35device_test_enabled_for_warp_size_vIXT1_EEEvE4typeEPT_S4_S4_S3_
		.amdhsa_group_segment_fixed_size 112
		.amdhsa_private_segment_fixed_size 0
		.amdhsa_kernarg_size 288
		.amdhsa_user_sgpr_count 6
		.amdhsa_user_sgpr_private_segment_buffer 1
		.amdhsa_user_sgpr_dispatch_ptr 0
		.amdhsa_user_sgpr_queue_ptr 0
		.amdhsa_user_sgpr_kernarg_segment_ptr 1
		.amdhsa_user_sgpr_dispatch_id 0
		.amdhsa_user_sgpr_flat_scratch_init 0
		.amdhsa_user_sgpr_private_segment_size 0
		.amdhsa_uses_dynamic_stack 0
		.amdhsa_system_sgpr_private_segment_wavefront_offset 0
		.amdhsa_system_sgpr_workgroup_id_x 1
		.amdhsa_system_sgpr_workgroup_id_y 0
		.amdhsa_system_sgpr_workgroup_id_z 0
		.amdhsa_system_sgpr_workgroup_info 0
		.amdhsa_system_vgpr_workitem_id 0
		.amdhsa_next_free_vgpr 10
		.amdhsa_next_free_sgpr 10
		.amdhsa_reserve_vcc 1
		.amdhsa_reserve_flat_scratch 0
		.amdhsa_float_round_mode_32 0
		.amdhsa_float_round_mode_16_64 0
		.amdhsa_float_denorm_mode_32 3
		.amdhsa_float_denorm_mode_16_64 3
		.amdhsa_dx10_clamp 1
		.amdhsa_ieee_mode 1
		.amdhsa_fp16_overflow 0
		.amdhsa_exception_fp_ieee_invalid_op 0
		.amdhsa_exception_fp_denorm_src 0
		.amdhsa_exception_fp_ieee_div_zero 0
		.amdhsa_exception_fp_ieee_overflow 0
		.amdhsa_exception_fp_ieee_underflow 0
		.amdhsa_exception_fp_ieee_inexact 0
		.amdhsa_exception_int_div_zero 0
	.end_amdhsa_kernel
	.section	.text._Z33warp_exclusive_scan_reduce_kernelIiLj28ELj7EENSt9enable_ifIXsr10test_utilsE35device_test_enabled_for_warp_size_vIXT1_EEEvE4typeEPT_S4_S4_S3_,"axG",@progbits,_Z33warp_exclusive_scan_reduce_kernelIiLj28ELj7EENSt9enable_ifIXsr10test_utilsE35device_test_enabled_for_warp_size_vIXT1_EEEvE4typeEPT_S4_S4_S3_,comdat
.Lfunc_end184:
	.size	_Z33warp_exclusive_scan_reduce_kernelIiLj28ELj7EENSt9enable_ifIXsr10test_utilsE35device_test_enabled_for_warp_size_vIXT1_EEEvE4typeEPT_S4_S4_S3_, .Lfunc_end184-_Z33warp_exclusive_scan_reduce_kernelIiLj28ELj7EENSt9enable_ifIXsr10test_utilsE35device_test_enabled_for_warp_size_vIXT1_EEEvE4typeEPT_S4_S4_S3_
                                        ; -- End function
	.set _Z33warp_exclusive_scan_reduce_kernelIiLj28ELj7EENSt9enable_ifIXsr10test_utilsE35device_test_enabled_for_warp_size_vIXT1_EEEvE4typeEPT_S4_S4_S3_.num_vgpr, 10
	.set _Z33warp_exclusive_scan_reduce_kernelIiLj28ELj7EENSt9enable_ifIXsr10test_utilsE35device_test_enabled_for_warp_size_vIXT1_EEEvE4typeEPT_S4_S4_S3_.num_agpr, 0
	.set _Z33warp_exclusive_scan_reduce_kernelIiLj28ELj7EENSt9enable_ifIXsr10test_utilsE35device_test_enabled_for_warp_size_vIXT1_EEEvE4typeEPT_S4_S4_S3_.numbered_sgpr, 10
	.set _Z33warp_exclusive_scan_reduce_kernelIiLj28ELj7EENSt9enable_ifIXsr10test_utilsE35device_test_enabled_for_warp_size_vIXT1_EEEvE4typeEPT_S4_S4_S3_.num_named_barrier, 0
	.set _Z33warp_exclusive_scan_reduce_kernelIiLj28ELj7EENSt9enable_ifIXsr10test_utilsE35device_test_enabled_for_warp_size_vIXT1_EEEvE4typeEPT_S4_S4_S3_.private_seg_size, 0
	.set _Z33warp_exclusive_scan_reduce_kernelIiLj28ELj7EENSt9enable_ifIXsr10test_utilsE35device_test_enabled_for_warp_size_vIXT1_EEEvE4typeEPT_S4_S4_S3_.uses_vcc, 1
	.set _Z33warp_exclusive_scan_reduce_kernelIiLj28ELj7EENSt9enable_ifIXsr10test_utilsE35device_test_enabled_for_warp_size_vIXT1_EEEvE4typeEPT_S4_S4_S3_.uses_flat_scratch, 0
	.set _Z33warp_exclusive_scan_reduce_kernelIiLj28ELj7EENSt9enable_ifIXsr10test_utilsE35device_test_enabled_for_warp_size_vIXT1_EEEvE4typeEPT_S4_S4_S3_.has_dyn_sized_stack, 0
	.set _Z33warp_exclusive_scan_reduce_kernelIiLj28ELj7EENSt9enable_ifIXsr10test_utilsE35device_test_enabled_for_warp_size_vIXT1_EEEvE4typeEPT_S4_S4_S3_.has_recursion, 0
	.set _Z33warp_exclusive_scan_reduce_kernelIiLj28ELj7EENSt9enable_ifIXsr10test_utilsE35device_test_enabled_for_warp_size_vIXT1_EEEvE4typeEPT_S4_S4_S3_.has_indirect_call, 0
	.section	.AMDGPU.csdata,"",@progbits
; Kernel info:
; codeLenInByte = 456
; TotalNumSgprs: 14
; NumVgprs: 10
; ScratchSize: 0
; MemoryBound: 0
; FloatMode: 240
; IeeeMode: 1
; LDSByteSize: 112 bytes/workgroup (compile time only)
; SGPRBlocks: 1
; VGPRBlocks: 2
; NumSGPRsForWavesPerEU: 14
; NumVGPRsForWavesPerEU: 10
; Occupancy: 10
; WaveLimiterHint : 0
; COMPUTE_PGM_RSRC2:SCRATCH_EN: 0
; COMPUTE_PGM_RSRC2:USER_SGPR: 6
; COMPUTE_PGM_RSRC2:TRAP_HANDLER: 0
; COMPUTE_PGM_RSRC2:TGID_X_EN: 1
; COMPUTE_PGM_RSRC2:TGID_Y_EN: 0
; COMPUTE_PGM_RSRC2:TGID_Z_EN: 0
; COMPUTE_PGM_RSRC2:TIDIG_COMP_CNT: 0
	.section	.text._Z33warp_exclusive_scan_reduce_kernelIiLj63ELj7EENSt9enable_ifIXsr10test_utilsE35device_test_enabled_for_warp_size_vIXT1_EEEvE4typeEPT_S4_S4_S3_,"axG",@progbits,_Z33warp_exclusive_scan_reduce_kernelIiLj63ELj7EENSt9enable_ifIXsr10test_utilsE35device_test_enabled_for_warp_size_vIXT1_EEEvE4typeEPT_S4_S4_S3_,comdat
	.protected	_Z33warp_exclusive_scan_reduce_kernelIiLj63ELj7EENSt9enable_ifIXsr10test_utilsE35device_test_enabled_for_warp_size_vIXT1_EEEvE4typeEPT_S4_S4_S3_ ; -- Begin function _Z33warp_exclusive_scan_reduce_kernelIiLj63ELj7EENSt9enable_ifIXsr10test_utilsE35device_test_enabled_for_warp_size_vIXT1_EEEvE4typeEPT_S4_S4_S3_
	.globl	_Z33warp_exclusive_scan_reduce_kernelIiLj63ELj7EENSt9enable_ifIXsr10test_utilsE35device_test_enabled_for_warp_size_vIXT1_EEEvE4typeEPT_S4_S4_S3_
	.p2align	8
	.type	_Z33warp_exclusive_scan_reduce_kernelIiLj63ELj7EENSt9enable_ifIXsr10test_utilsE35device_test_enabled_for_warp_size_vIXT1_EEEvE4typeEPT_S4_S4_S3_,@function
_Z33warp_exclusive_scan_reduce_kernelIiLj63ELj7EENSt9enable_ifIXsr10test_utilsE35device_test_enabled_for_warp_size_vIXT1_EEEvE4typeEPT_S4_S4_S3_: ; @_Z33warp_exclusive_scan_reduce_kernelIiLj63ELj7EENSt9enable_ifIXsr10test_utilsE35device_test_enabled_for_warp_size_vIXT1_EEEvE4typeEPT_S4_S4_S3_
; %bb.0:
	s_load_dword s7, s[4:5], 0x2c
	s_load_dwordx4 s[0:3], s[4:5], 0x0
	v_mov_b32_e32 v2, 0
	s_waitcnt lgkmcnt(0)
	s_and_b32 s7, s7, 0xffff
	s_mul_i32 s6, s6, s7
	v_add_u32_e32 v1, s6, v0
	v_lshlrev_b64 v[2:3], 2, v[1:2]
	v_mov_b32_e32 v5, s1
	v_add_co_u32_e32 v4, vcc, s0, v2
	v_addc_co_u32_e32 v5, vcc, v5, v3, vcc
	global_load_dword v5, v[4:5], off
	v_mbcnt_lo_u32_b32 v4, -1, 0
	s_mov_b32 s0, 0x24924925
	v_mbcnt_hi_u32_b32 v6, -1, v4
	v_mul_hi_u32 v7, v6, s0
	v_mul_u32_u24_e32 v4, 0x2493, v0
	v_lshrrev_b32_e32 v4, 16, v4
	v_mul_u32_u24_e32 v7, 7, v7
	v_sub_u32_e32 v8, v6, v7
	v_lshlrev_b32_e32 v6, 2, v8
	v_mad_u32_u24 v7, v4, 28, v6
	v_cmp_ne_u32_e32 vcc, 0, v8
	v_add_u32_e32 v6, -4, v7
	s_waitcnt vmcnt(0)
	ds_write_b32 v7, v5
	; wave barrier
	s_and_saveexec_b64 s[0:1], vcc
	s_cbranch_execz .LBB185_2
; %bb.1:
	ds_read_b32 v9, v6
	s_waitcnt lgkmcnt(0)
	v_add_u32_e32 v5, v9, v5
.LBB185_2:
	s_or_b64 exec, exec, s[0:1]
	; wave barrier
	s_and_saveexec_b64 s[0:1], vcc
; %bb.3:
	ds_write_b32 v7, v5
; %bb.4:
	s_or_b64 exec, exec, s[0:1]
	v_cmp_lt_u32_e64 s[0:1], 1, v8
	; wave barrier
	s_and_saveexec_b64 s[6:7], s[0:1]
	s_cbranch_execz .LBB185_6
; %bb.5:
	v_add_u32_e32 v9, -8, v7
	ds_read_b32 v9, v9
	s_waitcnt lgkmcnt(0)
	v_add_u32_e32 v5, v9, v5
.LBB185_6:
	s_or_b64 exec, exec, s[6:7]
	; wave barrier
	s_and_saveexec_b64 s[6:7], s[0:1]
; %bb.7:
	ds_write_b32 v7, v5
; %bb.8:
	s_or_b64 exec, exec, s[6:7]
	s_load_dwordx2 s[6:7], s[4:5], 0x10
	v_cmp_lt_u32_e64 s[0:1], 3, v8
	; wave barrier
	s_and_saveexec_b64 s[8:9], s[0:1]
	s_cbranch_execz .LBB185_10
; %bb.9:
	v_add_u32_e32 v8, -16, v7
	ds_read_b32 v8, v8
	s_waitcnt lgkmcnt(0)
	v_add_u32_e32 v5, v8, v5
.LBB185_10:
	s_or_b64 exec, exec, s[8:9]
	v_mul_u32_u24_e32 v8, 28, v4
	; wave barrier
	s_and_saveexec_b64 s[8:9], s[0:1]
; %bb.11:
	ds_write_b32 v7, v5
; %bb.12:
	s_or_b64 exec, exec, s[8:9]
	s_load_dword s4, s[4:5], 0x18
	; wave barrier
	ds_read_b32 v5, v8 offset:24
	s_waitcnt lgkmcnt(0)
	v_mov_b32_e32 v7, s4
	s_and_saveexec_b64 s[0:1], vcc
	s_cbranch_execz .LBB185_14
; %bb.13:
	ds_read_b32 v6, v6
	s_waitcnt lgkmcnt(0)
	v_add_u32_e32 v7, s4, v6
.LBB185_14:
	s_or_b64 exec, exec, s[0:1]
	v_mov_b32_e32 v6, s3
	v_add_co_u32_e32 v2, vcc, s2, v2
	v_addc_co_u32_e32 v3, vcc, v6, v3, vcc
	global_store_dword v[2:3], v7, off
	v_mul_lo_u16_e32 v2, 7, v4
	v_sub_u16_e32 v0, v0, v2
	v_cmp_eq_u16_e32 vcc, 0, v0
	s_and_saveexec_b64 s[0:1], vcc
	s_cbranch_execz .LBB185_16
; %bb.15:
	s_mov_b32 s0, 0x24924925
	v_mul_hi_u32 v0, v1, s0
	v_sub_u32_e32 v1, v1, v0
	v_lshrrev_b32_e32 v1, 1, v1
	v_add_u32_e32 v0, v1, v0
	v_and_b32_e32 v0, -4, v0
	global_store_dword v0, v5, s[6:7]
.LBB185_16:
	s_endpgm
	.section	.rodata,"a",@progbits
	.p2align	6, 0x0
	.amdhsa_kernel _Z33warp_exclusive_scan_reduce_kernelIiLj63ELj7EENSt9enable_ifIXsr10test_utilsE35device_test_enabled_for_warp_size_vIXT1_EEEvE4typeEPT_S4_S4_S3_
		.amdhsa_group_segment_fixed_size 252
		.amdhsa_private_segment_fixed_size 0
		.amdhsa_kernarg_size 288
		.amdhsa_user_sgpr_count 6
		.amdhsa_user_sgpr_private_segment_buffer 1
		.amdhsa_user_sgpr_dispatch_ptr 0
		.amdhsa_user_sgpr_queue_ptr 0
		.amdhsa_user_sgpr_kernarg_segment_ptr 1
		.amdhsa_user_sgpr_dispatch_id 0
		.amdhsa_user_sgpr_flat_scratch_init 0
		.amdhsa_user_sgpr_private_segment_size 0
		.amdhsa_uses_dynamic_stack 0
		.amdhsa_system_sgpr_private_segment_wavefront_offset 0
		.amdhsa_system_sgpr_workgroup_id_x 1
		.amdhsa_system_sgpr_workgroup_id_y 0
		.amdhsa_system_sgpr_workgroup_id_z 0
		.amdhsa_system_sgpr_workgroup_info 0
		.amdhsa_system_vgpr_workitem_id 0
		.amdhsa_next_free_vgpr 10
		.amdhsa_next_free_sgpr 10
		.amdhsa_reserve_vcc 1
		.amdhsa_reserve_flat_scratch 0
		.amdhsa_float_round_mode_32 0
		.amdhsa_float_round_mode_16_64 0
		.amdhsa_float_denorm_mode_32 3
		.amdhsa_float_denorm_mode_16_64 3
		.amdhsa_dx10_clamp 1
		.amdhsa_ieee_mode 1
		.amdhsa_fp16_overflow 0
		.amdhsa_exception_fp_ieee_invalid_op 0
		.amdhsa_exception_fp_denorm_src 0
		.amdhsa_exception_fp_ieee_div_zero 0
		.amdhsa_exception_fp_ieee_overflow 0
		.amdhsa_exception_fp_ieee_underflow 0
		.amdhsa_exception_fp_ieee_inexact 0
		.amdhsa_exception_int_div_zero 0
	.end_amdhsa_kernel
	.section	.text._Z33warp_exclusive_scan_reduce_kernelIiLj63ELj7EENSt9enable_ifIXsr10test_utilsE35device_test_enabled_for_warp_size_vIXT1_EEEvE4typeEPT_S4_S4_S3_,"axG",@progbits,_Z33warp_exclusive_scan_reduce_kernelIiLj63ELj7EENSt9enable_ifIXsr10test_utilsE35device_test_enabled_for_warp_size_vIXT1_EEEvE4typeEPT_S4_S4_S3_,comdat
.Lfunc_end185:
	.size	_Z33warp_exclusive_scan_reduce_kernelIiLj63ELj7EENSt9enable_ifIXsr10test_utilsE35device_test_enabled_for_warp_size_vIXT1_EEEvE4typeEPT_S4_S4_S3_, .Lfunc_end185-_Z33warp_exclusive_scan_reduce_kernelIiLj63ELj7EENSt9enable_ifIXsr10test_utilsE35device_test_enabled_for_warp_size_vIXT1_EEEvE4typeEPT_S4_S4_S3_
                                        ; -- End function
	.set _Z33warp_exclusive_scan_reduce_kernelIiLj63ELj7EENSt9enable_ifIXsr10test_utilsE35device_test_enabled_for_warp_size_vIXT1_EEEvE4typeEPT_S4_S4_S3_.num_vgpr, 10
	.set _Z33warp_exclusive_scan_reduce_kernelIiLj63ELj7EENSt9enable_ifIXsr10test_utilsE35device_test_enabled_for_warp_size_vIXT1_EEEvE4typeEPT_S4_S4_S3_.num_agpr, 0
	.set _Z33warp_exclusive_scan_reduce_kernelIiLj63ELj7EENSt9enable_ifIXsr10test_utilsE35device_test_enabled_for_warp_size_vIXT1_EEEvE4typeEPT_S4_S4_S3_.numbered_sgpr, 10
	.set _Z33warp_exclusive_scan_reduce_kernelIiLj63ELj7EENSt9enable_ifIXsr10test_utilsE35device_test_enabled_for_warp_size_vIXT1_EEEvE4typeEPT_S4_S4_S3_.num_named_barrier, 0
	.set _Z33warp_exclusive_scan_reduce_kernelIiLj63ELj7EENSt9enable_ifIXsr10test_utilsE35device_test_enabled_for_warp_size_vIXT1_EEEvE4typeEPT_S4_S4_S3_.private_seg_size, 0
	.set _Z33warp_exclusive_scan_reduce_kernelIiLj63ELj7EENSt9enable_ifIXsr10test_utilsE35device_test_enabled_for_warp_size_vIXT1_EEEvE4typeEPT_S4_S4_S3_.uses_vcc, 1
	.set _Z33warp_exclusive_scan_reduce_kernelIiLj63ELj7EENSt9enable_ifIXsr10test_utilsE35device_test_enabled_for_warp_size_vIXT1_EEEvE4typeEPT_S4_S4_S3_.uses_flat_scratch, 0
	.set _Z33warp_exclusive_scan_reduce_kernelIiLj63ELj7EENSt9enable_ifIXsr10test_utilsE35device_test_enabled_for_warp_size_vIXT1_EEEvE4typeEPT_S4_S4_S3_.has_dyn_sized_stack, 0
	.set _Z33warp_exclusive_scan_reduce_kernelIiLj63ELj7EENSt9enable_ifIXsr10test_utilsE35device_test_enabled_for_warp_size_vIXT1_EEEvE4typeEPT_S4_S4_S3_.has_recursion, 0
	.set _Z33warp_exclusive_scan_reduce_kernelIiLj63ELj7EENSt9enable_ifIXsr10test_utilsE35device_test_enabled_for_warp_size_vIXT1_EEEvE4typeEPT_S4_S4_S3_.has_indirect_call, 0
	.section	.AMDGPU.csdata,"",@progbits
; Kernel info:
; codeLenInByte = 456
; TotalNumSgprs: 14
; NumVgprs: 10
; ScratchSize: 0
; MemoryBound: 0
; FloatMode: 240
; IeeeMode: 1
; LDSByteSize: 252 bytes/workgroup (compile time only)
; SGPRBlocks: 1
; VGPRBlocks: 2
; NumSGPRsForWavesPerEU: 14
; NumVGPRsForWavesPerEU: 10
; Occupancy: 10
; WaveLimiterHint : 0
; COMPUTE_PGM_RSRC2:SCRATCH_EN: 0
; COMPUTE_PGM_RSRC2:USER_SGPR: 6
; COMPUTE_PGM_RSRC2:TRAP_HANDLER: 0
; COMPUTE_PGM_RSRC2:TGID_X_EN: 1
; COMPUTE_PGM_RSRC2:TGID_Y_EN: 0
; COMPUTE_PGM_RSRC2:TGID_Z_EN: 0
; COMPUTE_PGM_RSRC2:TIDIG_COMP_CNT: 0
	.section	.text._Z33warp_exclusive_scan_reduce_kernelIiLj30ELj3EENSt9enable_ifIXsr10test_utilsE35device_test_enabled_for_warp_size_vIXT1_EEEvE4typeEPT_S4_S4_S3_,"axG",@progbits,_Z33warp_exclusive_scan_reduce_kernelIiLj30ELj3EENSt9enable_ifIXsr10test_utilsE35device_test_enabled_for_warp_size_vIXT1_EEEvE4typeEPT_S4_S4_S3_,comdat
	.protected	_Z33warp_exclusive_scan_reduce_kernelIiLj30ELj3EENSt9enable_ifIXsr10test_utilsE35device_test_enabled_for_warp_size_vIXT1_EEEvE4typeEPT_S4_S4_S3_ ; -- Begin function _Z33warp_exclusive_scan_reduce_kernelIiLj30ELj3EENSt9enable_ifIXsr10test_utilsE35device_test_enabled_for_warp_size_vIXT1_EEEvE4typeEPT_S4_S4_S3_
	.globl	_Z33warp_exclusive_scan_reduce_kernelIiLj30ELj3EENSt9enable_ifIXsr10test_utilsE35device_test_enabled_for_warp_size_vIXT1_EEEvE4typeEPT_S4_S4_S3_
	.p2align	8
	.type	_Z33warp_exclusive_scan_reduce_kernelIiLj30ELj3EENSt9enable_ifIXsr10test_utilsE35device_test_enabled_for_warp_size_vIXT1_EEEvE4typeEPT_S4_S4_S3_,@function
_Z33warp_exclusive_scan_reduce_kernelIiLj30ELj3EENSt9enable_ifIXsr10test_utilsE35device_test_enabled_for_warp_size_vIXT1_EEEvE4typeEPT_S4_S4_S3_: ; @_Z33warp_exclusive_scan_reduce_kernelIiLj30ELj3EENSt9enable_ifIXsr10test_utilsE35device_test_enabled_for_warp_size_vIXT1_EEEvE4typeEPT_S4_S4_S3_
; %bb.0:
	s_load_dword s7, s[4:5], 0x2c
	s_load_dwordx4 s[0:3], s[4:5], 0x0
	v_mov_b32_e32 v2, 0
	s_waitcnt lgkmcnt(0)
	s_and_b32 s7, s7, 0xffff
	s_mul_i32 s6, s6, s7
	v_add_u32_e32 v1, s6, v0
	v_lshlrev_b64 v[2:3], 2, v[1:2]
	v_mov_b32_e32 v5, s1
	v_add_co_u32_e32 v4, vcc, s0, v2
	v_addc_co_u32_e32 v5, vcc, v5, v3, vcc
	global_load_dword v5, v[4:5], off
	v_mbcnt_lo_u32_b32 v4, -1, 0
	s_mov_b32 s0, 0x55555556
	v_mbcnt_hi_u32_b32 v6, -1, v4
	v_mul_hi_u32 v7, v6, s0
	v_mul_u32_u24_e32 v4, 0x5556, v0
	v_lshrrev_b32_e32 v4, 16, v4
	v_mul_u32_u24_e32 v7, 3, v7
	v_sub_u32_e32 v8, v6, v7
	v_lshlrev_b32_e32 v6, 2, v8
	v_mad_u32_u24 v7, v4, 12, v6
	v_cmp_ne_u32_e32 vcc, 0, v8
	v_add_u32_e32 v6, -4, v7
	s_waitcnt vmcnt(0)
	ds_write_b32 v7, v5
	; wave barrier
	s_and_saveexec_b64 s[0:1], vcc
	s_cbranch_execz .LBB186_2
; %bb.1:
	ds_read_b32 v9, v6
	s_waitcnt lgkmcnt(0)
	v_add_u32_e32 v5, v9, v5
.LBB186_2:
	s_or_b64 exec, exec, s[0:1]
	s_load_dwordx2 s[6:7], s[4:5], 0x10
	v_mul_u32_u24_e32 v9, 12, v4
	; wave barrier
	s_and_saveexec_b64 s[0:1], vcc
; %bb.3:
	ds_write_b32 v7, v5
; %bb.4:
	s_or_b64 exec, exec, s[0:1]
	; wave barrier
	ds_read_b32 v10, v9
	v_cmp_lt_u32_e64 s[0:1], 1, v8
	; wave barrier
	s_and_saveexec_b64 s[8:9], s[0:1]
	s_cbranch_execz .LBB186_6
; %bb.5:
	s_waitcnt lgkmcnt(0)
	v_add_u32_e32 v5, v10, v5
	ds_write_b32 v7, v5
.LBB186_6:
	s_or_b64 exec, exec, s[8:9]
	s_load_dword s4, s[4:5], 0x18
	; wave barrier
	ds_read_b32 v5, v9 offset:8
	s_waitcnt lgkmcnt(0)
	v_mov_b32_e32 v7, s4
	s_and_saveexec_b64 s[0:1], vcc
	s_cbranch_execz .LBB186_8
; %bb.7:
	ds_read_b32 v6, v6
	s_waitcnt lgkmcnt(0)
	v_add_u32_e32 v7, s4, v6
.LBB186_8:
	s_or_b64 exec, exec, s[0:1]
	v_mov_b32_e32 v6, s3
	v_add_co_u32_e32 v2, vcc, s2, v2
	v_addc_co_u32_e32 v3, vcc, v6, v3, vcc
	global_store_dword v[2:3], v7, off
	v_mul_lo_u16_e32 v2, 3, v4
	v_sub_u16_e32 v0, v0, v2
	v_cmp_eq_u16_e32 vcc, 0, v0
	s_and_saveexec_b64 s[0:1], vcc
	s_cbranch_execz .LBB186_10
; %bb.9:
	s_mov_b32 s0, 0xaaaaaaab
	v_mul_hi_u32 v0, v1, s0
	v_mov_b32_e32 v1, 0
	v_mov_b32_e32 v2, s7
	v_lshrrev_b32_e32 v0, 1, v0
	v_lshlrev_b64 v[0:1], 2, v[0:1]
	v_add_co_u32_e32 v0, vcc, s6, v0
	v_addc_co_u32_e32 v1, vcc, v2, v1, vcc
	global_store_dword v[0:1], v5, off
.LBB186_10:
	s_endpgm
	.section	.rodata,"a",@progbits
	.p2align	6, 0x0
	.amdhsa_kernel _Z33warp_exclusive_scan_reduce_kernelIiLj30ELj3EENSt9enable_ifIXsr10test_utilsE35device_test_enabled_for_warp_size_vIXT1_EEEvE4typeEPT_S4_S4_S3_
		.amdhsa_group_segment_fixed_size 120
		.amdhsa_private_segment_fixed_size 0
		.amdhsa_kernarg_size 288
		.amdhsa_user_sgpr_count 6
		.amdhsa_user_sgpr_private_segment_buffer 1
		.amdhsa_user_sgpr_dispatch_ptr 0
		.amdhsa_user_sgpr_queue_ptr 0
		.amdhsa_user_sgpr_kernarg_segment_ptr 1
		.amdhsa_user_sgpr_dispatch_id 0
		.amdhsa_user_sgpr_flat_scratch_init 0
		.amdhsa_user_sgpr_private_segment_size 0
		.amdhsa_uses_dynamic_stack 0
		.amdhsa_system_sgpr_private_segment_wavefront_offset 0
		.amdhsa_system_sgpr_workgroup_id_x 1
		.amdhsa_system_sgpr_workgroup_id_y 0
		.amdhsa_system_sgpr_workgroup_id_z 0
		.amdhsa_system_sgpr_workgroup_info 0
		.amdhsa_system_vgpr_workitem_id 0
		.amdhsa_next_free_vgpr 11
		.amdhsa_next_free_sgpr 10
		.amdhsa_reserve_vcc 1
		.amdhsa_reserve_flat_scratch 0
		.amdhsa_float_round_mode_32 0
		.amdhsa_float_round_mode_16_64 0
		.amdhsa_float_denorm_mode_32 3
		.amdhsa_float_denorm_mode_16_64 3
		.amdhsa_dx10_clamp 1
		.amdhsa_ieee_mode 1
		.amdhsa_fp16_overflow 0
		.amdhsa_exception_fp_ieee_invalid_op 0
		.amdhsa_exception_fp_denorm_src 0
		.amdhsa_exception_fp_ieee_div_zero 0
		.amdhsa_exception_fp_ieee_overflow 0
		.amdhsa_exception_fp_ieee_underflow 0
		.amdhsa_exception_fp_ieee_inexact 0
		.amdhsa_exception_int_div_zero 0
	.end_amdhsa_kernel
	.section	.text._Z33warp_exclusive_scan_reduce_kernelIiLj30ELj3EENSt9enable_ifIXsr10test_utilsE35device_test_enabled_for_warp_size_vIXT1_EEEvE4typeEPT_S4_S4_S3_,"axG",@progbits,_Z33warp_exclusive_scan_reduce_kernelIiLj30ELj3EENSt9enable_ifIXsr10test_utilsE35device_test_enabled_for_warp_size_vIXT1_EEEvE4typeEPT_S4_S4_S3_,comdat
.Lfunc_end186:
	.size	_Z33warp_exclusive_scan_reduce_kernelIiLj30ELj3EENSt9enable_ifIXsr10test_utilsE35device_test_enabled_for_warp_size_vIXT1_EEEvE4typeEPT_S4_S4_S3_, .Lfunc_end186-_Z33warp_exclusive_scan_reduce_kernelIiLj30ELj3EENSt9enable_ifIXsr10test_utilsE35device_test_enabled_for_warp_size_vIXT1_EEEvE4typeEPT_S4_S4_S3_
                                        ; -- End function
	.set _Z33warp_exclusive_scan_reduce_kernelIiLj30ELj3EENSt9enable_ifIXsr10test_utilsE35device_test_enabled_for_warp_size_vIXT1_EEEvE4typeEPT_S4_S4_S3_.num_vgpr, 11
	.set _Z33warp_exclusive_scan_reduce_kernelIiLj30ELj3EENSt9enable_ifIXsr10test_utilsE35device_test_enabled_for_warp_size_vIXT1_EEEvE4typeEPT_S4_S4_S3_.num_agpr, 0
	.set _Z33warp_exclusive_scan_reduce_kernelIiLj30ELj3EENSt9enable_ifIXsr10test_utilsE35device_test_enabled_for_warp_size_vIXT1_EEEvE4typeEPT_S4_S4_S3_.numbered_sgpr, 10
	.set _Z33warp_exclusive_scan_reduce_kernelIiLj30ELj3EENSt9enable_ifIXsr10test_utilsE35device_test_enabled_for_warp_size_vIXT1_EEEvE4typeEPT_S4_S4_S3_.num_named_barrier, 0
	.set _Z33warp_exclusive_scan_reduce_kernelIiLj30ELj3EENSt9enable_ifIXsr10test_utilsE35device_test_enabled_for_warp_size_vIXT1_EEEvE4typeEPT_S4_S4_S3_.private_seg_size, 0
	.set _Z33warp_exclusive_scan_reduce_kernelIiLj30ELj3EENSt9enable_ifIXsr10test_utilsE35device_test_enabled_for_warp_size_vIXT1_EEEvE4typeEPT_S4_S4_S3_.uses_vcc, 1
	.set _Z33warp_exclusive_scan_reduce_kernelIiLj30ELj3EENSt9enable_ifIXsr10test_utilsE35device_test_enabled_for_warp_size_vIXT1_EEEvE4typeEPT_S4_S4_S3_.uses_flat_scratch, 0
	.set _Z33warp_exclusive_scan_reduce_kernelIiLj30ELj3EENSt9enable_ifIXsr10test_utilsE35device_test_enabled_for_warp_size_vIXT1_EEEvE4typeEPT_S4_S4_S3_.has_dyn_sized_stack, 0
	.set _Z33warp_exclusive_scan_reduce_kernelIiLj30ELj3EENSt9enable_ifIXsr10test_utilsE35device_test_enabled_for_warp_size_vIXT1_EEEvE4typeEPT_S4_S4_S3_.has_recursion, 0
	.set _Z33warp_exclusive_scan_reduce_kernelIiLj30ELj3EENSt9enable_ifIXsr10test_utilsE35device_test_enabled_for_warp_size_vIXT1_EEEvE4typeEPT_S4_S4_S3_.has_indirect_call, 0
	.section	.AMDGPU.csdata,"",@progbits
; Kernel info:
; codeLenInByte = 400
; TotalNumSgprs: 14
; NumVgprs: 11
; ScratchSize: 0
; MemoryBound: 0
; FloatMode: 240
; IeeeMode: 1
; LDSByteSize: 120 bytes/workgroup (compile time only)
; SGPRBlocks: 1
; VGPRBlocks: 2
; NumSGPRsForWavesPerEU: 14
; NumVGPRsForWavesPerEU: 11
; Occupancy: 10
; WaveLimiterHint : 0
; COMPUTE_PGM_RSRC2:SCRATCH_EN: 0
; COMPUTE_PGM_RSRC2:USER_SGPR: 6
; COMPUTE_PGM_RSRC2:TRAP_HANDLER: 0
; COMPUTE_PGM_RSRC2:TGID_X_EN: 1
; COMPUTE_PGM_RSRC2:TGID_Y_EN: 0
; COMPUTE_PGM_RSRC2:TGID_Z_EN: 0
; COMPUTE_PGM_RSRC2:TIDIG_COMP_CNT: 0
	.section	.text._Z33warp_exclusive_scan_reduce_kernelIiLj63ELj3EENSt9enable_ifIXsr10test_utilsE35device_test_enabled_for_warp_size_vIXT1_EEEvE4typeEPT_S4_S4_S3_,"axG",@progbits,_Z33warp_exclusive_scan_reduce_kernelIiLj63ELj3EENSt9enable_ifIXsr10test_utilsE35device_test_enabled_for_warp_size_vIXT1_EEEvE4typeEPT_S4_S4_S3_,comdat
	.protected	_Z33warp_exclusive_scan_reduce_kernelIiLj63ELj3EENSt9enable_ifIXsr10test_utilsE35device_test_enabled_for_warp_size_vIXT1_EEEvE4typeEPT_S4_S4_S3_ ; -- Begin function _Z33warp_exclusive_scan_reduce_kernelIiLj63ELj3EENSt9enable_ifIXsr10test_utilsE35device_test_enabled_for_warp_size_vIXT1_EEEvE4typeEPT_S4_S4_S3_
	.globl	_Z33warp_exclusive_scan_reduce_kernelIiLj63ELj3EENSt9enable_ifIXsr10test_utilsE35device_test_enabled_for_warp_size_vIXT1_EEEvE4typeEPT_S4_S4_S3_
	.p2align	8
	.type	_Z33warp_exclusive_scan_reduce_kernelIiLj63ELj3EENSt9enable_ifIXsr10test_utilsE35device_test_enabled_for_warp_size_vIXT1_EEEvE4typeEPT_S4_S4_S3_,@function
_Z33warp_exclusive_scan_reduce_kernelIiLj63ELj3EENSt9enable_ifIXsr10test_utilsE35device_test_enabled_for_warp_size_vIXT1_EEEvE4typeEPT_S4_S4_S3_: ; @_Z33warp_exclusive_scan_reduce_kernelIiLj63ELj3EENSt9enable_ifIXsr10test_utilsE35device_test_enabled_for_warp_size_vIXT1_EEEvE4typeEPT_S4_S4_S3_
; %bb.0:
	s_load_dword s7, s[4:5], 0x2c
	s_load_dwordx4 s[0:3], s[4:5], 0x0
	v_mov_b32_e32 v2, 0
	s_waitcnt lgkmcnt(0)
	s_and_b32 s7, s7, 0xffff
	s_mul_i32 s6, s6, s7
	v_add_u32_e32 v1, s6, v0
	v_lshlrev_b64 v[2:3], 2, v[1:2]
	v_mov_b32_e32 v5, s1
	v_add_co_u32_e32 v4, vcc, s0, v2
	v_addc_co_u32_e32 v5, vcc, v5, v3, vcc
	global_load_dword v5, v[4:5], off
	v_mbcnt_lo_u32_b32 v4, -1, 0
	s_mov_b32 s0, 0x55555556
	v_mbcnt_hi_u32_b32 v6, -1, v4
	v_mul_hi_u32 v7, v6, s0
	v_mul_u32_u24_e32 v4, 0x5556, v0
	v_lshrrev_b32_e32 v4, 16, v4
	v_mul_u32_u24_e32 v7, 3, v7
	v_sub_u32_e32 v8, v6, v7
	v_lshlrev_b32_e32 v6, 2, v8
	v_mad_u32_u24 v7, v4, 12, v6
	v_cmp_ne_u32_e32 vcc, 0, v8
	v_add_u32_e32 v6, -4, v7
	s_waitcnt vmcnt(0)
	ds_write_b32 v7, v5
	; wave barrier
	s_and_saveexec_b64 s[0:1], vcc
	s_cbranch_execz .LBB187_2
; %bb.1:
	ds_read_b32 v9, v6
	s_waitcnt lgkmcnt(0)
	v_add_u32_e32 v5, v9, v5
.LBB187_2:
	s_or_b64 exec, exec, s[0:1]
	s_load_dwordx2 s[6:7], s[4:5], 0x10
	v_mul_u32_u24_e32 v9, 12, v4
	; wave barrier
	s_and_saveexec_b64 s[0:1], vcc
; %bb.3:
	ds_write_b32 v7, v5
; %bb.4:
	s_or_b64 exec, exec, s[0:1]
	; wave barrier
	ds_read_b32 v10, v9
	v_cmp_lt_u32_e64 s[0:1], 1, v8
	; wave barrier
	s_and_saveexec_b64 s[8:9], s[0:1]
	s_cbranch_execz .LBB187_6
; %bb.5:
	s_waitcnt lgkmcnt(0)
	v_add_u32_e32 v5, v10, v5
	ds_write_b32 v7, v5
.LBB187_6:
	s_or_b64 exec, exec, s[8:9]
	s_load_dword s4, s[4:5], 0x18
	; wave barrier
	ds_read_b32 v5, v9 offset:8
	s_waitcnt lgkmcnt(0)
	v_mov_b32_e32 v7, s4
	s_and_saveexec_b64 s[0:1], vcc
	s_cbranch_execz .LBB187_8
; %bb.7:
	ds_read_b32 v6, v6
	s_waitcnt lgkmcnt(0)
	v_add_u32_e32 v7, s4, v6
.LBB187_8:
	s_or_b64 exec, exec, s[0:1]
	v_mov_b32_e32 v6, s3
	v_add_co_u32_e32 v2, vcc, s2, v2
	v_addc_co_u32_e32 v3, vcc, v6, v3, vcc
	global_store_dword v[2:3], v7, off
	v_mul_lo_u16_e32 v2, 3, v4
	v_sub_u16_e32 v0, v0, v2
	v_cmp_eq_u16_e32 vcc, 0, v0
	s_and_saveexec_b64 s[0:1], vcc
	s_cbranch_execz .LBB187_10
; %bb.9:
	s_mov_b32 s0, 0xaaaaaaab
	v_mul_hi_u32 v0, v1, s0
	v_mov_b32_e32 v1, 0
	v_mov_b32_e32 v2, s7
	v_lshrrev_b32_e32 v0, 1, v0
	v_lshlrev_b64 v[0:1], 2, v[0:1]
	v_add_co_u32_e32 v0, vcc, s6, v0
	v_addc_co_u32_e32 v1, vcc, v2, v1, vcc
	global_store_dword v[0:1], v5, off
.LBB187_10:
	s_endpgm
	.section	.rodata,"a",@progbits
	.p2align	6, 0x0
	.amdhsa_kernel _Z33warp_exclusive_scan_reduce_kernelIiLj63ELj3EENSt9enable_ifIXsr10test_utilsE35device_test_enabled_for_warp_size_vIXT1_EEEvE4typeEPT_S4_S4_S3_
		.amdhsa_group_segment_fixed_size 252
		.amdhsa_private_segment_fixed_size 0
		.amdhsa_kernarg_size 288
		.amdhsa_user_sgpr_count 6
		.amdhsa_user_sgpr_private_segment_buffer 1
		.amdhsa_user_sgpr_dispatch_ptr 0
		.amdhsa_user_sgpr_queue_ptr 0
		.amdhsa_user_sgpr_kernarg_segment_ptr 1
		.amdhsa_user_sgpr_dispatch_id 0
		.amdhsa_user_sgpr_flat_scratch_init 0
		.amdhsa_user_sgpr_private_segment_size 0
		.amdhsa_uses_dynamic_stack 0
		.amdhsa_system_sgpr_private_segment_wavefront_offset 0
		.amdhsa_system_sgpr_workgroup_id_x 1
		.amdhsa_system_sgpr_workgroup_id_y 0
		.amdhsa_system_sgpr_workgroup_id_z 0
		.amdhsa_system_sgpr_workgroup_info 0
		.amdhsa_system_vgpr_workitem_id 0
		.amdhsa_next_free_vgpr 11
		.amdhsa_next_free_sgpr 10
		.amdhsa_reserve_vcc 1
		.amdhsa_reserve_flat_scratch 0
		.amdhsa_float_round_mode_32 0
		.amdhsa_float_round_mode_16_64 0
		.amdhsa_float_denorm_mode_32 3
		.amdhsa_float_denorm_mode_16_64 3
		.amdhsa_dx10_clamp 1
		.amdhsa_ieee_mode 1
		.amdhsa_fp16_overflow 0
		.amdhsa_exception_fp_ieee_invalid_op 0
		.amdhsa_exception_fp_denorm_src 0
		.amdhsa_exception_fp_ieee_div_zero 0
		.amdhsa_exception_fp_ieee_overflow 0
		.amdhsa_exception_fp_ieee_underflow 0
		.amdhsa_exception_fp_ieee_inexact 0
		.amdhsa_exception_int_div_zero 0
	.end_amdhsa_kernel
	.section	.text._Z33warp_exclusive_scan_reduce_kernelIiLj63ELj3EENSt9enable_ifIXsr10test_utilsE35device_test_enabled_for_warp_size_vIXT1_EEEvE4typeEPT_S4_S4_S3_,"axG",@progbits,_Z33warp_exclusive_scan_reduce_kernelIiLj63ELj3EENSt9enable_ifIXsr10test_utilsE35device_test_enabled_for_warp_size_vIXT1_EEEvE4typeEPT_S4_S4_S3_,comdat
.Lfunc_end187:
	.size	_Z33warp_exclusive_scan_reduce_kernelIiLj63ELj3EENSt9enable_ifIXsr10test_utilsE35device_test_enabled_for_warp_size_vIXT1_EEEvE4typeEPT_S4_S4_S3_, .Lfunc_end187-_Z33warp_exclusive_scan_reduce_kernelIiLj63ELj3EENSt9enable_ifIXsr10test_utilsE35device_test_enabled_for_warp_size_vIXT1_EEEvE4typeEPT_S4_S4_S3_
                                        ; -- End function
	.set _Z33warp_exclusive_scan_reduce_kernelIiLj63ELj3EENSt9enable_ifIXsr10test_utilsE35device_test_enabled_for_warp_size_vIXT1_EEEvE4typeEPT_S4_S4_S3_.num_vgpr, 11
	.set _Z33warp_exclusive_scan_reduce_kernelIiLj63ELj3EENSt9enable_ifIXsr10test_utilsE35device_test_enabled_for_warp_size_vIXT1_EEEvE4typeEPT_S4_S4_S3_.num_agpr, 0
	.set _Z33warp_exclusive_scan_reduce_kernelIiLj63ELj3EENSt9enable_ifIXsr10test_utilsE35device_test_enabled_for_warp_size_vIXT1_EEEvE4typeEPT_S4_S4_S3_.numbered_sgpr, 10
	.set _Z33warp_exclusive_scan_reduce_kernelIiLj63ELj3EENSt9enable_ifIXsr10test_utilsE35device_test_enabled_for_warp_size_vIXT1_EEEvE4typeEPT_S4_S4_S3_.num_named_barrier, 0
	.set _Z33warp_exclusive_scan_reduce_kernelIiLj63ELj3EENSt9enable_ifIXsr10test_utilsE35device_test_enabled_for_warp_size_vIXT1_EEEvE4typeEPT_S4_S4_S3_.private_seg_size, 0
	.set _Z33warp_exclusive_scan_reduce_kernelIiLj63ELj3EENSt9enable_ifIXsr10test_utilsE35device_test_enabled_for_warp_size_vIXT1_EEEvE4typeEPT_S4_S4_S3_.uses_vcc, 1
	.set _Z33warp_exclusive_scan_reduce_kernelIiLj63ELj3EENSt9enable_ifIXsr10test_utilsE35device_test_enabled_for_warp_size_vIXT1_EEEvE4typeEPT_S4_S4_S3_.uses_flat_scratch, 0
	.set _Z33warp_exclusive_scan_reduce_kernelIiLj63ELj3EENSt9enable_ifIXsr10test_utilsE35device_test_enabled_for_warp_size_vIXT1_EEEvE4typeEPT_S4_S4_S3_.has_dyn_sized_stack, 0
	.set _Z33warp_exclusive_scan_reduce_kernelIiLj63ELj3EENSt9enable_ifIXsr10test_utilsE35device_test_enabled_for_warp_size_vIXT1_EEEvE4typeEPT_S4_S4_S3_.has_recursion, 0
	.set _Z33warp_exclusive_scan_reduce_kernelIiLj63ELj3EENSt9enable_ifIXsr10test_utilsE35device_test_enabled_for_warp_size_vIXT1_EEEvE4typeEPT_S4_S4_S3_.has_indirect_call, 0
	.section	.AMDGPU.csdata,"",@progbits
; Kernel info:
; codeLenInByte = 400
; TotalNumSgprs: 14
; NumVgprs: 11
; ScratchSize: 0
; MemoryBound: 0
; FloatMode: 240
; IeeeMode: 1
; LDSByteSize: 252 bytes/workgroup (compile time only)
; SGPRBlocks: 1
; VGPRBlocks: 2
; NumSGPRsForWavesPerEU: 14
; NumVGPRsForWavesPerEU: 11
; Occupancy: 10
; WaveLimiterHint : 0
; COMPUTE_PGM_RSRC2:SCRATCH_EN: 0
; COMPUTE_PGM_RSRC2:USER_SGPR: 6
; COMPUTE_PGM_RSRC2:TRAP_HANDLER: 0
; COMPUTE_PGM_RSRC2:TGID_X_EN: 1
; COMPUTE_PGM_RSRC2:TGID_Y_EN: 0
; COMPUTE_PGM_RSRC2:TGID_Z_EN: 0
; COMPUTE_PGM_RSRC2:TIDIG_COMP_CNT: 0
	.section	.text._Z33warp_exclusive_scan_reduce_kernelI12hip_bfloat16Lj256ELj64EENSt9enable_ifIXsr10test_utilsE35device_test_enabled_for_warp_size_vIXT1_EEEvE4typeEPT_S5_S5_S4_,"axG",@progbits,_Z33warp_exclusive_scan_reduce_kernelI12hip_bfloat16Lj256ELj64EENSt9enable_ifIXsr10test_utilsE35device_test_enabled_for_warp_size_vIXT1_EEEvE4typeEPT_S5_S5_S4_,comdat
	.protected	_Z33warp_exclusive_scan_reduce_kernelI12hip_bfloat16Lj256ELj64EENSt9enable_ifIXsr10test_utilsE35device_test_enabled_for_warp_size_vIXT1_EEEvE4typeEPT_S5_S5_S4_ ; -- Begin function _Z33warp_exclusive_scan_reduce_kernelI12hip_bfloat16Lj256ELj64EENSt9enable_ifIXsr10test_utilsE35device_test_enabled_for_warp_size_vIXT1_EEEvE4typeEPT_S5_S5_S4_
	.globl	_Z33warp_exclusive_scan_reduce_kernelI12hip_bfloat16Lj256ELj64EENSt9enable_ifIXsr10test_utilsE35device_test_enabled_for_warp_size_vIXT1_EEEvE4typeEPT_S5_S5_S4_
	.p2align	8
	.type	_Z33warp_exclusive_scan_reduce_kernelI12hip_bfloat16Lj256ELj64EENSt9enable_ifIXsr10test_utilsE35device_test_enabled_for_warp_size_vIXT1_EEEvE4typeEPT_S5_S5_S4_,@function
_Z33warp_exclusive_scan_reduce_kernelI12hip_bfloat16Lj256ELj64EENSt9enable_ifIXsr10test_utilsE35device_test_enabled_for_warp_size_vIXT1_EEEvE4typeEPT_S5_S5_S4_: ; @_Z33warp_exclusive_scan_reduce_kernelI12hip_bfloat16Lj256ELj64EENSt9enable_ifIXsr10test_utilsE35device_test_enabled_for_warp_size_vIXT1_EEEvE4typeEPT_S5_S5_S4_
; %bb.0:
	s_load_dword s7, s[4:5], 0x2c
	s_load_dwordx4 s[0:3], s[4:5], 0x0
	v_mov_b32_e32 v2, 0
                                        ; implicit-def: $vgpr8
	s_waitcnt lgkmcnt(0)
	s_and_b32 s7, s7, 0xffff
	s_mul_i32 s6, s6, s7
	v_add_u32_e32 v1, s6, v0
	v_lshlrev_b64 v[2:3], 1, v[1:2]
	v_mov_b32_e32 v5, s1
	v_add_co_u32_e32 v4, vcc, s0, v2
	v_addc_co_u32_e32 v5, vcc, v5, v3, vcc
	global_load_ushort v6, v[4:5], off
	s_mov_b32 s0, 0x7f800000
	s_waitcnt vmcnt(0)
	v_lshlrev_b32_e32 v7, 16, v6
	v_mov_b32_dpp v4, v6 row_shr:1 row_mask:0xf bank_mask:0xf
	v_lshlrev_b32_e32 v4, 16, v4
	v_add_f32_e32 v4, v7, v4
	v_and_b32_e32 v5, 0x7f800000, v4
	v_cmp_ne_u32_e32 vcc, s0, v5
	s_and_saveexec_b64 s[0:1], vcc
	s_xor_b64 s[0:1], exec, s[0:1]
; %bb.1:
	v_bfe_u32 v5, v4, 16, 1
	s_movk_i32 s6, 0x7fff
	v_add3_u32 v8, v4, v5, s6
                                        ; implicit-def: $vgpr4
; %bb.2:
	s_andn2_saveexec_b64 s[0:1], s[0:1]
; %bb.3:
	v_mov_b32_e32 v5, 0
	v_or_b32_e32 v8, 0x10000, v4
	v_cmp_eq_u32_sdwa vcc, v4, v5 src0_sel:WORD_0 src1_sel:DWORD
	v_cndmask_b32_e32 v8, v8, v4, vcc
; %bb.4:
	s_or_b64 exec, exec, s[0:1]
	v_mbcnt_lo_u32_b32 v4, -1, 0
	v_mbcnt_hi_u32_b32 v4, -1, v4
	v_and_b32_e32 v5, 15, v4
	v_and_b32_e32 v9, 0xffff0000, v8
	v_lshrrev_b32_e32 v8, 16, v8
	v_cmp_eq_u32_e32 vcc, 0, v5
	v_cndmask_b32_e32 v6, v8, v6, vcc
	v_cndmask_b32_e32 v7, v9, v7, vcc
	s_mov_b32 s0, 0x7f800000
	v_mov_b32_dpp v8, v6 row_shr:2 row_mask:0xf bank_mask:0xf
	v_lshlrev_b32_e32 v8, 16, v8
	v_add_f32_e32 v8, v7, v8
	v_and_b32_e32 v9, 0x7f800000, v8
	v_cmp_ne_u32_e32 vcc, s0, v9
                                        ; implicit-def: $vgpr9
	s_and_saveexec_b64 s[0:1], vcc
	s_xor_b64 s[0:1], exec, s[0:1]
; %bb.5:
	v_bfe_u32 v9, v8, 16, 1
	s_movk_i32 s6, 0x7fff
	v_add3_u32 v9, v8, v9, s6
                                        ; implicit-def: $vgpr8
; %bb.6:
	s_andn2_saveexec_b64 s[0:1], s[0:1]
; %bb.7:
	v_mov_b32_e32 v9, 0
	v_or_b32_e32 v10, 0x10000, v8
	v_cmp_eq_u32_sdwa vcc, v8, v9 src0_sel:WORD_0 src1_sel:DWORD
	v_cndmask_b32_e32 v9, v10, v8, vcc
; %bb.8:
	s_or_b64 exec, exec, s[0:1]
	v_and_b32_e32 v8, 0xffff0000, v9
	v_lshrrev_b32_e32 v9, 16, v9
	v_cmp_lt_u32_e32 vcc, 1, v5
	v_cndmask_b32_e32 v6, v6, v9, vcc
	v_cndmask_b32_e32 v7, v7, v8, vcc
	s_mov_b32 s0, 0x7f800000
	v_mov_b32_dpp v8, v6 row_shr:4 row_mask:0xf bank_mask:0xf
	v_lshlrev_b32_e32 v8, 16, v8
	v_add_f32_e32 v8, v7, v8
	v_and_b32_e32 v9, 0x7f800000, v8
	v_cmp_ne_u32_e32 vcc, s0, v9
                                        ; implicit-def: $vgpr9
	s_and_saveexec_b64 s[0:1], vcc
	s_xor_b64 s[0:1], exec, s[0:1]
; %bb.9:
	v_bfe_u32 v9, v8, 16, 1
	s_movk_i32 s6, 0x7fff
	v_add3_u32 v9, v8, v9, s6
                                        ; implicit-def: $vgpr8
; %bb.10:
	s_andn2_saveexec_b64 s[0:1], s[0:1]
; %bb.11:
	v_mov_b32_e32 v9, 0
	v_or_b32_e32 v10, 0x10000, v8
	v_cmp_eq_u32_sdwa vcc, v8, v9 src0_sel:WORD_0 src1_sel:DWORD
	v_cndmask_b32_e32 v9, v10, v8, vcc
; %bb.12:
	s_or_b64 exec, exec, s[0:1]
	v_and_b32_e32 v8, 0xffff0000, v9
	v_lshrrev_b32_e32 v9, 16, v9
	v_cmp_lt_u32_e32 vcc, 3, v5
	;; [unrolled: 28-line block ×3, first 2 shown]
	v_cndmask_b32_e32 v6, v6, v9, vcc
	v_cndmask_b32_e32 v5, v7, v8, vcc
	s_mov_b32 s0, 0x7f800000
	v_mov_b32_dpp v7, v6 row_bcast:15 row_mask:0xf bank_mask:0xf
	v_lshlrev_b32_e32 v7, 16, v7
	v_add_f32_e32 v7, v5, v7
	v_and_b32_e32 v8, 0x7f800000, v7
	v_cmp_ne_u32_e32 vcc, s0, v8
                                        ; implicit-def: $vgpr8
	s_and_saveexec_b64 s[0:1], vcc
	s_xor_b64 s[0:1], exec, s[0:1]
; %bb.17:
	v_bfe_u32 v8, v7, 16, 1
	s_movk_i32 s6, 0x7fff
	v_add3_u32 v8, v7, v8, s6
                                        ; implicit-def: $vgpr7
; %bb.18:
	s_andn2_saveexec_b64 s[0:1], s[0:1]
; %bb.19:
	v_mov_b32_e32 v8, 0
	v_or_b32_e32 v9, 0x10000, v7
	v_cmp_eq_u32_sdwa vcc, v7, v8 src0_sel:WORD_0 src1_sel:DWORD
	v_cndmask_b32_e32 v8, v9, v7, vcc
; %bb.20:
	s_or_b64 exec, exec, s[0:1]
	v_and_b32_e32 v7, 16, v4
	v_and_b32_e32 v9, 0xffff0000, v8
	v_lshrrev_b32_e32 v8, 16, v8
	v_cmp_eq_u32_e32 vcc, 0, v7
	v_cndmask_b32_e32 v7, v9, v5, vcc
	v_cndmask_b32_e32 v5, v8, v6, vcc
	s_mov_b32 s0, 0x7f800000
	s_nop 0
	v_mov_b32_dpp v6, v5 row_bcast:31 row_mask:0xf bank_mask:0xf
	v_lshlrev_b32_e32 v6, 16, v6
	v_add_f32_e32 v6, v7, v6
	v_and_b32_e32 v7, 0x7f800000, v6
	v_cmp_ne_u32_e32 vcc, s0, v7
                                        ; implicit-def: $vgpr7
	s_and_saveexec_b64 s[0:1], vcc
	s_xor_b64 s[0:1], exec, s[0:1]
; %bb.21:
	v_bfe_u32 v7, v6, 16, 1
	s_movk_i32 s6, 0x7fff
	v_add3_u32 v7, v6, v7, s6
                                        ; implicit-def: $vgpr6
; %bb.22:
	s_or_saveexec_b64 s[0:1], s[0:1]
	s_load_dwordx2 s[6:7], s[4:5], 0x10
	s_xor_b64 exec, exec, s[0:1]
; %bb.23:
	v_mov_b32_e32 v7, 0
	v_or_b32_e32 v8, 0x10000, v6
	v_cmp_eq_u32_sdwa vcc, v6, v7 src0_sel:WORD_0 src1_sel:DWORD
	v_cndmask_b32_e32 v7, v8, v6, vcc
; %bb.24:
	s_or_b64 exec, exec, s[0:1]
	s_load_dword s4, s[4:5], 0x18
	v_cmp_lt_u32_e32 vcc, 31, v4
	v_cndmask_b32_sdwa v6, v5, v7, vcc dst_sel:DWORD dst_unused:UNUSED_PAD src0_sel:DWORD src1_sel:WORD_1
	v_bfrev_b32_e32 v5, 0.5
	v_lshl_or_b32 v5, v4, 2, v5
	v_and_b32_e32 v7, 0xffff, v6
	ds_bpermute_b32 v5, v5, v7
	s_waitcnt lgkmcnt(0)
	s_lshl_b32 s0, s4, 16
	v_lshlrev_b32_e32 v6, 16, v6
	v_add_f32_e32 v6, s0, v6
	s_mov_b32 s0, 0x7f800000
	v_and_b32_e32 v7, 0x7f800000, v6
	v_cmp_ne_u32_e32 vcc, s0, v7
                                        ; implicit-def: $vgpr7
	s_and_saveexec_b64 s[0:1], vcc
	s_xor_b64 s[0:1], exec, s[0:1]
; %bb.25:
	v_bfe_u32 v7, v6, 16, 1
	s_movk_i32 s5, 0x7fff
	v_add3_u32 v7, v6, v7, s5
                                        ; implicit-def: $vgpr6
; %bb.26:
	s_andn2_saveexec_b64 s[0:1], s[0:1]
; %bb.27:
	v_mov_b32_e32 v7, 0
	v_or_b32_e32 v8, 0x10000, v6
	v_cmp_eq_u32_sdwa vcc, v6, v7 src0_sel:WORD_0 src1_sel:DWORD
	v_cndmask_b32_e32 v7, v8, v6, vcc
; %bb.28:
	s_or_b64 exec, exec, s[0:1]
	v_and_b32_e32 v6, 64, v4
	v_subrev_co_u32_e32 v9, vcc, 1, v4
	v_cmp_lt_i32_e64 s[0:1], v9, v6
	v_cndmask_b32_e64 v4, v9, v4, s[0:1]
	v_lshrrev_b32_e32 v7, 16, v7
	v_lshlrev_b32_e32 v4, 2, v4
	ds_bpermute_b32 v4, v4, v7
	v_mov_b32_e32 v8, s4
	v_mov_b32_e32 v6, s3
	v_and_b32_e32 v0, 63, v0
	s_waitcnt lgkmcnt(0)
	v_cndmask_b32_e32 v4, v4, v8, vcc
	v_add_co_u32_e32 v2, vcc, s2, v2
	v_addc_co_u32_e32 v3, vcc, v6, v3, vcc
	v_cmp_eq_u32_e32 vcc, 0, v0
	global_store_short v[2:3], v4, off
	s_and_saveexec_b64 s[0:1], vcc
	s_cbranch_execz .LBB188_30
; %bb.29:
	v_lshrrev_b32_e32 v0, 5, v1
	v_and_b32_e32 v0, 0x7fffffe, v0
	global_store_short v0, v5, s[6:7]
.LBB188_30:
	s_endpgm
	.section	.rodata,"a",@progbits
	.p2align	6, 0x0
	.amdhsa_kernel _Z33warp_exclusive_scan_reduce_kernelI12hip_bfloat16Lj256ELj64EENSt9enable_ifIXsr10test_utilsE35device_test_enabled_for_warp_size_vIXT1_EEEvE4typeEPT_S5_S5_S4_
		.amdhsa_group_segment_fixed_size 0
		.amdhsa_private_segment_fixed_size 0
		.amdhsa_kernarg_size 288
		.amdhsa_user_sgpr_count 6
		.amdhsa_user_sgpr_private_segment_buffer 1
		.amdhsa_user_sgpr_dispatch_ptr 0
		.amdhsa_user_sgpr_queue_ptr 0
		.amdhsa_user_sgpr_kernarg_segment_ptr 1
		.amdhsa_user_sgpr_dispatch_id 0
		.amdhsa_user_sgpr_flat_scratch_init 0
		.amdhsa_user_sgpr_private_segment_size 0
		.amdhsa_uses_dynamic_stack 0
		.amdhsa_system_sgpr_private_segment_wavefront_offset 0
		.amdhsa_system_sgpr_workgroup_id_x 1
		.amdhsa_system_sgpr_workgroup_id_y 0
		.amdhsa_system_sgpr_workgroup_id_z 0
		.amdhsa_system_sgpr_workgroup_info 0
		.amdhsa_system_vgpr_workitem_id 0
		.amdhsa_next_free_vgpr 11
		.amdhsa_next_free_sgpr 8
		.amdhsa_reserve_vcc 1
		.amdhsa_reserve_flat_scratch 0
		.amdhsa_float_round_mode_32 0
		.amdhsa_float_round_mode_16_64 0
		.amdhsa_float_denorm_mode_32 3
		.amdhsa_float_denorm_mode_16_64 3
		.amdhsa_dx10_clamp 1
		.amdhsa_ieee_mode 1
		.amdhsa_fp16_overflow 0
		.amdhsa_exception_fp_ieee_invalid_op 0
		.amdhsa_exception_fp_denorm_src 0
		.amdhsa_exception_fp_ieee_div_zero 0
		.amdhsa_exception_fp_ieee_overflow 0
		.amdhsa_exception_fp_ieee_underflow 0
		.amdhsa_exception_fp_ieee_inexact 0
		.amdhsa_exception_int_div_zero 0
	.end_amdhsa_kernel
	.section	.text._Z33warp_exclusive_scan_reduce_kernelI12hip_bfloat16Lj256ELj64EENSt9enable_ifIXsr10test_utilsE35device_test_enabled_for_warp_size_vIXT1_EEEvE4typeEPT_S5_S5_S4_,"axG",@progbits,_Z33warp_exclusive_scan_reduce_kernelI12hip_bfloat16Lj256ELj64EENSt9enable_ifIXsr10test_utilsE35device_test_enabled_for_warp_size_vIXT1_EEEvE4typeEPT_S5_S5_S4_,comdat
.Lfunc_end188:
	.size	_Z33warp_exclusive_scan_reduce_kernelI12hip_bfloat16Lj256ELj64EENSt9enable_ifIXsr10test_utilsE35device_test_enabled_for_warp_size_vIXT1_EEEvE4typeEPT_S5_S5_S4_, .Lfunc_end188-_Z33warp_exclusive_scan_reduce_kernelI12hip_bfloat16Lj256ELj64EENSt9enable_ifIXsr10test_utilsE35device_test_enabled_for_warp_size_vIXT1_EEEvE4typeEPT_S5_S5_S4_
                                        ; -- End function
	.set _Z33warp_exclusive_scan_reduce_kernelI12hip_bfloat16Lj256ELj64EENSt9enable_ifIXsr10test_utilsE35device_test_enabled_for_warp_size_vIXT1_EEEvE4typeEPT_S5_S5_S4_.num_vgpr, 11
	.set _Z33warp_exclusive_scan_reduce_kernelI12hip_bfloat16Lj256ELj64EENSt9enable_ifIXsr10test_utilsE35device_test_enabled_for_warp_size_vIXT1_EEEvE4typeEPT_S5_S5_S4_.num_agpr, 0
	.set _Z33warp_exclusive_scan_reduce_kernelI12hip_bfloat16Lj256ELj64EENSt9enable_ifIXsr10test_utilsE35device_test_enabled_for_warp_size_vIXT1_EEEvE4typeEPT_S5_S5_S4_.numbered_sgpr, 8
	.set _Z33warp_exclusive_scan_reduce_kernelI12hip_bfloat16Lj256ELj64EENSt9enable_ifIXsr10test_utilsE35device_test_enabled_for_warp_size_vIXT1_EEEvE4typeEPT_S5_S5_S4_.num_named_barrier, 0
	.set _Z33warp_exclusive_scan_reduce_kernelI12hip_bfloat16Lj256ELj64EENSt9enable_ifIXsr10test_utilsE35device_test_enabled_for_warp_size_vIXT1_EEEvE4typeEPT_S5_S5_S4_.private_seg_size, 0
	.set _Z33warp_exclusive_scan_reduce_kernelI12hip_bfloat16Lj256ELj64EENSt9enable_ifIXsr10test_utilsE35device_test_enabled_for_warp_size_vIXT1_EEEvE4typeEPT_S5_S5_S4_.uses_vcc, 1
	.set _Z33warp_exclusive_scan_reduce_kernelI12hip_bfloat16Lj256ELj64EENSt9enable_ifIXsr10test_utilsE35device_test_enabled_for_warp_size_vIXT1_EEEvE4typeEPT_S5_S5_S4_.uses_flat_scratch, 0
	.set _Z33warp_exclusive_scan_reduce_kernelI12hip_bfloat16Lj256ELj64EENSt9enable_ifIXsr10test_utilsE35device_test_enabled_for_warp_size_vIXT1_EEEvE4typeEPT_S5_S5_S4_.has_dyn_sized_stack, 0
	.set _Z33warp_exclusive_scan_reduce_kernelI12hip_bfloat16Lj256ELj64EENSt9enable_ifIXsr10test_utilsE35device_test_enabled_for_warp_size_vIXT1_EEEvE4typeEPT_S5_S5_S4_.has_recursion, 0
	.set _Z33warp_exclusive_scan_reduce_kernelI12hip_bfloat16Lj256ELj64EENSt9enable_ifIXsr10test_utilsE35device_test_enabled_for_warp_size_vIXT1_EEEvE4typeEPT_S5_S5_S4_.has_indirect_call, 0
	.section	.AMDGPU.csdata,"",@progbits
; Kernel info:
; codeLenInByte = 1068
; TotalNumSgprs: 12
; NumVgprs: 11
; ScratchSize: 0
; MemoryBound: 0
; FloatMode: 240
; IeeeMode: 1
; LDSByteSize: 0 bytes/workgroup (compile time only)
; SGPRBlocks: 1
; VGPRBlocks: 2
; NumSGPRsForWavesPerEU: 12
; NumVGPRsForWavesPerEU: 11
; Occupancy: 10
; WaveLimiterHint : 0
; COMPUTE_PGM_RSRC2:SCRATCH_EN: 0
; COMPUTE_PGM_RSRC2:USER_SGPR: 6
; COMPUTE_PGM_RSRC2:TRAP_HANDLER: 0
; COMPUTE_PGM_RSRC2:TGID_X_EN: 1
; COMPUTE_PGM_RSRC2:TGID_Y_EN: 0
; COMPUTE_PGM_RSRC2:TGID_Z_EN: 0
; COMPUTE_PGM_RSRC2:TIDIG_COMP_CNT: 0
	.section	.text._Z33warp_exclusive_scan_reduce_kernelI12hip_bfloat16Lj128ELj32EENSt9enable_ifIXsr10test_utilsE35device_test_enabled_for_warp_size_vIXT1_EEEvE4typeEPT_S5_S5_S4_,"axG",@progbits,_Z33warp_exclusive_scan_reduce_kernelI12hip_bfloat16Lj128ELj32EENSt9enable_ifIXsr10test_utilsE35device_test_enabled_for_warp_size_vIXT1_EEEvE4typeEPT_S5_S5_S4_,comdat
	.protected	_Z33warp_exclusive_scan_reduce_kernelI12hip_bfloat16Lj128ELj32EENSt9enable_ifIXsr10test_utilsE35device_test_enabled_for_warp_size_vIXT1_EEEvE4typeEPT_S5_S5_S4_ ; -- Begin function _Z33warp_exclusive_scan_reduce_kernelI12hip_bfloat16Lj128ELj32EENSt9enable_ifIXsr10test_utilsE35device_test_enabled_for_warp_size_vIXT1_EEEvE4typeEPT_S5_S5_S4_
	.globl	_Z33warp_exclusive_scan_reduce_kernelI12hip_bfloat16Lj128ELj32EENSt9enable_ifIXsr10test_utilsE35device_test_enabled_for_warp_size_vIXT1_EEEvE4typeEPT_S5_S5_S4_
	.p2align	8
	.type	_Z33warp_exclusive_scan_reduce_kernelI12hip_bfloat16Lj128ELj32EENSt9enable_ifIXsr10test_utilsE35device_test_enabled_for_warp_size_vIXT1_EEEvE4typeEPT_S5_S5_S4_,@function
_Z33warp_exclusive_scan_reduce_kernelI12hip_bfloat16Lj128ELj32EENSt9enable_ifIXsr10test_utilsE35device_test_enabled_for_warp_size_vIXT1_EEEvE4typeEPT_S5_S5_S4_: ; @_Z33warp_exclusive_scan_reduce_kernelI12hip_bfloat16Lj128ELj32EENSt9enable_ifIXsr10test_utilsE35device_test_enabled_for_warp_size_vIXT1_EEEvE4typeEPT_S5_S5_S4_
; %bb.0:
	s_load_dword s7, s[4:5], 0x2c
	s_load_dwordx4 s[0:3], s[4:5], 0x0
	v_mov_b32_e32 v2, 0
                                        ; implicit-def: $vgpr8
	s_waitcnt lgkmcnt(0)
	s_and_b32 s7, s7, 0xffff
	s_mul_i32 s6, s6, s7
	v_add_u32_e32 v1, s6, v0
	v_lshlrev_b64 v[2:3], 1, v[1:2]
	v_mov_b32_e32 v5, s1
	v_add_co_u32_e32 v4, vcc, s0, v2
	v_addc_co_u32_e32 v5, vcc, v5, v3, vcc
	global_load_ushort v6, v[4:5], off
	s_mov_b32 s0, 0x7f800000
	s_waitcnt vmcnt(0)
	v_lshlrev_b32_e32 v7, 16, v6
	v_mov_b32_dpp v4, v6 row_shr:1 row_mask:0xf bank_mask:0xf
	v_lshlrev_b32_e32 v4, 16, v4
	v_add_f32_e32 v4, v7, v4
	v_and_b32_e32 v5, 0x7f800000, v4
	v_cmp_ne_u32_e32 vcc, s0, v5
	s_and_saveexec_b64 s[0:1], vcc
	s_xor_b64 s[0:1], exec, s[0:1]
; %bb.1:
	v_bfe_u32 v5, v4, 16, 1
	s_movk_i32 s6, 0x7fff
	v_add3_u32 v8, v4, v5, s6
                                        ; implicit-def: $vgpr4
; %bb.2:
	s_andn2_saveexec_b64 s[0:1], s[0:1]
; %bb.3:
	v_mov_b32_e32 v5, 0
	v_or_b32_e32 v8, 0x10000, v4
	v_cmp_eq_u32_sdwa vcc, v4, v5 src0_sel:WORD_0 src1_sel:DWORD
	v_cndmask_b32_e32 v8, v8, v4, vcc
; %bb.4:
	s_or_b64 exec, exec, s[0:1]
	v_mbcnt_lo_u32_b32 v4, -1, 0
	v_mbcnt_hi_u32_b32 v4, -1, v4
	v_and_b32_e32 v5, 15, v4
	v_and_b32_e32 v9, 0xffff0000, v8
	v_lshrrev_b32_e32 v8, 16, v8
	v_cmp_eq_u32_e32 vcc, 0, v5
	v_cndmask_b32_e32 v6, v8, v6, vcc
	v_cndmask_b32_e32 v7, v9, v7, vcc
	s_mov_b32 s0, 0x7f800000
	v_mov_b32_dpp v8, v6 row_shr:2 row_mask:0xf bank_mask:0xf
	v_lshlrev_b32_e32 v8, 16, v8
	v_add_f32_e32 v8, v7, v8
	v_and_b32_e32 v9, 0x7f800000, v8
	v_cmp_ne_u32_e32 vcc, s0, v9
                                        ; implicit-def: $vgpr9
	s_and_saveexec_b64 s[0:1], vcc
	s_xor_b64 s[0:1], exec, s[0:1]
; %bb.5:
	v_bfe_u32 v9, v8, 16, 1
	s_movk_i32 s6, 0x7fff
	v_add3_u32 v9, v8, v9, s6
                                        ; implicit-def: $vgpr8
; %bb.6:
	s_andn2_saveexec_b64 s[0:1], s[0:1]
; %bb.7:
	v_mov_b32_e32 v9, 0
	v_or_b32_e32 v10, 0x10000, v8
	v_cmp_eq_u32_sdwa vcc, v8, v9 src0_sel:WORD_0 src1_sel:DWORD
	v_cndmask_b32_e32 v9, v10, v8, vcc
; %bb.8:
	s_or_b64 exec, exec, s[0:1]
	v_and_b32_e32 v8, 0xffff0000, v9
	v_lshrrev_b32_e32 v9, 16, v9
	v_cmp_lt_u32_e32 vcc, 1, v5
	v_cndmask_b32_e32 v6, v6, v9, vcc
	v_cndmask_b32_e32 v7, v7, v8, vcc
	s_mov_b32 s0, 0x7f800000
	v_mov_b32_dpp v8, v6 row_shr:4 row_mask:0xf bank_mask:0xf
	v_lshlrev_b32_e32 v8, 16, v8
	v_add_f32_e32 v8, v7, v8
	v_and_b32_e32 v9, 0x7f800000, v8
	v_cmp_ne_u32_e32 vcc, s0, v9
                                        ; implicit-def: $vgpr9
	s_and_saveexec_b64 s[0:1], vcc
	s_xor_b64 s[0:1], exec, s[0:1]
; %bb.9:
	v_bfe_u32 v9, v8, 16, 1
	s_movk_i32 s6, 0x7fff
	v_add3_u32 v9, v8, v9, s6
                                        ; implicit-def: $vgpr8
; %bb.10:
	s_andn2_saveexec_b64 s[0:1], s[0:1]
; %bb.11:
	v_mov_b32_e32 v9, 0
	v_or_b32_e32 v10, 0x10000, v8
	v_cmp_eq_u32_sdwa vcc, v8, v9 src0_sel:WORD_0 src1_sel:DWORD
	v_cndmask_b32_e32 v9, v10, v8, vcc
; %bb.12:
	s_or_b64 exec, exec, s[0:1]
	v_and_b32_e32 v8, 0xffff0000, v9
	v_lshrrev_b32_e32 v9, 16, v9
	v_cmp_lt_u32_e32 vcc, 3, v5
	;; [unrolled: 28-line block ×3, first 2 shown]
	v_cndmask_b32_e32 v5, v6, v9, vcc
	v_cndmask_b32_e32 v7, v7, v8, vcc
	s_mov_b32 s0, 0x7f800000
	v_mov_b32_dpp v6, v5 row_bcast:15 row_mask:0xf bank_mask:0xf
	v_lshlrev_b32_e32 v6, 16, v6
	v_add_f32_e32 v6, v7, v6
	v_and_b32_e32 v7, 0x7f800000, v6
	v_cmp_ne_u32_e32 vcc, s0, v7
                                        ; implicit-def: $vgpr7
	s_and_saveexec_b64 s[0:1], vcc
	s_xor_b64 s[0:1], exec, s[0:1]
; %bb.17:
	v_bfe_u32 v7, v6, 16, 1
	s_movk_i32 s6, 0x7fff
	v_add3_u32 v7, v6, v7, s6
                                        ; implicit-def: $vgpr6
; %bb.18:
	s_or_saveexec_b64 s[6:7], s[0:1]
	s_load_dwordx2 s[0:1], s[4:5], 0x10
	s_xor_b64 exec, exec, s[6:7]
; %bb.19:
	v_mov_b32_e32 v7, 0
	v_or_b32_e32 v8, 0x10000, v6
	v_cmp_eq_u32_sdwa vcc, v6, v7 src0_sel:WORD_0 src1_sel:DWORD
	v_cndmask_b32_e32 v7, v8, v6, vcc
; %bb.20:
	s_or_b64 exec, exec, s[6:7]
	s_load_dword s6, s[4:5], 0x18
	v_and_b32_e32 v6, 16, v4
	v_cmp_eq_u32_e32 vcc, 0, v6
	v_cndmask_b32_sdwa v6, v7, v5, vcc dst_sel:DWORD dst_unused:UNUSED_PAD src0_sel:WORD_1 src1_sel:DWORD
	v_mov_b32_e32 v5, 0x7c
	v_lshl_or_b32 v5, v4, 2, v5
	v_and_b32_e32 v7, 0xffff, v6
	ds_bpermute_b32 v5, v5, v7
	s_waitcnt lgkmcnt(0)
	s_lshl_b32 s4, s6, 16
	v_lshlrev_b32_e32 v6, 16, v6
	v_add_f32_e32 v6, s4, v6
	s_mov_b32 s4, 0x7f800000
	v_and_b32_e32 v7, 0x7f800000, v6
	v_cmp_ne_u32_e32 vcc, s4, v7
                                        ; implicit-def: $vgpr7
	s_and_saveexec_b64 s[4:5], vcc
	s_xor_b64 s[4:5], exec, s[4:5]
; %bb.21:
	v_bfe_u32 v7, v6, 16, 1
	s_movk_i32 s7, 0x7fff
	v_add3_u32 v7, v6, v7, s7
                                        ; implicit-def: $vgpr6
; %bb.22:
	s_andn2_saveexec_b64 s[4:5], s[4:5]
; %bb.23:
	v_mov_b32_e32 v7, 0
	v_or_b32_e32 v8, 0x10000, v6
	v_cmp_eq_u32_sdwa vcc, v6, v7 src0_sel:WORD_0 src1_sel:DWORD
	v_cndmask_b32_e32 v7, v8, v6, vcc
; %bb.24:
	s_or_b64 exec, exec, s[4:5]
	v_and_b32_e32 v6, 0x60, v4
	v_add_u32_e32 v8, -1, v4
	v_cmp_lt_i32_e32 vcc, v8, v6
	v_cndmask_b32_e32 v6, v8, v4, vcc
	v_lshrrev_b32_e32 v7, 16, v7
	v_lshlrev_b32_e32 v6, 2, v6
	ds_bpermute_b32 v6, v6, v7
	v_and_b32_e32 v4, 31, v4
	v_mov_b32_e32 v7, s6
	v_cmp_eq_u32_e32 vcc, 0, v4
	v_and_b32_e32 v0, 31, v0
	s_waitcnt lgkmcnt(0)
	v_cndmask_b32_e32 v4, v6, v7, vcc
	v_mov_b32_e32 v6, s3
	v_add_co_u32_e32 v2, vcc, s2, v2
	v_addc_co_u32_e32 v3, vcc, v6, v3, vcc
	v_cmp_eq_u32_e32 vcc, 0, v0
	global_store_short v[2:3], v4, off
	s_and_saveexec_b64 s[2:3], vcc
	s_cbranch_execz .LBB189_26
; %bb.25:
	v_lshrrev_b32_e32 v0, 4, v1
	v_and_b32_e32 v0, 0xffffffe, v0
	global_store_short v0, v5, s[0:1]
.LBB189_26:
	s_endpgm
	.section	.rodata,"a",@progbits
	.p2align	6, 0x0
	.amdhsa_kernel _Z33warp_exclusive_scan_reduce_kernelI12hip_bfloat16Lj128ELj32EENSt9enable_ifIXsr10test_utilsE35device_test_enabled_for_warp_size_vIXT1_EEEvE4typeEPT_S5_S5_S4_
		.amdhsa_group_segment_fixed_size 0
		.amdhsa_private_segment_fixed_size 0
		.amdhsa_kernarg_size 288
		.amdhsa_user_sgpr_count 6
		.amdhsa_user_sgpr_private_segment_buffer 1
		.amdhsa_user_sgpr_dispatch_ptr 0
		.amdhsa_user_sgpr_queue_ptr 0
		.amdhsa_user_sgpr_kernarg_segment_ptr 1
		.amdhsa_user_sgpr_dispatch_id 0
		.amdhsa_user_sgpr_flat_scratch_init 0
		.amdhsa_user_sgpr_private_segment_size 0
		.amdhsa_uses_dynamic_stack 0
		.amdhsa_system_sgpr_private_segment_wavefront_offset 0
		.amdhsa_system_sgpr_workgroup_id_x 1
		.amdhsa_system_sgpr_workgroup_id_y 0
		.amdhsa_system_sgpr_workgroup_id_z 0
		.amdhsa_system_sgpr_workgroup_info 0
		.amdhsa_system_vgpr_workitem_id 0
		.amdhsa_next_free_vgpr 11
		.amdhsa_next_free_sgpr 8
		.amdhsa_reserve_vcc 1
		.amdhsa_reserve_flat_scratch 0
		.amdhsa_float_round_mode_32 0
		.amdhsa_float_round_mode_16_64 0
		.amdhsa_float_denorm_mode_32 3
		.amdhsa_float_denorm_mode_16_64 3
		.amdhsa_dx10_clamp 1
		.amdhsa_ieee_mode 1
		.amdhsa_fp16_overflow 0
		.amdhsa_exception_fp_ieee_invalid_op 0
		.amdhsa_exception_fp_denorm_src 0
		.amdhsa_exception_fp_ieee_div_zero 0
		.amdhsa_exception_fp_ieee_overflow 0
		.amdhsa_exception_fp_ieee_underflow 0
		.amdhsa_exception_fp_ieee_inexact 0
		.amdhsa_exception_int_div_zero 0
	.end_amdhsa_kernel
	.section	.text._Z33warp_exclusive_scan_reduce_kernelI12hip_bfloat16Lj128ELj32EENSt9enable_ifIXsr10test_utilsE35device_test_enabled_for_warp_size_vIXT1_EEEvE4typeEPT_S5_S5_S4_,"axG",@progbits,_Z33warp_exclusive_scan_reduce_kernelI12hip_bfloat16Lj128ELj32EENSt9enable_ifIXsr10test_utilsE35device_test_enabled_for_warp_size_vIXT1_EEEvE4typeEPT_S5_S5_S4_,comdat
.Lfunc_end189:
	.size	_Z33warp_exclusive_scan_reduce_kernelI12hip_bfloat16Lj128ELj32EENSt9enable_ifIXsr10test_utilsE35device_test_enabled_for_warp_size_vIXT1_EEEvE4typeEPT_S5_S5_S4_, .Lfunc_end189-_Z33warp_exclusive_scan_reduce_kernelI12hip_bfloat16Lj128ELj32EENSt9enable_ifIXsr10test_utilsE35device_test_enabled_for_warp_size_vIXT1_EEEvE4typeEPT_S5_S5_S4_
                                        ; -- End function
	.set _Z33warp_exclusive_scan_reduce_kernelI12hip_bfloat16Lj128ELj32EENSt9enable_ifIXsr10test_utilsE35device_test_enabled_for_warp_size_vIXT1_EEEvE4typeEPT_S5_S5_S4_.num_vgpr, 11
	.set _Z33warp_exclusive_scan_reduce_kernelI12hip_bfloat16Lj128ELj32EENSt9enable_ifIXsr10test_utilsE35device_test_enabled_for_warp_size_vIXT1_EEEvE4typeEPT_S5_S5_S4_.num_agpr, 0
	.set _Z33warp_exclusive_scan_reduce_kernelI12hip_bfloat16Lj128ELj32EENSt9enable_ifIXsr10test_utilsE35device_test_enabled_for_warp_size_vIXT1_EEEvE4typeEPT_S5_S5_S4_.numbered_sgpr, 8
	.set _Z33warp_exclusive_scan_reduce_kernelI12hip_bfloat16Lj128ELj32EENSt9enable_ifIXsr10test_utilsE35device_test_enabled_for_warp_size_vIXT1_EEEvE4typeEPT_S5_S5_S4_.num_named_barrier, 0
	.set _Z33warp_exclusive_scan_reduce_kernelI12hip_bfloat16Lj128ELj32EENSt9enable_ifIXsr10test_utilsE35device_test_enabled_for_warp_size_vIXT1_EEEvE4typeEPT_S5_S5_S4_.private_seg_size, 0
	.set _Z33warp_exclusive_scan_reduce_kernelI12hip_bfloat16Lj128ELj32EENSt9enable_ifIXsr10test_utilsE35device_test_enabled_for_warp_size_vIXT1_EEEvE4typeEPT_S5_S5_S4_.uses_vcc, 1
	.set _Z33warp_exclusive_scan_reduce_kernelI12hip_bfloat16Lj128ELj32EENSt9enable_ifIXsr10test_utilsE35device_test_enabled_for_warp_size_vIXT1_EEEvE4typeEPT_S5_S5_S4_.uses_flat_scratch, 0
	.set _Z33warp_exclusive_scan_reduce_kernelI12hip_bfloat16Lj128ELj32EENSt9enable_ifIXsr10test_utilsE35device_test_enabled_for_warp_size_vIXT1_EEEvE4typeEPT_S5_S5_S4_.has_dyn_sized_stack, 0
	.set _Z33warp_exclusive_scan_reduce_kernelI12hip_bfloat16Lj128ELj32EENSt9enable_ifIXsr10test_utilsE35device_test_enabled_for_warp_size_vIXT1_EEEvE4typeEPT_S5_S5_S4_.has_recursion, 0
	.set _Z33warp_exclusive_scan_reduce_kernelI12hip_bfloat16Lj128ELj32EENSt9enable_ifIXsr10test_utilsE35device_test_enabled_for_warp_size_vIXT1_EEEvE4typeEPT_S5_S5_S4_.has_indirect_call, 0
	.section	.AMDGPU.csdata,"",@progbits
; Kernel info:
; codeLenInByte = 952
; TotalNumSgprs: 12
; NumVgprs: 11
; ScratchSize: 0
; MemoryBound: 0
; FloatMode: 240
; IeeeMode: 1
; LDSByteSize: 0 bytes/workgroup (compile time only)
; SGPRBlocks: 1
; VGPRBlocks: 2
; NumSGPRsForWavesPerEU: 12
; NumVGPRsForWavesPerEU: 11
; Occupancy: 10
; WaveLimiterHint : 0
; COMPUTE_PGM_RSRC2:SCRATCH_EN: 0
; COMPUTE_PGM_RSRC2:USER_SGPR: 6
; COMPUTE_PGM_RSRC2:TRAP_HANDLER: 0
; COMPUTE_PGM_RSRC2:TGID_X_EN: 1
; COMPUTE_PGM_RSRC2:TGID_Y_EN: 0
; COMPUTE_PGM_RSRC2:TGID_Z_EN: 0
; COMPUTE_PGM_RSRC2:TIDIG_COMP_CNT: 0
	.section	.text._Z33warp_exclusive_scan_reduce_kernelI12hip_bfloat16Lj64ELj16EENSt9enable_ifIXsr10test_utilsE35device_test_enabled_for_warp_size_vIXT1_EEEvE4typeEPT_S5_S5_S4_,"axG",@progbits,_Z33warp_exclusive_scan_reduce_kernelI12hip_bfloat16Lj64ELj16EENSt9enable_ifIXsr10test_utilsE35device_test_enabled_for_warp_size_vIXT1_EEEvE4typeEPT_S5_S5_S4_,comdat
	.protected	_Z33warp_exclusive_scan_reduce_kernelI12hip_bfloat16Lj64ELj16EENSt9enable_ifIXsr10test_utilsE35device_test_enabled_for_warp_size_vIXT1_EEEvE4typeEPT_S5_S5_S4_ ; -- Begin function _Z33warp_exclusive_scan_reduce_kernelI12hip_bfloat16Lj64ELj16EENSt9enable_ifIXsr10test_utilsE35device_test_enabled_for_warp_size_vIXT1_EEEvE4typeEPT_S5_S5_S4_
	.globl	_Z33warp_exclusive_scan_reduce_kernelI12hip_bfloat16Lj64ELj16EENSt9enable_ifIXsr10test_utilsE35device_test_enabled_for_warp_size_vIXT1_EEEvE4typeEPT_S5_S5_S4_
	.p2align	8
	.type	_Z33warp_exclusive_scan_reduce_kernelI12hip_bfloat16Lj64ELj16EENSt9enable_ifIXsr10test_utilsE35device_test_enabled_for_warp_size_vIXT1_EEEvE4typeEPT_S5_S5_S4_,@function
_Z33warp_exclusive_scan_reduce_kernelI12hip_bfloat16Lj64ELj16EENSt9enable_ifIXsr10test_utilsE35device_test_enabled_for_warp_size_vIXT1_EEEvE4typeEPT_S5_S5_S4_: ; @_Z33warp_exclusive_scan_reduce_kernelI12hip_bfloat16Lj64ELj16EENSt9enable_ifIXsr10test_utilsE35device_test_enabled_for_warp_size_vIXT1_EEEvE4typeEPT_S5_S5_S4_
; %bb.0:
	s_load_dword s7, s[4:5], 0x2c
	s_load_dwordx4 s[0:3], s[4:5], 0x0
	v_mov_b32_e32 v2, 0
                                        ; implicit-def: $vgpr8
	s_waitcnt lgkmcnt(0)
	s_and_b32 s7, s7, 0xffff
	s_mul_i32 s6, s6, s7
	v_add_u32_e32 v1, s6, v0
	v_lshlrev_b64 v[2:3], 1, v[1:2]
	v_mov_b32_e32 v5, s1
	v_add_co_u32_e32 v4, vcc, s0, v2
	v_addc_co_u32_e32 v5, vcc, v5, v3, vcc
	global_load_ushort v6, v[4:5], off
	s_mov_b32 s0, 0x7f800000
	s_waitcnt vmcnt(0)
	v_lshlrev_b32_e32 v7, 16, v6
	v_mov_b32_dpp v4, v6 row_shr:1 row_mask:0xf bank_mask:0xf
	v_lshlrev_b32_e32 v4, 16, v4
	v_add_f32_e32 v4, v7, v4
	v_and_b32_e32 v5, 0x7f800000, v4
	v_cmp_ne_u32_e32 vcc, s0, v5
	s_and_saveexec_b64 s[0:1], vcc
	s_xor_b64 s[0:1], exec, s[0:1]
; %bb.1:
	v_bfe_u32 v5, v4, 16, 1
	s_movk_i32 s6, 0x7fff
	v_add3_u32 v8, v4, v5, s6
                                        ; implicit-def: $vgpr4
; %bb.2:
	s_andn2_saveexec_b64 s[0:1], s[0:1]
; %bb.3:
	v_mov_b32_e32 v5, 0
	v_or_b32_e32 v8, 0x10000, v4
	v_cmp_eq_u32_sdwa vcc, v4, v5 src0_sel:WORD_0 src1_sel:DWORD
	v_cndmask_b32_e32 v8, v8, v4, vcc
; %bb.4:
	s_or_b64 exec, exec, s[0:1]
	v_mbcnt_lo_u32_b32 v4, -1, 0
	v_mbcnt_hi_u32_b32 v4, -1, v4
	v_and_b32_e32 v5, 15, v4
	v_and_b32_e32 v9, 0xffff0000, v8
	v_lshrrev_b32_e32 v8, 16, v8
	v_cmp_eq_u32_e64 s[0:1], 0, v5
	v_cndmask_b32_e64 v6, v8, v6, s[0:1]
	v_cndmask_b32_e64 v7, v9, v7, s[0:1]
	s_mov_b32 s6, 0x7f800000
	v_mov_b32_dpp v8, v6 row_shr:2 row_mask:0xf bank_mask:0xf
	v_lshlrev_b32_e32 v8, 16, v8
	v_add_f32_e32 v8, v7, v8
	v_and_b32_e32 v9, 0x7f800000, v8
	v_cmp_ne_u32_e32 vcc, s6, v9
                                        ; implicit-def: $vgpr9
	s_and_saveexec_b64 s[6:7], vcc
	s_xor_b64 s[6:7], exec, s[6:7]
; %bb.5:
	v_bfe_u32 v9, v8, 16, 1
	s_movk_i32 s8, 0x7fff
	v_add3_u32 v9, v8, v9, s8
                                        ; implicit-def: $vgpr8
; %bb.6:
	s_andn2_saveexec_b64 s[6:7], s[6:7]
; %bb.7:
	v_mov_b32_e32 v9, 0
	v_or_b32_e32 v10, 0x10000, v8
	v_cmp_eq_u32_sdwa vcc, v8, v9 src0_sel:WORD_0 src1_sel:DWORD
	v_cndmask_b32_e32 v9, v10, v8, vcc
; %bb.8:
	s_or_b64 exec, exec, s[6:7]
	v_and_b32_e32 v8, 0xffff0000, v9
	v_lshrrev_b32_e32 v9, 16, v9
	v_cmp_lt_u32_e32 vcc, 1, v5
	v_cndmask_b32_e32 v6, v6, v9, vcc
	v_cndmask_b32_e32 v7, v7, v8, vcc
	s_mov_b32 s6, 0x7f800000
	v_mov_b32_dpp v8, v6 row_shr:4 row_mask:0xf bank_mask:0xf
	v_lshlrev_b32_e32 v8, 16, v8
	v_add_f32_e32 v8, v7, v8
	v_and_b32_e32 v9, 0x7f800000, v8
	v_cmp_ne_u32_e32 vcc, s6, v9
                                        ; implicit-def: $vgpr9
	s_and_saveexec_b64 s[6:7], vcc
	s_xor_b64 s[6:7], exec, s[6:7]
; %bb.9:
	v_bfe_u32 v9, v8, 16, 1
	s_movk_i32 s8, 0x7fff
	v_add3_u32 v9, v8, v9, s8
                                        ; implicit-def: $vgpr8
; %bb.10:
	s_andn2_saveexec_b64 s[6:7], s[6:7]
; %bb.11:
	v_mov_b32_e32 v9, 0
	v_or_b32_e32 v10, 0x10000, v8
	v_cmp_eq_u32_sdwa vcc, v8, v9 src0_sel:WORD_0 src1_sel:DWORD
	v_cndmask_b32_e32 v9, v10, v8, vcc
; %bb.12:
	s_or_b64 exec, exec, s[6:7]
	v_and_b32_e32 v8, 0xffff0000, v9
	v_lshrrev_b32_e32 v9, 16, v9
	v_cmp_lt_u32_e32 vcc, 3, v5
	v_cndmask_b32_e32 v6, v6, v9, vcc
	v_cndmask_b32_e32 v7, v7, v8, vcc
	s_mov_b32 s6, 0x7f800000
	v_mov_b32_dpp v8, v6 row_shr:8 row_mask:0xf bank_mask:0xf
	v_lshlrev_b32_e32 v8, 16, v8
	v_add_f32_e32 v7, v7, v8
	v_and_b32_e32 v8, 0x7f800000, v7
	v_cmp_ne_u32_e32 vcc, s6, v8
                                        ; implicit-def: $vgpr8
	s_and_saveexec_b64 s[6:7], vcc
	s_xor_b64 s[6:7], exec, s[6:7]
; %bb.13:
	v_bfe_u32 v8, v7, 16, 1
	s_movk_i32 s8, 0x7fff
	v_add3_u32 v8, v7, v8, s8
                                        ; implicit-def: $vgpr7
; %bb.14:
	s_or_saveexec_b64 s[8:9], s[6:7]
	s_load_dwordx2 s[6:7], s[4:5], 0x10
	s_xor_b64 exec, exec, s[8:9]
; %bb.15:
	v_mov_b32_e32 v8, 0
	v_or_b32_e32 v9, 0x10000, v7
	v_cmp_eq_u32_sdwa vcc, v7, v8 src0_sel:WORD_0 src1_sel:DWORD
	v_cndmask_b32_e32 v8, v9, v7, vcc
; %bb.16:
	s_or_b64 exec, exec, s[8:9]
	s_load_dword s8, s[4:5], 0x18
	v_cmp_lt_u32_e32 vcc, 7, v5
	v_cndmask_b32_sdwa v6, v6, v8, vcc dst_sel:DWORD dst_unused:UNUSED_PAD src0_sel:DWORD src1_sel:WORD_1
	v_lshl_or_b32 v5, v4, 2, 60
	v_and_b32_e32 v7, 0xffff, v6
	ds_bpermute_b32 v5, v5, v7
	s_waitcnt lgkmcnt(0)
	s_lshl_b32 s4, s8, 16
	v_lshlrev_b32_e32 v6, 16, v6
	v_add_f32_e32 v6, s4, v6
	s_mov_b32 s4, 0x7f800000
	v_and_b32_e32 v7, 0x7f800000, v6
	v_cmp_ne_u32_e32 vcc, s4, v7
                                        ; implicit-def: $vgpr7
	s_and_saveexec_b64 s[4:5], vcc
	s_xor_b64 s[4:5], exec, s[4:5]
; %bb.17:
	v_bfe_u32 v7, v6, 16, 1
	s_movk_i32 s9, 0x7fff
	v_add3_u32 v7, v6, v7, s9
                                        ; implicit-def: $vgpr6
; %bb.18:
	s_andn2_saveexec_b64 s[4:5], s[4:5]
; %bb.19:
	v_mov_b32_e32 v7, 0
	v_or_b32_e32 v8, 0x10000, v6
	v_cmp_eq_u32_sdwa vcc, v6, v7 src0_sel:WORD_0 src1_sel:DWORD
	v_cndmask_b32_e32 v7, v8, v6, vcc
; %bb.20:
	s_or_b64 exec, exec, s[4:5]
	v_and_b32_e32 v6, 0x70, v4
	v_add_u32_e32 v8, -1, v4
	v_cmp_lt_i32_e32 vcc, v8, v6
	v_cndmask_b32_e32 v4, v8, v4, vcc
	v_lshrrev_b32_e32 v7, 16, v7
	v_lshlrev_b32_e32 v4, 2, v4
	ds_bpermute_b32 v4, v4, v7
	v_mov_b32_e32 v6, s8
	v_add_co_u32_e32 v2, vcc, s2, v2
	v_and_b32_e32 v0, 15, v0
	s_waitcnt lgkmcnt(0)
	v_cndmask_b32_e64 v4, v4, v6, s[0:1]
	v_mov_b32_e32 v6, s3
	v_addc_co_u32_e32 v3, vcc, v6, v3, vcc
	v_cmp_eq_u32_e32 vcc, 0, v0
	global_store_short v[2:3], v4, off
	s_and_saveexec_b64 s[0:1], vcc
	s_cbranch_execz .LBB190_22
; %bb.21:
	v_lshrrev_b32_e32 v0, 3, v1
	v_and_b32_e32 v0, 0x1ffffffe, v0
	global_store_short v0, v5, s[6:7]
.LBB190_22:
	s_endpgm
	.section	.rodata,"a",@progbits
	.p2align	6, 0x0
	.amdhsa_kernel _Z33warp_exclusive_scan_reduce_kernelI12hip_bfloat16Lj64ELj16EENSt9enable_ifIXsr10test_utilsE35device_test_enabled_for_warp_size_vIXT1_EEEvE4typeEPT_S5_S5_S4_
		.amdhsa_group_segment_fixed_size 0
		.amdhsa_private_segment_fixed_size 0
		.amdhsa_kernarg_size 288
		.amdhsa_user_sgpr_count 6
		.amdhsa_user_sgpr_private_segment_buffer 1
		.amdhsa_user_sgpr_dispatch_ptr 0
		.amdhsa_user_sgpr_queue_ptr 0
		.amdhsa_user_sgpr_kernarg_segment_ptr 1
		.amdhsa_user_sgpr_dispatch_id 0
		.amdhsa_user_sgpr_flat_scratch_init 0
		.amdhsa_user_sgpr_private_segment_size 0
		.amdhsa_uses_dynamic_stack 0
		.amdhsa_system_sgpr_private_segment_wavefront_offset 0
		.amdhsa_system_sgpr_workgroup_id_x 1
		.amdhsa_system_sgpr_workgroup_id_y 0
		.amdhsa_system_sgpr_workgroup_id_z 0
		.amdhsa_system_sgpr_workgroup_info 0
		.amdhsa_system_vgpr_workitem_id 0
		.amdhsa_next_free_vgpr 11
		.amdhsa_next_free_sgpr 10
		.amdhsa_reserve_vcc 1
		.amdhsa_reserve_flat_scratch 0
		.amdhsa_float_round_mode_32 0
		.amdhsa_float_round_mode_16_64 0
		.amdhsa_float_denorm_mode_32 3
		.amdhsa_float_denorm_mode_16_64 3
		.amdhsa_dx10_clamp 1
		.amdhsa_ieee_mode 1
		.amdhsa_fp16_overflow 0
		.amdhsa_exception_fp_ieee_invalid_op 0
		.amdhsa_exception_fp_denorm_src 0
		.amdhsa_exception_fp_ieee_div_zero 0
		.amdhsa_exception_fp_ieee_overflow 0
		.amdhsa_exception_fp_ieee_underflow 0
		.amdhsa_exception_fp_ieee_inexact 0
		.amdhsa_exception_int_div_zero 0
	.end_amdhsa_kernel
	.section	.text._Z33warp_exclusive_scan_reduce_kernelI12hip_bfloat16Lj64ELj16EENSt9enable_ifIXsr10test_utilsE35device_test_enabled_for_warp_size_vIXT1_EEEvE4typeEPT_S5_S5_S4_,"axG",@progbits,_Z33warp_exclusive_scan_reduce_kernelI12hip_bfloat16Lj64ELj16EENSt9enable_ifIXsr10test_utilsE35device_test_enabled_for_warp_size_vIXT1_EEEvE4typeEPT_S5_S5_S4_,comdat
.Lfunc_end190:
	.size	_Z33warp_exclusive_scan_reduce_kernelI12hip_bfloat16Lj64ELj16EENSt9enable_ifIXsr10test_utilsE35device_test_enabled_for_warp_size_vIXT1_EEEvE4typeEPT_S5_S5_S4_, .Lfunc_end190-_Z33warp_exclusive_scan_reduce_kernelI12hip_bfloat16Lj64ELj16EENSt9enable_ifIXsr10test_utilsE35device_test_enabled_for_warp_size_vIXT1_EEEvE4typeEPT_S5_S5_S4_
                                        ; -- End function
	.set _Z33warp_exclusive_scan_reduce_kernelI12hip_bfloat16Lj64ELj16EENSt9enable_ifIXsr10test_utilsE35device_test_enabled_for_warp_size_vIXT1_EEEvE4typeEPT_S5_S5_S4_.num_vgpr, 11
	.set _Z33warp_exclusive_scan_reduce_kernelI12hip_bfloat16Lj64ELj16EENSt9enable_ifIXsr10test_utilsE35device_test_enabled_for_warp_size_vIXT1_EEEvE4typeEPT_S5_S5_S4_.num_agpr, 0
	.set _Z33warp_exclusive_scan_reduce_kernelI12hip_bfloat16Lj64ELj16EENSt9enable_ifIXsr10test_utilsE35device_test_enabled_for_warp_size_vIXT1_EEEvE4typeEPT_S5_S5_S4_.numbered_sgpr, 10
	.set _Z33warp_exclusive_scan_reduce_kernelI12hip_bfloat16Lj64ELj16EENSt9enable_ifIXsr10test_utilsE35device_test_enabled_for_warp_size_vIXT1_EEEvE4typeEPT_S5_S5_S4_.num_named_barrier, 0
	.set _Z33warp_exclusive_scan_reduce_kernelI12hip_bfloat16Lj64ELj16EENSt9enable_ifIXsr10test_utilsE35device_test_enabled_for_warp_size_vIXT1_EEEvE4typeEPT_S5_S5_S4_.private_seg_size, 0
	.set _Z33warp_exclusive_scan_reduce_kernelI12hip_bfloat16Lj64ELj16EENSt9enable_ifIXsr10test_utilsE35device_test_enabled_for_warp_size_vIXT1_EEEvE4typeEPT_S5_S5_S4_.uses_vcc, 1
	.set _Z33warp_exclusive_scan_reduce_kernelI12hip_bfloat16Lj64ELj16EENSt9enable_ifIXsr10test_utilsE35device_test_enabled_for_warp_size_vIXT1_EEEvE4typeEPT_S5_S5_S4_.uses_flat_scratch, 0
	.set _Z33warp_exclusive_scan_reduce_kernelI12hip_bfloat16Lj64ELj16EENSt9enable_ifIXsr10test_utilsE35device_test_enabled_for_warp_size_vIXT1_EEEvE4typeEPT_S5_S5_S4_.has_dyn_sized_stack, 0
	.set _Z33warp_exclusive_scan_reduce_kernelI12hip_bfloat16Lj64ELj16EENSt9enable_ifIXsr10test_utilsE35device_test_enabled_for_warp_size_vIXT1_EEEvE4typeEPT_S5_S5_S4_.has_recursion, 0
	.set _Z33warp_exclusive_scan_reduce_kernelI12hip_bfloat16Lj64ELj16EENSt9enable_ifIXsr10test_utilsE35device_test_enabled_for_warp_size_vIXT1_EEEvE4typeEPT_S5_S5_S4_.has_indirect_call, 0
	.section	.AMDGPU.csdata,"",@progbits
; Kernel info:
; codeLenInByte = 828
; TotalNumSgprs: 14
; NumVgprs: 11
; ScratchSize: 0
; MemoryBound: 0
; FloatMode: 240
; IeeeMode: 1
; LDSByteSize: 0 bytes/workgroup (compile time only)
; SGPRBlocks: 1
; VGPRBlocks: 2
; NumSGPRsForWavesPerEU: 14
; NumVGPRsForWavesPerEU: 11
; Occupancy: 10
; WaveLimiterHint : 0
; COMPUTE_PGM_RSRC2:SCRATCH_EN: 0
; COMPUTE_PGM_RSRC2:USER_SGPR: 6
; COMPUTE_PGM_RSRC2:TRAP_HANDLER: 0
; COMPUTE_PGM_RSRC2:TGID_X_EN: 1
; COMPUTE_PGM_RSRC2:TGID_Y_EN: 0
; COMPUTE_PGM_RSRC2:TGID_Z_EN: 0
; COMPUTE_PGM_RSRC2:TIDIG_COMP_CNT: 0
	.section	.text._Z33warp_exclusive_scan_reduce_kernelI12hip_bfloat16Lj32ELj8EENSt9enable_ifIXsr10test_utilsE35device_test_enabled_for_warp_size_vIXT1_EEEvE4typeEPT_S5_S5_S4_,"axG",@progbits,_Z33warp_exclusive_scan_reduce_kernelI12hip_bfloat16Lj32ELj8EENSt9enable_ifIXsr10test_utilsE35device_test_enabled_for_warp_size_vIXT1_EEEvE4typeEPT_S5_S5_S4_,comdat
	.protected	_Z33warp_exclusive_scan_reduce_kernelI12hip_bfloat16Lj32ELj8EENSt9enable_ifIXsr10test_utilsE35device_test_enabled_for_warp_size_vIXT1_EEEvE4typeEPT_S5_S5_S4_ ; -- Begin function _Z33warp_exclusive_scan_reduce_kernelI12hip_bfloat16Lj32ELj8EENSt9enable_ifIXsr10test_utilsE35device_test_enabled_for_warp_size_vIXT1_EEEvE4typeEPT_S5_S5_S4_
	.globl	_Z33warp_exclusive_scan_reduce_kernelI12hip_bfloat16Lj32ELj8EENSt9enable_ifIXsr10test_utilsE35device_test_enabled_for_warp_size_vIXT1_EEEvE4typeEPT_S5_S5_S4_
	.p2align	8
	.type	_Z33warp_exclusive_scan_reduce_kernelI12hip_bfloat16Lj32ELj8EENSt9enable_ifIXsr10test_utilsE35device_test_enabled_for_warp_size_vIXT1_EEEvE4typeEPT_S5_S5_S4_,@function
_Z33warp_exclusive_scan_reduce_kernelI12hip_bfloat16Lj32ELj8EENSt9enable_ifIXsr10test_utilsE35device_test_enabled_for_warp_size_vIXT1_EEEvE4typeEPT_S5_S5_S4_: ; @_Z33warp_exclusive_scan_reduce_kernelI12hip_bfloat16Lj32ELj8EENSt9enable_ifIXsr10test_utilsE35device_test_enabled_for_warp_size_vIXT1_EEEvE4typeEPT_S5_S5_S4_
; %bb.0:
	s_load_dword s7, s[4:5], 0x2c
	s_load_dwordx4 s[0:3], s[4:5], 0x0
	v_mov_b32_e32 v2, 0
                                        ; implicit-def: $vgpr8
	s_waitcnt lgkmcnt(0)
	s_and_b32 s7, s7, 0xffff
	s_mul_i32 s6, s6, s7
	v_add_u32_e32 v1, s6, v0
	v_lshlrev_b64 v[2:3], 1, v[1:2]
	v_mov_b32_e32 v5, s1
	v_add_co_u32_e32 v4, vcc, s0, v2
	v_addc_co_u32_e32 v5, vcc, v5, v3, vcc
	global_load_ushort v6, v[4:5], off
	s_mov_b32 s0, 0x7f800000
	s_waitcnt vmcnt(0)
	v_lshlrev_b32_e32 v7, 16, v6
	v_mov_b32_dpp v4, v6 row_shr:1 row_mask:0xf bank_mask:0xf
	v_lshlrev_b32_e32 v4, 16, v4
	v_add_f32_e32 v4, v7, v4
	v_and_b32_e32 v5, 0x7f800000, v4
	v_cmp_ne_u32_e32 vcc, s0, v5
	s_and_saveexec_b64 s[0:1], vcc
	s_xor_b64 s[0:1], exec, s[0:1]
; %bb.1:
	v_bfe_u32 v5, v4, 16, 1
	s_movk_i32 s6, 0x7fff
	v_add3_u32 v8, v4, v5, s6
                                        ; implicit-def: $vgpr4
; %bb.2:
	s_andn2_saveexec_b64 s[0:1], s[0:1]
; %bb.3:
	v_mov_b32_e32 v5, 0
	v_or_b32_e32 v8, 0x10000, v4
	v_cmp_eq_u32_sdwa vcc, v4, v5 src0_sel:WORD_0 src1_sel:DWORD
	v_cndmask_b32_e32 v8, v8, v4, vcc
; %bb.4:
	s_or_b64 exec, exec, s[0:1]
	v_mbcnt_lo_u32_b32 v4, -1, 0
	v_mbcnt_hi_u32_b32 v4, -1, v4
	v_and_b32_e32 v5, 7, v4
	v_and_b32_e32 v9, 0xffff0000, v8
	v_lshrrev_b32_e32 v8, 16, v8
	v_cmp_eq_u32_e64 s[0:1], 0, v5
	v_cndmask_b32_e64 v6, v8, v6, s[0:1]
	v_cndmask_b32_e64 v7, v9, v7, s[0:1]
	s_mov_b32 s6, 0x7f800000
	v_mov_b32_dpp v8, v6 row_shr:2 row_mask:0xf bank_mask:0xf
	v_lshlrev_b32_e32 v8, 16, v8
	v_add_f32_e32 v8, v7, v8
	v_and_b32_e32 v9, 0x7f800000, v8
	v_cmp_ne_u32_e32 vcc, s6, v9
                                        ; implicit-def: $vgpr9
	s_and_saveexec_b64 s[6:7], vcc
	s_xor_b64 s[6:7], exec, s[6:7]
; %bb.5:
	v_bfe_u32 v9, v8, 16, 1
	s_movk_i32 s8, 0x7fff
	v_add3_u32 v9, v8, v9, s8
                                        ; implicit-def: $vgpr8
; %bb.6:
	s_andn2_saveexec_b64 s[6:7], s[6:7]
; %bb.7:
	v_mov_b32_e32 v9, 0
	v_or_b32_e32 v10, 0x10000, v8
	v_cmp_eq_u32_sdwa vcc, v8, v9 src0_sel:WORD_0 src1_sel:DWORD
	v_cndmask_b32_e32 v9, v10, v8, vcc
; %bb.8:
	s_or_b64 exec, exec, s[6:7]
	v_and_b32_e32 v8, 0xffff0000, v9
	v_lshrrev_b32_e32 v9, 16, v9
	v_cmp_lt_u32_e32 vcc, 1, v5
	v_cndmask_b32_e32 v6, v6, v9, vcc
	v_cndmask_b32_e32 v7, v7, v8, vcc
	s_mov_b32 s6, 0x7f800000
	v_mov_b32_dpp v8, v6 row_shr:4 row_mask:0xf bank_mask:0xf
	v_lshlrev_b32_e32 v8, 16, v8
	v_add_f32_e32 v7, v7, v8
	v_and_b32_e32 v8, 0x7f800000, v7
	v_cmp_ne_u32_e32 vcc, s6, v8
                                        ; implicit-def: $vgpr8
	s_and_saveexec_b64 s[6:7], vcc
	s_xor_b64 s[6:7], exec, s[6:7]
; %bb.9:
	v_bfe_u32 v8, v7, 16, 1
	s_movk_i32 s8, 0x7fff
	v_add3_u32 v8, v7, v8, s8
                                        ; implicit-def: $vgpr7
; %bb.10:
	s_or_saveexec_b64 s[8:9], s[6:7]
	s_load_dwordx2 s[6:7], s[4:5], 0x10
	s_xor_b64 exec, exec, s[8:9]
; %bb.11:
	v_mov_b32_e32 v8, 0
	v_or_b32_e32 v9, 0x10000, v7
	v_cmp_eq_u32_sdwa vcc, v7, v8 src0_sel:WORD_0 src1_sel:DWORD
	v_cndmask_b32_e32 v8, v9, v7, vcc
; %bb.12:
	s_or_b64 exec, exec, s[8:9]
	s_load_dword s8, s[4:5], 0x18
	v_cmp_lt_u32_e32 vcc, 3, v5
	v_cndmask_b32_sdwa v6, v6, v8, vcc dst_sel:DWORD dst_unused:UNUSED_PAD src0_sel:DWORD src1_sel:WORD_1
	v_lshl_or_b32 v5, v4, 2, 28
	v_and_b32_e32 v7, 0xffff, v6
	ds_bpermute_b32 v5, v5, v7
	s_waitcnt lgkmcnt(0)
	s_lshl_b32 s4, s8, 16
	v_lshlrev_b32_e32 v6, 16, v6
	v_add_f32_e32 v6, s4, v6
	s_mov_b32 s4, 0x7f800000
	v_and_b32_e32 v7, 0x7f800000, v6
	v_cmp_ne_u32_e32 vcc, s4, v7
                                        ; implicit-def: $vgpr7
	s_and_saveexec_b64 s[4:5], vcc
	s_xor_b64 s[4:5], exec, s[4:5]
; %bb.13:
	v_bfe_u32 v7, v6, 16, 1
	s_movk_i32 s9, 0x7fff
	v_add3_u32 v7, v6, v7, s9
                                        ; implicit-def: $vgpr6
; %bb.14:
	s_andn2_saveexec_b64 s[4:5], s[4:5]
; %bb.15:
	v_mov_b32_e32 v7, 0
	v_or_b32_e32 v8, 0x10000, v6
	v_cmp_eq_u32_sdwa vcc, v6, v7 src0_sel:WORD_0 src1_sel:DWORD
	v_cndmask_b32_e32 v7, v8, v6, vcc
; %bb.16:
	s_or_b64 exec, exec, s[4:5]
	v_and_b32_e32 v6, 0x78, v4
	v_add_u32_e32 v8, -1, v4
	v_cmp_lt_i32_e32 vcc, v8, v6
	v_cndmask_b32_e32 v4, v8, v4, vcc
	v_lshrrev_b32_e32 v7, 16, v7
	v_lshlrev_b32_e32 v4, 2, v4
	ds_bpermute_b32 v4, v4, v7
	v_mov_b32_e32 v6, s8
	v_add_co_u32_e32 v2, vcc, s2, v2
	v_and_b32_e32 v0, 7, v0
	s_waitcnt lgkmcnt(0)
	v_cndmask_b32_e64 v4, v4, v6, s[0:1]
	v_mov_b32_e32 v6, s3
	v_addc_co_u32_e32 v3, vcc, v6, v3, vcc
	v_cmp_eq_u32_e32 vcc, 0, v0
	global_store_short v[2:3], v4, off
	s_and_saveexec_b64 s[0:1], vcc
	s_cbranch_execz .LBB191_18
; %bb.17:
	v_lshrrev_b32_e32 v0, 2, v1
	v_and_b32_e32 v0, 0x3ffffffe, v0
	global_store_short v0, v5, s[6:7]
.LBB191_18:
	s_endpgm
	.section	.rodata,"a",@progbits
	.p2align	6, 0x0
	.amdhsa_kernel _Z33warp_exclusive_scan_reduce_kernelI12hip_bfloat16Lj32ELj8EENSt9enable_ifIXsr10test_utilsE35device_test_enabled_for_warp_size_vIXT1_EEEvE4typeEPT_S5_S5_S4_
		.amdhsa_group_segment_fixed_size 0
		.amdhsa_private_segment_fixed_size 0
		.amdhsa_kernarg_size 288
		.amdhsa_user_sgpr_count 6
		.amdhsa_user_sgpr_private_segment_buffer 1
		.amdhsa_user_sgpr_dispatch_ptr 0
		.amdhsa_user_sgpr_queue_ptr 0
		.amdhsa_user_sgpr_kernarg_segment_ptr 1
		.amdhsa_user_sgpr_dispatch_id 0
		.amdhsa_user_sgpr_flat_scratch_init 0
		.amdhsa_user_sgpr_private_segment_size 0
		.amdhsa_uses_dynamic_stack 0
		.amdhsa_system_sgpr_private_segment_wavefront_offset 0
		.amdhsa_system_sgpr_workgroup_id_x 1
		.amdhsa_system_sgpr_workgroup_id_y 0
		.amdhsa_system_sgpr_workgroup_id_z 0
		.amdhsa_system_sgpr_workgroup_info 0
		.amdhsa_system_vgpr_workitem_id 0
		.amdhsa_next_free_vgpr 11
		.amdhsa_next_free_sgpr 10
		.amdhsa_reserve_vcc 1
		.amdhsa_reserve_flat_scratch 0
		.amdhsa_float_round_mode_32 0
		.amdhsa_float_round_mode_16_64 0
		.amdhsa_float_denorm_mode_32 3
		.amdhsa_float_denorm_mode_16_64 3
		.amdhsa_dx10_clamp 1
		.amdhsa_ieee_mode 1
		.amdhsa_fp16_overflow 0
		.amdhsa_exception_fp_ieee_invalid_op 0
		.amdhsa_exception_fp_denorm_src 0
		.amdhsa_exception_fp_ieee_div_zero 0
		.amdhsa_exception_fp_ieee_overflow 0
		.amdhsa_exception_fp_ieee_underflow 0
		.amdhsa_exception_fp_ieee_inexact 0
		.amdhsa_exception_int_div_zero 0
	.end_amdhsa_kernel
	.section	.text._Z33warp_exclusive_scan_reduce_kernelI12hip_bfloat16Lj32ELj8EENSt9enable_ifIXsr10test_utilsE35device_test_enabled_for_warp_size_vIXT1_EEEvE4typeEPT_S5_S5_S4_,"axG",@progbits,_Z33warp_exclusive_scan_reduce_kernelI12hip_bfloat16Lj32ELj8EENSt9enable_ifIXsr10test_utilsE35device_test_enabled_for_warp_size_vIXT1_EEEvE4typeEPT_S5_S5_S4_,comdat
.Lfunc_end191:
	.size	_Z33warp_exclusive_scan_reduce_kernelI12hip_bfloat16Lj32ELj8EENSt9enable_ifIXsr10test_utilsE35device_test_enabled_for_warp_size_vIXT1_EEEvE4typeEPT_S5_S5_S4_, .Lfunc_end191-_Z33warp_exclusive_scan_reduce_kernelI12hip_bfloat16Lj32ELj8EENSt9enable_ifIXsr10test_utilsE35device_test_enabled_for_warp_size_vIXT1_EEEvE4typeEPT_S5_S5_S4_
                                        ; -- End function
	.set _Z33warp_exclusive_scan_reduce_kernelI12hip_bfloat16Lj32ELj8EENSt9enable_ifIXsr10test_utilsE35device_test_enabled_for_warp_size_vIXT1_EEEvE4typeEPT_S5_S5_S4_.num_vgpr, 11
	.set _Z33warp_exclusive_scan_reduce_kernelI12hip_bfloat16Lj32ELj8EENSt9enable_ifIXsr10test_utilsE35device_test_enabled_for_warp_size_vIXT1_EEEvE4typeEPT_S5_S5_S4_.num_agpr, 0
	.set _Z33warp_exclusive_scan_reduce_kernelI12hip_bfloat16Lj32ELj8EENSt9enable_ifIXsr10test_utilsE35device_test_enabled_for_warp_size_vIXT1_EEEvE4typeEPT_S5_S5_S4_.numbered_sgpr, 10
	.set _Z33warp_exclusive_scan_reduce_kernelI12hip_bfloat16Lj32ELj8EENSt9enable_ifIXsr10test_utilsE35device_test_enabled_for_warp_size_vIXT1_EEEvE4typeEPT_S5_S5_S4_.num_named_barrier, 0
	.set _Z33warp_exclusive_scan_reduce_kernelI12hip_bfloat16Lj32ELj8EENSt9enable_ifIXsr10test_utilsE35device_test_enabled_for_warp_size_vIXT1_EEEvE4typeEPT_S5_S5_S4_.private_seg_size, 0
	.set _Z33warp_exclusive_scan_reduce_kernelI12hip_bfloat16Lj32ELj8EENSt9enable_ifIXsr10test_utilsE35device_test_enabled_for_warp_size_vIXT1_EEEvE4typeEPT_S5_S5_S4_.uses_vcc, 1
	.set _Z33warp_exclusive_scan_reduce_kernelI12hip_bfloat16Lj32ELj8EENSt9enable_ifIXsr10test_utilsE35device_test_enabled_for_warp_size_vIXT1_EEEvE4typeEPT_S5_S5_S4_.uses_flat_scratch, 0
	.set _Z33warp_exclusive_scan_reduce_kernelI12hip_bfloat16Lj32ELj8EENSt9enable_ifIXsr10test_utilsE35device_test_enabled_for_warp_size_vIXT1_EEEvE4typeEPT_S5_S5_S4_.has_dyn_sized_stack, 0
	.set _Z33warp_exclusive_scan_reduce_kernelI12hip_bfloat16Lj32ELj8EENSt9enable_ifIXsr10test_utilsE35device_test_enabled_for_warp_size_vIXT1_EEEvE4typeEPT_S5_S5_S4_.has_recursion, 0
	.set _Z33warp_exclusive_scan_reduce_kernelI12hip_bfloat16Lj32ELj8EENSt9enable_ifIXsr10test_utilsE35device_test_enabled_for_warp_size_vIXT1_EEEvE4typeEPT_S5_S5_S4_.has_indirect_call, 0
	.section	.AMDGPU.csdata,"",@progbits
; Kernel info:
; codeLenInByte = 708
; TotalNumSgprs: 14
; NumVgprs: 11
; ScratchSize: 0
; MemoryBound: 0
; FloatMode: 240
; IeeeMode: 1
; LDSByteSize: 0 bytes/workgroup (compile time only)
; SGPRBlocks: 1
; VGPRBlocks: 2
; NumSGPRsForWavesPerEU: 14
; NumVGPRsForWavesPerEU: 11
; Occupancy: 10
; WaveLimiterHint : 0
; COMPUTE_PGM_RSRC2:SCRATCH_EN: 0
; COMPUTE_PGM_RSRC2:USER_SGPR: 6
; COMPUTE_PGM_RSRC2:TRAP_HANDLER: 0
; COMPUTE_PGM_RSRC2:TGID_X_EN: 1
; COMPUTE_PGM_RSRC2:TGID_Y_EN: 0
; COMPUTE_PGM_RSRC2:TGID_Z_EN: 0
; COMPUTE_PGM_RSRC2:TIDIG_COMP_CNT: 0
	.section	.text._Z33warp_exclusive_scan_reduce_kernelI12hip_bfloat16Lj64ELj8EENSt9enable_ifIXsr10test_utilsE35device_test_enabled_for_warp_size_vIXT1_EEEvE4typeEPT_S5_S5_S4_,"axG",@progbits,_Z33warp_exclusive_scan_reduce_kernelI12hip_bfloat16Lj64ELj8EENSt9enable_ifIXsr10test_utilsE35device_test_enabled_for_warp_size_vIXT1_EEEvE4typeEPT_S5_S5_S4_,comdat
	.protected	_Z33warp_exclusive_scan_reduce_kernelI12hip_bfloat16Lj64ELj8EENSt9enable_ifIXsr10test_utilsE35device_test_enabled_for_warp_size_vIXT1_EEEvE4typeEPT_S5_S5_S4_ ; -- Begin function _Z33warp_exclusive_scan_reduce_kernelI12hip_bfloat16Lj64ELj8EENSt9enable_ifIXsr10test_utilsE35device_test_enabled_for_warp_size_vIXT1_EEEvE4typeEPT_S5_S5_S4_
	.globl	_Z33warp_exclusive_scan_reduce_kernelI12hip_bfloat16Lj64ELj8EENSt9enable_ifIXsr10test_utilsE35device_test_enabled_for_warp_size_vIXT1_EEEvE4typeEPT_S5_S5_S4_
	.p2align	8
	.type	_Z33warp_exclusive_scan_reduce_kernelI12hip_bfloat16Lj64ELj8EENSt9enable_ifIXsr10test_utilsE35device_test_enabled_for_warp_size_vIXT1_EEEvE4typeEPT_S5_S5_S4_,@function
_Z33warp_exclusive_scan_reduce_kernelI12hip_bfloat16Lj64ELj8EENSt9enable_ifIXsr10test_utilsE35device_test_enabled_for_warp_size_vIXT1_EEEvE4typeEPT_S5_S5_S4_: ; @_Z33warp_exclusive_scan_reduce_kernelI12hip_bfloat16Lj64ELj8EENSt9enable_ifIXsr10test_utilsE35device_test_enabled_for_warp_size_vIXT1_EEEvE4typeEPT_S5_S5_S4_
; %bb.0:
	s_load_dword s7, s[4:5], 0x2c
	s_load_dwordx4 s[0:3], s[4:5], 0x0
	v_mov_b32_e32 v2, 0
                                        ; implicit-def: $vgpr8
	s_waitcnt lgkmcnt(0)
	s_and_b32 s7, s7, 0xffff
	s_mul_i32 s6, s6, s7
	v_add_u32_e32 v1, s6, v0
	v_lshlrev_b64 v[2:3], 1, v[1:2]
	v_mov_b32_e32 v5, s1
	v_add_co_u32_e32 v4, vcc, s0, v2
	v_addc_co_u32_e32 v5, vcc, v5, v3, vcc
	global_load_ushort v6, v[4:5], off
	s_mov_b32 s0, 0x7f800000
	s_waitcnt vmcnt(0)
	v_lshlrev_b32_e32 v7, 16, v6
	v_mov_b32_dpp v4, v6 row_shr:1 row_mask:0xf bank_mask:0xf
	v_lshlrev_b32_e32 v4, 16, v4
	v_add_f32_e32 v4, v7, v4
	v_and_b32_e32 v5, 0x7f800000, v4
	v_cmp_ne_u32_e32 vcc, s0, v5
	s_and_saveexec_b64 s[0:1], vcc
	s_xor_b64 s[0:1], exec, s[0:1]
; %bb.1:
	v_bfe_u32 v5, v4, 16, 1
	s_movk_i32 s6, 0x7fff
	v_add3_u32 v8, v4, v5, s6
                                        ; implicit-def: $vgpr4
; %bb.2:
	s_andn2_saveexec_b64 s[0:1], s[0:1]
; %bb.3:
	v_mov_b32_e32 v5, 0
	v_or_b32_e32 v8, 0x10000, v4
	v_cmp_eq_u32_sdwa vcc, v4, v5 src0_sel:WORD_0 src1_sel:DWORD
	v_cndmask_b32_e32 v8, v8, v4, vcc
; %bb.4:
	s_or_b64 exec, exec, s[0:1]
	v_mbcnt_lo_u32_b32 v4, -1, 0
	v_mbcnt_hi_u32_b32 v4, -1, v4
	v_and_b32_e32 v5, 7, v4
	v_and_b32_e32 v9, 0xffff0000, v8
	v_lshrrev_b32_e32 v8, 16, v8
	v_cmp_eq_u32_e64 s[0:1], 0, v5
	v_cndmask_b32_e64 v6, v8, v6, s[0:1]
	v_cndmask_b32_e64 v7, v9, v7, s[0:1]
	s_mov_b32 s6, 0x7f800000
	v_mov_b32_dpp v8, v6 row_shr:2 row_mask:0xf bank_mask:0xf
	v_lshlrev_b32_e32 v8, 16, v8
	v_add_f32_e32 v8, v7, v8
	v_and_b32_e32 v9, 0x7f800000, v8
	v_cmp_ne_u32_e32 vcc, s6, v9
                                        ; implicit-def: $vgpr9
	s_and_saveexec_b64 s[6:7], vcc
	s_xor_b64 s[6:7], exec, s[6:7]
; %bb.5:
	v_bfe_u32 v9, v8, 16, 1
	s_movk_i32 s8, 0x7fff
	v_add3_u32 v9, v8, v9, s8
                                        ; implicit-def: $vgpr8
; %bb.6:
	s_andn2_saveexec_b64 s[6:7], s[6:7]
; %bb.7:
	v_mov_b32_e32 v9, 0
	v_or_b32_e32 v10, 0x10000, v8
	v_cmp_eq_u32_sdwa vcc, v8, v9 src0_sel:WORD_0 src1_sel:DWORD
	v_cndmask_b32_e32 v9, v10, v8, vcc
; %bb.8:
	s_or_b64 exec, exec, s[6:7]
	v_and_b32_e32 v8, 0xffff0000, v9
	v_lshrrev_b32_e32 v9, 16, v9
	v_cmp_lt_u32_e32 vcc, 1, v5
	v_cndmask_b32_e32 v6, v6, v9, vcc
	v_cndmask_b32_e32 v7, v7, v8, vcc
	s_mov_b32 s6, 0x7f800000
	v_mov_b32_dpp v8, v6 row_shr:4 row_mask:0xf bank_mask:0xf
	v_lshlrev_b32_e32 v8, 16, v8
	v_add_f32_e32 v7, v7, v8
	v_and_b32_e32 v8, 0x7f800000, v7
	v_cmp_ne_u32_e32 vcc, s6, v8
                                        ; implicit-def: $vgpr8
	s_and_saveexec_b64 s[6:7], vcc
	s_xor_b64 s[6:7], exec, s[6:7]
; %bb.9:
	v_bfe_u32 v8, v7, 16, 1
	s_movk_i32 s8, 0x7fff
	v_add3_u32 v8, v7, v8, s8
                                        ; implicit-def: $vgpr7
; %bb.10:
	s_or_saveexec_b64 s[8:9], s[6:7]
	s_load_dwordx2 s[6:7], s[4:5], 0x10
	s_xor_b64 exec, exec, s[8:9]
; %bb.11:
	v_mov_b32_e32 v8, 0
	v_or_b32_e32 v9, 0x10000, v7
	v_cmp_eq_u32_sdwa vcc, v7, v8 src0_sel:WORD_0 src1_sel:DWORD
	v_cndmask_b32_e32 v8, v9, v7, vcc
; %bb.12:
	s_or_b64 exec, exec, s[8:9]
	s_load_dword s8, s[4:5], 0x18
	v_cmp_lt_u32_e32 vcc, 3, v5
	v_cndmask_b32_sdwa v6, v6, v8, vcc dst_sel:DWORD dst_unused:UNUSED_PAD src0_sel:DWORD src1_sel:WORD_1
	v_lshl_or_b32 v5, v4, 2, 28
	v_and_b32_e32 v7, 0xffff, v6
	ds_bpermute_b32 v5, v5, v7
	s_waitcnt lgkmcnt(0)
	s_lshl_b32 s4, s8, 16
	v_lshlrev_b32_e32 v6, 16, v6
	v_add_f32_e32 v6, s4, v6
	s_mov_b32 s4, 0x7f800000
	v_and_b32_e32 v7, 0x7f800000, v6
	v_cmp_ne_u32_e32 vcc, s4, v7
                                        ; implicit-def: $vgpr7
	s_and_saveexec_b64 s[4:5], vcc
	s_xor_b64 s[4:5], exec, s[4:5]
; %bb.13:
	v_bfe_u32 v7, v6, 16, 1
	s_movk_i32 s9, 0x7fff
	v_add3_u32 v7, v6, v7, s9
                                        ; implicit-def: $vgpr6
; %bb.14:
	s_andn2_saveexec_b64 s[4:5], s[4:5]
; %bb.15:
	v_mov_b32_e32 v7, 0
	v_or_b32_e32 v8, 0x10000, v6
	v_cmp_eq_u32_sdwa vcc, v6, v7 src0_sel:WORD_0 src1_sel:DWORD
	v_cndmask_b32_e32 v7, v8, v6, vcc
; %bb.16:
	s_or_b64 exec, exec, s[4:5]
	v_and_b32_e32 v6, 0x78, v4
	v_add_u32_e32 v8, -1, v4
	v_cmp_lt_i32_e32 vcc, v8, v6
	v_cndmask_b32_e32 v4, v8, v4, vcc
	v_lshrrev_b32_e32 v7, 16, v7
	v_lshlrev_b32_e32 v4, 2, v4
	ds_bpermute_b32 v4, v4, v7
	v_mov_b32_e32 v6, s8
	v_add_co_u32_e32 v2, vcc, s2, v2
	v_and_b32_e32 v0, 7, v0
	s_waitcnt lgkmcnt(0)
	v_cndmask_b32_e64 v4, v4, v6, s[0:1]
	v_mov_b32_e32 v6, s3
	v_addc_co_u32_e32 v3, vcc, v6, v3, vcc
	v_cmp_eq_u32_e32 vcc, 0, v0
	global_store_short v[2:3], v4, off
	s_and_saveexec_b64 s[0:1], vcc
	s_cbranch_execz .LBB192_18
; %bb.17:
	v_lshrrev_b32_e32 v0, 2, v1
	v_and_b32_e32 v0, 0x3ffffffe, v0
	global_store_short v0, v5, s[6:7]
.LBB192_18:
	s_endpgm
	.section	.rodata,"a",@progbits
	.p2align	6, 0x0
	.amdhsa_kernel _Z33warp_exclusive_scan_reduce_kernelI12hip_bfloat16Lj64ELj8EENSt9enable_ifIXsr10test_utilsE35device_test_enabled_for_warp_size_vIXT1_EEEvE4typeEPT_S5_S5_S4_
		.amdhsa_group_segment_fixed_size 0
		.amdhsa_private_segment_fixed_size 0
		.amdhsa_kernarg_size 288
		.amdhsa_user_sgpr_count 6
		.amdhsa_user_sgpr_private_segment_buffer 1
		.amdhsa_user_sgpr_dispatch_ptr 0
		.amdhsa_user_sgpr_queue_ptr 0
		.amdhsa_user_sgpr_kernarg_segment_ptr 1
		.amdhsa_user_sgpr_dispatch_id 0
		.amdhsa_user_sgpr_flat_scratch_init 0
		.amdhsa_user_sgpr_private_segment_size 0
		.amdhsa_uses_dynamic_stack 0
		.amdhsa_system_sgpr_private_segment_wavefront_offset 0
		.amdhsa_system_sgpr_workgroup_id_x 1
		.amdhsa_system_sgpr_workgroup_id_y 0
		.amdhsa_system_sgpr_workgroup_id_z 0
		.amdhsa_system_sgpr_workgroup_info 0
		.amdhsa_system_vgpr_workitem_id 0
		.amdhsa_next_free_vgpr 11
		.amdhsa_next_free_sgpr 10
		.amdhsa_reserve_vcc 1
		.amdhsa_reserve_flat_scratch 0
		.amdhsa_float_round_mode_32 0
		.amdhsa_float_round_mode_16_64 0
		.amdhsa_float_denorm_mode_32 3
		.amdhsa_float_denorm_mode_16_64 3
		.amdhsa_dx10_clamp 1
		.amdhsa_ieee_mode 1
		.amdhsa_fp16_overflow 0
		.amdhsa_exception_fp_ieee_invalid_op 0
		.amdhsa_exception_fp_denorm_src 0
		.amdhsa_exception_fp_ieee_div_zero 0
		.amdhsa_exception_fp_ieee_overflow 0
		.amdhsa_exception_fp_ieee_underflow 0
		.amdhsa_exception_fp_ieee_inexact 0
		.amdhsa_exception_int_div_zero 0
	.end_amdhsa_kernel
	.section	.text._Z33warp_exclusive_scan_reduce_kernelI12hip_bfloat16Lj64ELj8EENSt9enable_ifIXsr10test_utilsE35device_test_enabled_for_warp_size_vIXT1_EEEvE4typeEPT_S5_S5_S4_,"axG",@progbits,_Z33warp_exclusive_scan_reduce_kernelI12hip_bfloat16Lj64ELj8EENSt9enable_ifIXsr10test_utilsE35device_test_enabled_for_warp_size_vIXT1_EEEvE4typeEPT_S5_S5_S4_,comdat
.Lfunc_end192:
	.size	_Z33warp_exclusive_scan_reduce_kernelI12hip_bfloat16Lj64ELj8EENSt9enable_ifIXsr10test_utilsE35device_test_enabled_for_warp_size_vIXT1_EEEvE4typeEPT_S5_S5_S4_, .Lfunc_end192-_Z33warp_exclusive_scan_reduce_kernelI12hip_bfloat16Lj64ELj8EENSt9enable_ifIXsr10test_utilsE35device_test_enabled_for_warp_size_vIXT1_EEEvE4typeEPT_S5_S5_S4_
                                        ; -- End function
	.set _Z33warp_exclusive_scan_reduce_kernelI12hip_bfloat16Lj64ELj8EENSt9enable_ifIXsr10test_utilsE35device_test_enabled_for_warp_size_vIXT1_EEEvE4typeEPT_S5_S5_S4_.num_vgpr, 11
	.set _Z33warp_exclusive_scan_reduce_kernelI12hip_bfloat16Lj64ELj8EENSt9enable_ifIXsr10test_utilsE35device_test_enabled_for_warp_size_vIXT1_EEEvE4typeEPT_S5_S5_S4_.num_agpr, 0
	.set _Z33warp_exclusive_scan_reduce_kernelI12hip_bfloat16Lj64ELj8EENSt9enable_ifIXsr10test_utilsE35device_test_enabled_for_warp_size_vIXT1_EEEvE4typeEPT_S5_S5_S4_.numbered_sgpr, 10
	.set _Z33warp_exclusive_scan_reduce_kernelI12hip_bfloat16Lj64ELj8EENSt9enable_ifIXsr10test_utilsE35device_test_enabled_for_warp_size_vIXT1_EEEvE4typeEPT_S5_S5_S4_.num_named_barrier, 0
	.set _Z33warp_exclusive_scan_reduce_kernelI12hip_bfloat16Lj64ELj8EENSt9enable_ifIXsr10test_utilsE35device_test_enabled_for_warp_size_vIXT1_EEEvE4typeEPT_S5_S5_S4_.private_seg_size, 0
	.set _Z33warp_exclusive_scan_reduce_kernelI12hip_bfloat16Lj64ELj8EENSt9enable_ifIXsr10test_utilsE35device_test_enabled_for_warp_size_vIXT1_EEEvE4typeEPT_S5_S5_S4_.uses_vcc, 1
	.set _Z33warp_exclusive_scan_reduce_kernelI12hip_bfloat16Lj64ELj8EENSt9enable_ifIXsr10test_utilsE35device_test_enabled_for_warp_size_vIXT1_EEEvE4typeEPT_S5_S5_S4_.uses_flat_scratch, 0
	.set _Z33warp_exclusive_scan_reduce_kernelI12hip_bfloat16Lj64ELj8EENSt9enable_ifIXsr10test_utilsE35device_test_enabled_for_warp_size_vIXT1_EEEvE4typeEPT_S5_S5_S4_.has_dyn_sized_stack, 0
	.set _Z33warp_exclusive_scan_reduce_kernelI12hip_bfloat16Lj64ELj8EENSt9enable_ifIXsr10test_utilsE35device_test_enabled_for_warp_size_vIXT1_EEEvE4typeEPT_S5_S5_S4_.has_recursion, 0
	.set _Z33warp_exclusive_scan_reduce_kernelI12hip_bfloat16Lj64ELj8EENSt9enable_ifIXsr10test_utilsE35device_test_enabled_for_warp_size_vIXT1_EEEvE4typeEPT_S5_S5_S4_.has_indirect_call, 0
	.section	.AMDGPU.csdata,"",@progbits
; Kernel info:
; codeLenInByte = 708
; TotalNumSgprs: 14
; NumVgprs: 11
; ScratchSize: 0
; MemoryBound: 0
; FloatMode: 240
; IeeeMode: 1
; LDSByteSize: 0 bytes/workgroup (compile time only)
; SGPRBlocks: 1
; VGPRBlocks: 2
; NumSGPRsForWavesPerEU: 14
; NumVGPRsForWavesPerEU: 11
; Occupancy: 10
; WaveLimiterHint : 0
; COMPUTE_PGM_RSRC2:SCRATCH_EN: 0
; COMPUTE_PGM_RSRC2:USER_SGPR: 6
; COMPUTE_PGM_RSRC2:TRAP_HANDLER: 0
; COMPUTE_PGM_RSRC2:TGID_X_EN: 1
; COMPUTE_PGM_RSRC2:TGID_Y_EN: 0
; COMPUTE_PGM_RSRC2:TGID_Z_EN: 0
; COMPUTE_PGM_RSRC2:TIDIG_COMP_CNT: 0
	.section	.text._Z33warp_exclusive_scan_reduce_kernelI12hip_bfloat16Lj32ELj4EENSt9enable_ifIXsr10test_utilsE35device_test_enabled_for_warp_size_vIXT1_EEEvE4typeEPT_S5_S5_S4_,"axG",@progbits,_Z33warp_exclusive_scan_reduce_kernelI12hip_bfloat16Lj32ELj4EENSt9enable_ifIXsr10test_utilsE35device_test_enabled_for_warp_size_vIXT1_EEEvE4typeEPT_S5_S5_S4_,comdat
	.protected	_Z33warp_exclusive_scan_reduce_kernelI12hip_bfloat16Lj32ELj4EENSt9enable_ifIXsr10test_utilsE35device_test_enabled_for_warp_size_vIXT1_EEEvE4typeEPT_S5_S5_S4_ ; -- Begin function _Z33warp_exclusive_scan_reduce_kernelI12hip_bfloat16Lj32ELj4EENSt9enable_ifIXsr10test_utilsE35device_test_enabled_for_warp_size_vIXT1_EEEvE4typeEPT_S5_S5_S4_
	.globl	_Z33warp_exclusive_scan_reduce_kernelI12hip_bfloat16Lj32ELj4EENSt9enable_ifIXsr10test_utilsE35device_test_enabled_for_warp_size_vIXT1_EEEvE4typeEPT_S5_S5_S4_
	.p2align	8
	.type	_Z33warp_exclusive_scan_reduce_kernelI12hip_bfloat16Lj32ELj4EENSt9enable_ifIXsr10test_utilsE35device_test_enabled_for_warp_size_vIXT1_EEEvE4typeEPT_S5_S5_S4_,@function
_Z33warp_exclusive_scan_reduce_kernelI12hip_bfloat16Lj32ELj4EENSt9enable_ifIXsr10test_utilsE35device_test_enabled_for_warp_size_vIXT1_EEEvE4typeEPT_S5_S5_S4_: ; @_Z33warp_exclusive_scan_reduce_kernelI12hip_bfloat16Lj32ELj4EENSt9enable_ifIXsr10test_utilsE35device_test_enabled_for_warp_size_vIXT1_EEEvE4typeEPT_S5_S5_S4_
; %bb.0:
	s_load_dword s7, s[4:5], 0x2c
	s_load_dwordx4 s[0:3], s[4:5], 0x0
	v_mov_b32_e32 v2, 0
                                        ; implicit-def: $vgpr8
	s_waitcnt lgkmcnt(0)
	s_and_b32 s7, s7, 0xffff
	s_mul_i32 s6, s6, s7
	v_add_u32_e32 v1, s6, v0
	v_lshlrev_b64 v[2:3], 1, v[1:2]
	v_mov_b32_e32 v5, s1
	v_add_co_u32_e32 v4, vcc, s0, v2
	v_addc_co_u32_e32 v5, vcc, v5, v3, vcc
	global_load_ushort v5, v[4:5], off
	s_mov_b32 s0, 0x7f800000
	s_waitcnt vmcnt(0)
	v_lshlrev_b32_e32 v7, 16, v5
	v_mov_b32_dpp v4, v5 row_shr:1 row_mask:0xf bank_mask:0xf
	v_lshlrev_b32_e32 v4, 16, v4
	v_add_f32_e32 v4, v7, v4
	v_and_b32_e32 v6, 0x7f800000, v4
	v_cmp_ne_u32_e32 vcc, s0, v6
	s_and_saveexec_b64 s[0:1], vcc
	s_xor_b64 s[0:1], exec, s[0:1]
; %bb.1:
	v_bfe_u32 v6, v4, 16, 1
	s_movk_i32 s6, 0x7fff
	v_add3_u32 v8, v4, v6, s6
                                        ; implicit-def: $vgpr4
; %bb.2:
	s_andn2_saveexec_b64 s[0:1], s[0:1]
; %bb.3:
	v_mov_b32_e32 v6, 0
	v_or_b32_e32 v8, 0x10000, v4
	v_cmp_eq_u32_sdwa vcc, v4, v6 src0_sel:WORD_0 src1_sel:DWORD
	v_cndmask_b32_e32 v8, v8, v4, vcc
; %bb.4:
	s_or_b64 exec, exec, s[0:1]
	v_mbcnt_lo_u32_b32 v4, -1, 0
	v_mbcnt_hi_u32_b32 v4, -1, v4
	v_and_b32_e32 v6, 3, v4
	v_and_b32_e32 v9, 0xffff0000, v8
	v_lshrrev_b32_e32 v8, 16, v8
	v_cmp_eq_u32_e64 s[0:1], 0, v6
	v_cndmask_b32_e64 v5, v8, v5, s[0:1]
	v_cndmask_b32_e64 v7, v9, v7, s[0:1]
	s_mov_b32 s6, 0x7f800000
	v_mov_b32_dpp v8, v5 row_shr:2 row_mask:0xf bank_mask:0xf
	v_lshlrev_b32_e32 v8, 16, v8
	v_add_f32_e32 v7, v7, v8
	v_and_b32_e32 v8, 0x7f800000, v7
	v_cmp_ne_u32_e32 vcc, s6, v8
                                        ; implicit-def: $vgpr8
	s_and_saveexec_b64 s[6:7], vcc
	s_xor_b64 s[6:7], exec, s[6:7]
; %bb.5:
	v_bfe_u32 v8, v7, 16, 1
	s_movk_i32 s8, 0x7fff
	v_add3_u32 v8, v7, v8, s8
                                        ; implicit-def: $vgpr7
; %bb.6:
	s_or_saveexec_b64 s[8:9], s[6:7]
	s_load_dwordx2 s[6:7], s[4:5], 0x10
	s_xor_b64 exec, exec, s[8:9]
; %bb.7:
	v_mov_b32_e32 v8, 0
	v_or_b32_e32 v9, 0x10000, v7
	v_cmp_eq_u32_sdwa vcc, v7, v8 src0_sel:WORD_0 src1_sel:DWORD
	v_cndmask_b32_e32 v8, v9, v7, vcc
; %bb.8:
	s_or_b64 exec, exec, s[8:9]
	s_load_dword s8, s[4:5], 0x18
	v_cmp_lt_u32_e32 vcc, 1, v6
	v_cndmask_b32_sdwa v6, v5, v8, vcc dst_sel:DWORD dst_unused:UNUSED_PAD src0_sel:DWORD src1_sel:WORD_1
	v_lshl_or_b32 v5, v4, 2, 12
	v_and_b32_e32 v7, 0xffff, v6
	ds_bpermute_b32 v5, v5, v7
	s_waitcnt lgkmcnt(0)
	s_lshl_b32 s4, s8, 16
	v_lshlrev_b32_e32 v6, 16, v6
	v_add_f32_e32 v6, s4, v6
	s_mov_b32 s4, 0x7f800000
	v_and_b32_e32 v7, 0x7f800000, v6
	v_cmp_ne_u32_e32 vcc, s4, v7
                                        ; implicit-def: $vgpr7
	s_and_saveexec_b64 s[4:5], vcc
	s_xor_b64 s[4:5], exec, s[4:5]
; %bb.9:
	v_bfe_u32 v7, v6, 16, 1
	s_movk_i32 s9, 0x7fff
	v_add3_u32 v7, v6, v7, s9
                                        ; implicit-def: $vgpr6
; %bb.10:
	s_andn2_saveexec_b64 s[4:5], s[4:5]
; %bb.11:
	v_mov_b32_e32 v7, 0
	v_or_b32_e32 v8, 0x10000, v6
	v_cmp_eq_u32_sdwa vcc, v6, v7 src0_sel:WORD_0 src1_sel:DWORD
	v_cndmask_b32_e32 v7, v8, v6, vcc
; %bb.12:
	s_or_b64 exec, exec, s[4:5]
	v_and_b32_e32 v6, 0x7c, v4
	v_add_u32_e32 v8, -1, v4
	v_cmp_lt_i32_e32 vcc, v8, v6
	v_cndmask_b32_e32 v4, v8, v4, vcc
	v_lshrrev_b32_e32 v7, 16, v7
	v_lshlrev_b32_e32 v4, 2, v4
	ds_bpermute_b32 v4, v4, v7
	v_mov_b32_e32 v6, s8
	v_add_co_u32_e32 v2, vcc, s2, v2
	v_and_b32_e32 v0, 3, v0
	s_waitcnt lgkmcnt(0)
	v_cndmask_b32_e64 v4, v4, v6, s[0:1]
	v_mov_b32_e32 v6, s3
	v_addc_co_u32_e32 v3, vcc, v6, v3, vcc
	v_cmp_eq_u32_e32 vcc, 0, v0
	global_store_short v[2:3], v4, off
	s_and_saveexec_b64 s[0:1], vcc
	s_cbranch_execz .LBB193_14
; %bb.13:
	v_lshrrev_b32_e32 v0, 1, v1
	v_and_b32_e32 v0, 0x7ffffffe, v0
	global_store_short v0, v5, s[6:7]
.LBB193_14:
	s_endpgm
	.section	.rodata,"a",@progbits
	.p2align	6, 0x0
	.amdhsa_kernel _Z33warp_exclusive_scan_reduce_kernelI12hip_bfloat16Lj32ELj4EENSt9enable_ifIXsr10test_utilsE35device_test_enabled_for_warp_size_vIXT1_EEEvE4typeEPT_S5_S5_S4_
		.amdhsa_group_segment_fixed_size 0
		.amdhsa_private_segment_fixed_size 0
		.amdhsa_kernarg_size 288
		.amdhsa_user_sgpr_count 6
		.amdhsa_user_sgpr_private_segment_buffer 1
		.amdhsa_user_sgpr_dispatch_ptr 0
		.amdhsa_user_sgpr_queue_ptr 0
		.amdhsa_user_sgpr_kernarg_segment_ptr 1
		.amdhsa_user_sgpr_dispatch_id 0
		.amdhsa_user_sgpr_flat_scratch_init 0
		.amdhsa_user_sgpr_private_segment_size 0
		.amdhsa_uses_dynamic_stack 0
		.amdhsa_system_sgpr_private_segment_wavefront_offset 0
		.amdhsa_system_sgpr_workgroup_id_x 1
		.amdhsa_system_sgpr_workgroup_id_y 0
		.amdhsa_system_sgpr_workgroup_id_z 0
		.amdhsa_system_sgpr_workgroup_info 0
		.amdhsa_system_vgpr_workitem_id 0
		.amdhsa_next_free_vgpr 10
		.amdhsa_next_free_sgpr 10
		.amdhsa_reserve_vcc 1
		.amdhsa_reserve_flat_scratch 0
		.amdhsa_float_round_mode_32 0
		.amdhsa_float_round_mode_16_64 0
		.amdhsa_float_denorm_mode_32 3
		.amdhsa_float_denorm_mode_16_64 3
		.amdhsa_dx10_clamp 1
		.amdhsa_ieee_mode 1
		.amdhsa_fp16_overflow 0
		.amdhsa_exception_fp_ieee_invalid_op 0
		.amdhsa_exception_fp_denorm_src 0
		.amdhsa_exception_fp_ieee_div_zero 0
		.amdhsa_exception_fp_ieee_overflow 0
		.amdhsa_exception_fp_ieee_underflow 0
		.amdhsa_exception_fp_ieee_inexact 0
		.amdhsa_exception_int_div_zero 0
	.end_amdhsa_kernel
	.section	.text._Z33warp_exclusive_scan_reduce_kernelI12hip_bfloat16Lj32ELj4EENSt9enable_ifIXsr10test_utilsE35device_test_enabled_for_warp_size_vIXT1_EEEvE4typeEPT_S5_S5_S4_,"axG",@progbits,_Z33warp_exclusive_scan_reduce_kernelI12hip_bfloat16Lj32ELj4EENSt9enable_ifIXsr10test_utilsE35device_test_enabled_for_warp_size_vIXT1_EEEvE4typeEPT_S5_S5_S4_,comdat
.Lfunc_end193:
	.size	_Z33warp_exclusive_scan_reduce_kernelI12hip_bfloat16Lj32ELj4EENSt9enable_ifIXsr10test_utilsE35device_test_enabled_for_warp_size_vIXT1_EEEvE4typeEPT_S5_S5_S4_, .Lfunc_end193-_Z33warp_exclusive_scan_reduce_kernelI12hip_bfloat16Lj32ELj4EENSt9enable_ifIXsr10test_utilsE35device_test_enabled_for_warp_size_vIXT1_EEEvE4typeEPT_S5_S5_S4_
                                        ; -- End function
	.set _Z33warp_exclusive_scan_reduce_kernelI12hip_bfloat16Lj32ELj4EENSt9enable_ifIXsr10test_utilsE35device_test_enabled_for_warp_size_vIXT1_EEEvE4typeEPT_S5_S5_S4_.num_vgpr, 10
	.set _Z33warp_exclusive_scan_reduce_kernelI12hip_bfloat16Lj32ELj4EENSt9enable_ifIXsr10test_utilsE35device_test_enabled_for_warp_size_vIXT1_EEEvE4typeEPT_S5_S5_S4_.num_agpr, 0
	.set _Z33warp_exclusive_scan_reduce_kernelI12hip_bfloat16Lj32ELj4EENSt9enable_ifIXsr10test_utilsE35device_test_enabled_for_warp_size_vIXT1_EEEvE4typeEPT_S5_S5_S4_.numbered_sgpr, 10
	.set _Z33warp_exclusive_scan_reduce_kernelI12hip_bfloat16Lj32ELj4EENSt9enable_ifIXsr10test_utilsE35device_test_enabled_for_warp_size_vIXT1_EEEvE4typeEPT_S5_S5_S4_.num_named_barrier, 0
	.set _Z33warp_exclusive_scan_reduce_kernelI12hip_bfloat16Lj32ELj4EENSt9enable_ifIXsr10test_utilsE35device_test_enabled_for_warp_size_vIXT1_EEEvE4typeEPT_S5_S5_S4_.private_seg_size, 0
	.set _Z33warp_exclusive_scan_reduce_kernelI12hip_bfloat16Lj32ELj4EENSt9enable_ifIXsr10test_utilsE35device_test_enabled_for_warp_size_vIXT1_EEEvE4typeEPT_S5_S5_S4_.uses_vcc, 1
	.set _Z33warp_exclusive_scan_reduce_kernelI12hip_bfloat16Lj32ELj4EENSt9enable_ifIXsr10test_utilsE35device_test_enabled_for_warp_size_vIXT1_EEEvE4typeEPT_S5_S5_S4_.uses_flat_scratch, 0
	.set _Z33warp_exclusive_scan_reduce_kernelI12hip_bfloat16Lj32ELj4EENSt9enable_ifIXsr10test_utilsE35device_test_enabled_for_warp_size_vIXT1_EEEvE4typeEPT_S5_S5_S4_.has_dyn_sized_stack, 0
	.set _Z33warp_exclusive_scan_reduce_kernelI12hip_bfloat16Lj32ELj4EENSt9enable_ifIXsr10test_utilsE35device_test_enabled_for_warp_size_vIXT1_EEEvE4typeEPT_S5_S5_S4_.has_recursion, 0
	.set _Z33warp_exclusive_scan_reduce_kernelI12hip_bfloat16Lj32ELj4EENSt9enable_ifIXsr10test_utilsE35device_test_enabled_for_warp_size_vIXT1_EEEvE4typeEPT_S5_S5_S4_.has_indirect_call, 0
	.section	.AMDGPU.csdata,"",@progbits
; Kernel info:
; codeLenInByte = 588
; TotalNumSgprs: 14
; NumVgprs: 10
; ScratchSize: 0
; MemoryBound: 0
; FloatMode: 240
; IeeeMode: 1
; LDSByteSize: 0 bytes/workgroup (compile time only)
; SGPRBlocks: 1
; VGPRBlocks: 2
; NumSGPRsForWavesPerEU: 14
; NumVGPRsForWavesPerEU: 10
; Occupancy: 10
; WaveLimiterHint : 0
; COMPUTE_PGM_RSRC2:SCRATCH_EN: 0
; COMPUTE_PGM_RSRC2:USER_SGPR: 6
; COMPUTE_PGM_RSRC2:TRAP_HANDLER: 0
; COMPUTE_PGM_RSRC2:TGID_X_EN: 1
; COMPUTE_PGM_RSRC2:TGID_Y_EN: 0
; COMPUTE_PGM_RSRC2:TGID_Z_EN: 0
; COMPUTE_PGM_RSRC2:TIDIG_COMP_CNT: 0
	.section	.text._Z33warp_exclusive_scan_reduce_kernelI12hip_bfloat16Lj64ELj4EENSt9enable_ifIXsr10test_utilsE35device_test_enabled_for_warp_size_vIXT1_EEEvE4typeEPT_S5_S5_S4_,"axG",@progbits,_Z33warp_exclusive_scan_reduce_kernelI12hip_bfloat16Lj64ELj4EENSt9enable_ifIXsr10test_utilsE35device_test_enabled_for_warp_size_vIXT1_EEEvE4typeEPT_S5_S5_S4_,comdat
	.protected	_Z33warp_exclusive_scan_reduce_kernelI12hip_bfloat16Lj64ELj4EENSt9enable_ifIXsr10test_utilsE35device_test_enabled_for_warp_size_vIXT1_EEEvE4typeEPT_S5_S5_S4_ ; -- Begin function _Z33warp_exclusive_scan_reduce_kernelI12hip_bfloat16Lj64ELj4EENSt9enable_ifIXsr10test_utilsE35device_test_enabled_for_warp_size_vIXT1_EEEvE4typeEPT_S5_S5_S4_
	.globl	_Z33warp_exclusive_scan_reduce_kernelI12hip_bfloat16Lj64ELj4EENSt9enable_ifIXsr10test_utilsE35device_test_enabled_for_warp_size_vIXT1_EEEvE4typeEPT_S5_S5_S4_
	.p2align	8
	.type	_Z33warp_exclusive_scan_reduce_kernelI12hip_bfloat16Lj64ELj4EENSt9enable_ifIXsr10test_utilsE35device_test_enabled_for_warp_size_vIXT1_EEEvE4typeEPT_S5_S5_S4_,@function
_Z33warp_exclusive_scan_reduce_kernelI12hip_bfloat16Lj64ELj4EENSt9enable_ifIXsr10test_utilsE35device_test_enabled_for_warp_size_vIXT1_EEEvE4typeEPT_S5_S5_S4_: ; @_Z33warp_exclusive_scan_reduce_kernelI12hip_bfloat16Lj64ELj4EENSt9enable_ifIXsr10test_utilsE35device_test_enabled_for_warp_size_vIXT1_EEEvE4typeEPT_S5_S5_S4_
; %bb.0:
	s_load_dword s7, s[4:5], 0x2c
	s_load_dwordx4 s[0:3], s[4:5], 0x0
	v_mov_b32_e32 v2, 0
                                        ; implicit-def: $vgpr8
	s_waitcnt lgkmcnt(0)
	s_and_b32 s7, s7, 0xffff
	s_mul_i32 s6, s6, s7
	v_add_u32_e32 v1, s6, v0
	v_lshlrev_b64 v[2:3], 1, v[1:2]
	v_mov_b32_e32 v5, s1
	v_add_co_u32_e32 v4, vcc, s0, v2
	v_addc_co_u32_e32 v5, vcc, v5, v3, vcc
	global_load_ushort v5, v[4:5], off
	s_mov_b32 s0, 0x7f800000
	s_waitcnt vmcnt(0)
	v_lshlrev_b32_e32 v7, 16, v5
	v_mov_b32_dpp v4, v5 row_shr:1 row_mask:0xf bank_mask:0xf
	v_lshlrev_b32_e32 v4, 16, v4
	v_add_f32_e32 v4, v7, v4
	v_and_b32_e32 v6, 0x7f800000, v4
	v_cmp_ne_u32_e32 vcc, s0, v6
	s_and_saveexec_b64 s[0:1], vcc
	s_xor_b64 s[0:1], exec, s[0:1]
; %bb.1:
	v_bfe_u32 v6, v4, 16, 1
	s_movk_i32 s6, 0x7fff
	v_add3_u32 v8, v4, v6, s6
                                        ; implicit-def: $vgpr4
; %bb.2:
	s_andn2_saveexec_b64 s[0:1], s[0:1]
; %bb.3:
	v_mov_b32_e32 v6, 0
	v_or_b32_e32 v8, 0x10000, v4
	v_cmp_eq_u32_sdwa vcc, v4, v6 src0_sel:WORD_0 src1_sel:DWORD
	v_cndmask_b32_e32 v8, v8, v4, vcc
; %bb.4:
	s_or_b64 exec, exec, s[0:1]
	v_mbcnt_lo_u32_b32 v4, -1, 0
	v_mbcnt_hi_u32_b32 v4, -1, v4
	v_and_b32_e32 v6, 3, v4
	v_and_b32_e32 v9, 0xffff0000, v8
	v_lshrrev_b32_e32 v8, 16, v8
	v_cmp_eq_u32_e64 s[0:1], 0, v6
	v_cndmask_b32_e64 v5, v8, v5, s[0:1]
	v_cndmask_b32_e64 v7, v9, v7, s[0:1]
	s_mov_b32 s6, 0x7f800000
	v_mov_b32_dpp v8, v5 row_shr:2 row_mask:0xf bank_mask:0xf
	v_lshlrev_b32_e32 v8, 16, v8
	v_add_f32_e32 v7, v7, v8
	v_and_b32_e32 v8, 0x7f800000, v7
	v_cmp_ne_u32_e32 vcc, s6, v8
                                        ; implicit-def: $vgpr8
	s_and_saveexec_b64 s[6:7], vcc
	s_xor_b64 s[6:7], exec, s[6:7]
; %bb.5:
	v_bfe_u32 v8, v7, 16, 1
	s_movk_i32 s8, 0x7fff
	v_add3_u32 v8, v7, v8, s8
                                        ; implicit-def: $vgpr7
; %bb.6:
	s_or_saveexec_b64 s[8:9], s[6:7]
	s_load_dwordx2 s[6:7], s[4:5], 0x10
	s_xor_b64 exec, exec, s[8:9]
; %bb.7:
	v_mov_b32_e32 v8, 0
	v_or_b32_e32 v9, 0x10000, v7
	v_cmp_eq_u32_sdwa vcc, v7, v8 src0_sel:WORD_0 src1_sel:DWORD
	v_cndmask_b32_e32 v8, v9, v7, vcc
; %bb.8:
	s_or_b64 exec, exec, s[8:9]
	s_load_dword s8, s[4:5], 0x18
	v_cmp_lt_u32_e32 vcc, 1, v6
	v_cndmask_b32_sdwa v6, v5, v8, vcc dst_sel:DWORD dst_unused:UNUSED_PAD src0_sel:DWORD src1_sel:WORD_1
	v_lshl_or_b32 v5, v4, 2, 12
	v_and_b32_e32 v7, 0xffff, v6
	ds_bpermute_b32 v5, v5, v7
	s_waitcnt lgkmcnt(0)
	s_lshl_b32 s4, s8, 16
	v_lshlrev_b32_e32 v6, 16, v6
	v_add_f32_e32 v6, s4, v6
	s_mov_b32 s4, 0x7f800000
	v_and_b32_e32 v7, 0x7f800000, v6
	v_cmp_ne_u32_e32 vcc, s4, v7
                                        ; implicit-def: $vgpr7
	s_and_saveexec_b64 s[4:5], vcc
	s_xor_b64 s[4:5], exec, s[4:5]
; %bb.9:
	v_bfe_u32 v7, v6, 16, 1
	s_movk_i32 s9, 0x7fff
	v_add3_u32 v7, v6, v7, s9
                                        ; implicit-def: $vgpr6
; %bb.10:
	s_andn2_saveexec_b64 s[4:5], s[4:5]
; %bb.11:
	v_mov_b32_e32 v7, 0
	v_or_b32_e32 v8, 0x10000, v6
	v_cmp_eq_u32_sdwa vcc, v6, v7 src0_sel:WORD_0 src1_sel:DWORD
	v_cndmask_b32_e32 v7, v8, v6, vcc
; %bb.12:
	s_or_b64 exec, exec, s[4:5]
	v_and_b32_e32 v6, 0x7c, v4
	v_add_u32_e32 v8, -1, v4
	v_cmp_lt_i32_e32 vcc, v8, v6
	v_cndmask_b32_e32 v4, v8, v4, vcc
	v_lshrrev_b32_e32 v7, 16, v7
	v_lshlrev_b32_e32 v4, 2, v4
	ds_bpermute_b32 v4, v4, v7
	v_mov_b32_e32 v6, s8
	v_add_co_u32_e32 v2, vcc, s2, v2
	v_and_b32_e32 v0, 3, v0
	s_waitcnt lgkmcnt(0)
	v_cndmask_b32_e64 v4, v4, v6, s[0:1]
	v_mov_b32_e32 v6, s3
	v_addc_co_u32_e32 v3, vcc, v6, v3, vcc
	v_cmp_eq_u32_e32 vcc, 0, v0
	global_store_short v[2:3], v4, off
	s_and_saveexec_b64 s[0:1], vcc
	s_cbranch_execz .LBB194_14
; %bb.13:
	v_lshrrev_b32_e32 v0, 1, v1
	v_and_b32_e32 v0, 0x7ffffffe, v0
	global_store_short v0, v5, s[6:7]
.LBB194_14:
	s_endpgm
	.section	.rodata,"a",@progbits
	.p2align	6, 0x0
	.amdhsa_kernel _Z33warp_exclusive_scan_reduce_kernelI12hip_bfloat16Lj64ELj4EENSt9enable_ifIXsr10test_utilsE35device_test_enabled_for_warp_size_vIXT1_EEEvE4typeEPT_S5_S5_S4_
		.amdhsa_group_segment_fixed_size 0
		.amdhsa_private_segment_fixed_size 0
		.amdhsa_kernarg_size 288
		.amdhsa_user_sgpr_count 6
		.amdhsa_user_sgpr_private_segment_buffer 1
		.amdhsa_user_sgpr_dispatch_ptr 0
		.amdhsa_user_sgpr_queue_ptr 0
		.amdhsa_user_sgpr_kernarg_segment_ptr 1
		.amdhsa_user_sgpr_dispatch_id 0
		.amdhsa_user_sgpr_flat_scratch_init 0
		.amdhsa_user_sgpr_private_segment_size 0
		.amdhsa_uses_dynamic_stack 0
		.amdhsa_system_sgpr_private_segment_wavefront_offset 0
		.amdhsa_system_sgpr_workgroup_id_x 1
		.amdhsa_system_sgpr_workgroup_id_y 0
		.amdhsa_system_sgpr_workgroup_id_z 0
		.amdhsa_system_sgpr_workgroup_info 0
		.amdhsa_system_vgpr_workitem_id 0
		.amdhsa_next_free_vgpr 10
		.amdhsa_next_free_sgpr 10
		.amdhsa_reserve_vcc 1
		.amdhsa_reserve_flat_scratch 0
		.amdhsa_float_round_mode_32 0
		.amdhsa_float_round_mode_16_64 0
		.amdhsa_float_denorm_mode_32 3
		.amdhsa_float_denorm_mode_16_64 3
		.amdhsa_dx10_clamp 1
		.amdhsa_ieee_mode 1
		.amdhsa_fp16_overflow 0
		.amdhsa_exception_fp_ieee_invalid_op 0
		.amdhsa_exception_fp_denorm_src 0
		.amdhsa_exception_fp_ieee_div_zero 0
		.amdhsa_exception_fp_ieee_overflow 0
		.amdhsa_exception_fp_ieee_underflow 0
		.amdhsa_exception_fp_ieee_inexact 0
		.amdhsa_exception_int_div_zero 0
	.end_amdhsa_kernel
	.section	.text._Z33warp_exclusive_scan_reduce_kernelI12hip_bfloat16Lj64ELj4EENSt9enable_ifIXsr10test_utilsE35device_test_enabled_for_warp_size_vIXT1_EEEvE4typeEPT_S5_S5_S4_,"axG",@progbits,_Z33warp_exclusive_scan_reduce_kernelI12hip_bfloat16Lj64ELj4EENSt9enable_ifIXsr10test_utilsE35device_test_enabled_for_warp_size_vIXT1_EEEvE4typeEPT_S5_S5_S4_,comdat
.Lfunc_end194:
	.size	_Z33warp_exclusive_scan_reduce_kernelI12hip_bfloat16Lj64ELj4EENSt9enable_ifIXsr10test_utilsE35device_test_enabled_for_warp_size_vIXT1_EEEvE4typeEPT_S5_S5_S4_, .Lfunc_end194-_Z33warp_exclusive_scan_reduce_kernelI12hip_bfloat16Lj64ELj4EENSt9enable_ifIXsr10test_utilsE35device_test_enabled_for_warp_size_vIXT1_EEEvE4typeEPT_S5_S5_S4_
                                        ; -- End function
	.set _Z33warp_exclusive_scan_reduce_kernelI12hip_bfloat16Lj64ELj4EENSt9enable_ifIXsr10test_utilsE35device_test_enabled_for_warp_size_vIXT1_EEEvE4typeEPT_S5_S5_S4_.num_vgpr, 10
	.set _Z33warp_exclusive_scan_reduce_kernelI12hip_bfloat16Lj64ELj4EENSt9enable_ifIXsr10test_utilsE35device_test_enabled_for_warp_size_vIXT1_EEEvE4typeEPT_S5_S5_S4_.num_agpr, 0
	.set _Z33warp_exclusive_scan_reduce_kernelI12hip_bfloat16Lj64ELj4EENSt9enable_ifIXsr10test_utilsE35device_test_enabled_for_warp_size_vIXT1_EEEvE4typeEPT_S5_S5_S4_.numbered_sgpr, 10
	.set _Z33warp_exclusive_scan_reduce_kernelI12hip_bfloat16Lj64ELj4EENSt9enable_ifIXsr10test_utilsE35device_test_enabled_for_warp_size_vIXT1_EEEvE4typeEPT_S5_S5_S4_.num_named_barrier, 0
	.set _Z33warp_exclusive_scan_reduce_kernelI12hip_bfloat16Lj64ELj4EENSt9enable_ifIXsr10test_utilsE35device_test_enabled_for_warp_size_vIXT1_EEEvE4typeEPT_S5_S5_S4_.private_seg_size, 0
	.set _Z33warp_exclusive_scan_reduce_kernelI12hip_bfloat16Lj64ELj4EENSt9enable_ifIXsr10test_utilsE35device_test_enabled_for_warp_size_vIXT1_EEEvE4typeEPT_S5_S5_S4_.uses_vcc, 1
	.set _Z33warp_exclusive_scan_reduce_kernelI12hip_bfloat16Lj64ELj4EENSt9enable_ifIXsr10test_utilsE35device_test_enabled_for_warp_size_vIXT1_EEEvE4typeEPT_S5_S5_S4_.uses_flat_scratch, 0
	.set _Z33warp_exclusive_scan_reduce_kernelI12hip_bfloat16Lj64ELj4EENSt9enable_ifIXsr10test_utilsE35device_test_enabled_for_warp_size_vIXT1_EEEvE4typeEPT_S5_S5_S4_.has_dyn_sized_stack, 0
	.set _Z33warp_exclusive_scan_reduce_kernelI12hip_bfloat16Lj64ELj4EENSt9enable_ifIXsr10test_utilsE35device_test_enabled_for_warp_size_vIXT1_EEEvE4typeEPT_S5_S5_S4_.has_recursion, 0
	.set _Z33warp_exclusive_scan_reduce_kernelI12hip_bfloat16Lj64ELj4EENSt9enable_ifIXsr10test_utilsE35device_test_enabled_for_warp_size_vIXT1_EEEvE4typeEPT_S5_S5_S4_.has_indirect_call, 0
	.section	.AMDGPU.csdata,"",@progbits
; Kernel info:
; codeLenInByte = 588
; TotalNumSgprs: 14
; NumVgprs: 10
; ScratchSize: 0
; MemoryBound: 0
; FloatMode: 240
; IeeeMode: 1
; LDSByteSize: 0 bytes/workgroup (compile time only)
; SGPRBlocks: 1
; VGPRBlocks: 2
; NumSGPRsForWavesPerEU: 14
; NumVGPRsForWavesPerEU: 10
; Occupancy: 10
; WaveLimiterHint : 0
; COMPUTE_PGM_RSRC2:SCRATCH_EN: 0
; COMPUTE_PGM_RSRC2:USER_SGPR: 6
; COMPUTE_PGM_RSRC2:TRAP_HANDLER: 0
; COMPUTE_PGM_RSRC2:TGID_X_EN: 1
; COMPUTE_PGM_RSRC2:TGID_Y_EN: 0
; COMPUTE_PGM_RSRC2:TGID_Z_EN: 0
; COMPUTE_PGM_RSRC2:TIDIG_COMP_CNT: 0
	.section	.text._Z33warp_exclusive_scan_reduce_kernelI12hip_bfloat16Lj32ELj2EENSt9enable_ifIXsr10test_utilsE35device_test_enabled_for_warp_size_vIXT1_EEEvE4typeEPT_S5_S5_S4_,"axG",@progbits,_Z33warp_exclusive_scan_reduce_kernelI12hip_bfloat16Lj32ELj2EENSt9enable_ifIXsr10test_utilsE35device_test_enabled_for_warp_size_vIXT1_EEEvE4typeEPT_S5_S5_S4_,comdat
	.protected	_Z33warp_exclusive_scan_reduce_kernelI12hip_bfloat16Lj32ELj2EENSt9enable_ifIXsr10test_utilsE35device_test_enabled_for_warp_size_vIXT1_EEEvE4typeEPT_S5_S5_S4_ ; -- Begin function _Z33warp_exclusive_scan_reduce_kernelI12hip_bfloat16Lj32ELj2EENSt9enable_ifIXsr10test_utilsE35device_test_enabled_for_warp_size_vIXT1_EEEvE4typeEPT_S5_S5_S4_
	.globl	_Z33warp_exclusive_scan_reduce_kernelI12hip_bfloat16Lj32ELj2EENSt9enable_ifIXsr10test_utilsE35device_test_enabled_for_warp_size_vIXT1_EEEvE4typeEPT_S5_S5_S4_
	.p2align	8
	.type	_Z33warp_exclusive_scan_reduce_kernelI12hip_bfloat16Lj32ELj2EENSt9enable_ifIXsr10test_utilsE35device_test_enabled_for_warp_size_vIXT1_EEEvE4typeEPT_S5_S5_S4_,@function
_Z33warp_exclusive_scan_reduce_kernelI12hip_bfloat16Lj32ELj2EENSt9enable_ifIXsr10test_utilsE35device_test_enabled_for_warp_size_vIXT1_EEEvE4typeEPT_S5_S5_S4_: ; @_Z33warp_exclusive_scan_reduce_kernelI12hip_bfloat16Lj32ELj2EENSt9enable_ifIXsr10test_utilsE35device_test_enabled_for_warp_size_vIXT1_EEEvE4typeEPT_S5_S5_S4_
; %bb.0:
	s_load_dword s7, s[4:5], 0x2c
	s_load_dwordx4 s[0:3], s[4:5], 0x0
	v_mov_b32_e32 v2, 0
	s_waitcnt lgkmcnt(0)
	s_and_b32 s7, s7, 0xffff
	s_mul_i32 s6, s6, s7
	v_add_u32_e32 v1, s6, v0
	v_lshlrev_b64 v[2:3], 1, v[1:2]
	v_mov_b32_e32 v5, s1
	v_add_co_u32_e32 v4, vcc, s0, v2
	v_addc_co_u32_e32 v5, vcc, v5, v3, vcc
	global_load_ushort v4, v[4:5], off
	s_mov_b32 s0, 0x7f800000
	s_waitcnt vmcnt(0)
	v_lshlrev_b32_e32 v6, 16, v4
	v_mov_b32_dpp v5, v4 row_shr:1 row_mask:0xf bank_mask:0xf
	v_lshlrev_b32_e32 v5, 16, v5
	v_add_f32_e32 v5, v6, v5
	v_and_b32_e32 v6, 0x7f800000, v5
	v_cmp_ne_u32_e32 vcc, s0, v6
                                        ; implicit-def: $vgpr6
	s_and_saveexec_b64 s[0:1], vcc
	s_xor_b64 s[0:1], exec, s[0:1]
; %bb.1:
	v_bfe_u32 v6, v5, 16, 1
	s_movk_i32 s6, 0x7fff
	v_add3_u32 v6, v5, v6, s6
                                        ; implicit-def: $vgpr5
; %bb.2:
	s_or_saveexec_b64 s[0:1], s[0:1]
	s_load_dwordx2 s[6:7], s[4:5], 0x10
	s_xor_b64 exec, exec, s[0:1]
; %bb.3:
	v_mov_b32_e32 v6, 0
	v_or_b32_e32 v7, 0x10000, v5
	v_cmp_eq_u32_sdwa vcc, v5, v6 src0_sel:WORD_0 src1_sel:DWORD
	v_cndmask_b32_e32 v6, v7, v5, vcc
; %bb.4:
	s_or_b64 exec, exec, s[0:1]
	v_mbcnt_lo_u32_b32 v5, -1, 0
	s_load_dword s8, s[4:5], 0x18
	v_mbcnt_hi_u32_b32 v5, -1, v5
	v_and_b32_e32 v7, 1, v5
	v_cmp_eq_u32_e32 vcc, 0, v7
	v_cndmask_b32_sdwa v6, v6, v4, vcc dst_sel:DWORD dst_unused:UNUSED_PAD src0_sel:WORD_1 src1_sel:DWORD
	v_lshl_or_b32 v4, v5, 2, 4
	ds_bpermute_b32 v4, v4, v6
	s_waitcnt lgkmcnt(0)
	s_lshl_b32 s0, s8, 16
	v_lshlrev_b32_e32 v6, 16, v6
	v_add_f32_e32 v6, s0, v6
	s_mov_b32 s0, 0x7f800000
	v_and_b32_e32 v7, 0x7f800000, v6
	v_cmp_ne_u32_e64 s[0:1], s0, v7
                                        ; implicit-def: $vgpr7
	s_and_saveexec_b64 s[4:5], s[0:1]
	s_xor_b64 s[0:1], exec, s[4:5]
; %bb.5:
	v_bfe_u32 v7, v6, 16, 1
	s_movk_i32 s4, 0x7fff
	v_add3_u32 v7, v6, v7, s4
                                        ; implicit-def: $vgpr6
; %bb.6:
	s_andn2_saveexec_b64 s[4:5], s[0:1]
; %bb.7:
	v_mov_b32_e32 v7, 0
	v_or_b32_e32 v8, 0x10000, v6
	v_cmp_eq_u32_sdwa s[0:1], v6, v7 src0_sel:WORD_0 src1_sel:DWORD
	v_cndmask_b32_e64 v7, v8, v6, s[0:1]
; %bb.8:
	s_or_b64 exec, exec, s[4:5]
	v_and_b32_e32 v6, 0x7e, v5
	v_add_u32_e32 v8, -1, v5
	v_cmp_lt_i32_e64 s[0:1], v8, v6
	v_cndmask_b32_e64 v5, v8, v5, s[0:1]
	v_lshrrev_b32_e32 v7, 16, v7
	v_lshlrev_b32_e32 v5, 2, v5
	ds_bpermute_b32 v5, v5, v7
	v_mov_b32_e32 v6, s8
	v_and_b32_e32 v0, 1, v0
	s_waitcnt lgkmcnt(0)
	v_cndmask_b32_e32 v5, v5, v6, vcc
	v_mov_b32_e32 v6, s3
	v_add_co_u32_e32 v2, vcc, s2, v2
	v_addc_co_u32_e32 v3, vcc, v6, v3, vcc
	v_cmp_eq_u32_e32 vcc, 0, v0
	global_store_short v[2:3], v5, off
	s_and_saveexec_b64 s[0:1], vcc
	s_cbranch_execz .LBB195_10
; %bb.9:
	v_and_b32_e32 v0, -2, v1
	global_store_short v0, v4, s[6:7]
.LBB195_10:
	s_endpgm
	.section	.rodata,"a",@progbits
	.p2align	6, 0x0
	.amdhsa_kernel _Z33warp_exclusive_scan_reduce_kernelI12hip_bfloat16Lj32ELj2EENSt9enable_ifIXsr10test_utilsE35device_test_enabled_for_warp_size_vIXT1_EEEvE4typeEPT_S5_S5_S4_
		.amdhsa_group_segment_fixed_size 0
		.amdhsa_private_segment_fixed_size 0
		.amdhsa_kernarg_size 288
		.amdhsa_user_sgpr_count 6
		.amdhsa_user_sgpr_private_segment_buffer 1
		.amdhsa_user_sgpr_dispatch_ptr 0
		.amdhsa_user_sgpr_queue_ptr 0
		.amdhsa_user_sgpr_kernarg_segment_ptr 1
		.amdhsa_user_sgpr_dispatch_id 0
		.amdhsa_user_sgpr_flat_scratch_init 0
		.amdhsa_user_sgpr_private_segment_size 0
		.amdhsa_uses_dynamic_stack 0
		.amdhsa_system_sgpr_private_segment_wavefront_offset 0
		.amdhsa_system_sgpr_workgroup_id_x 1
		.amdhsa_system_sgpr_workgroup_id_y 0
		.amdhsa_system_sgpr_workgroup_id_z 0
		.amdhsa_system_sgpr_workgroup_info 0
		.amdhsa_system_vgpr_workitem_id 0
		.amdhsa_next_free_vgpr 9
		.amdhsa_next_free_sgpr 9
		.amdhsa_reserve_vcc 1
		.amdhsa_reserve_flat_scratch 0
		.amdhsa_float_round_mode_32 0
		.amdhsa_float_round_mode_16_64 0
		.amdhsa_float_denorm_mode_32 3
		.amdhsa_float_denorm_mode_16_64 3
		.amdhsa_dx10_clamp 1
		.amdhsa_ieee_mode 1
		.amdhsa_fp16_overflow 0
		.amdhsa_exception_fp_ieee_invalid_op 0
		.amdhsa_exception_fp_denorm_src 0
		.amdhsa_exception_fp_ieee_div_zero 0
		.amdhsa_exception_fp_ieee_overflow 0
		.amdhsa_exception_fp_ieee_underflow 0
		.amdhsa_exception_fp_ieee_inexact 0
		.amdhsa_exception_int_div_zero 0
	.end_amdhsa_kernel
	.section	.text._Z33warp_exclusive_scan_reduce_kernelI12hip_bfloat16Lj32ELj2EENSt9enable_ifIXsr10test_utilsE35device_test_enabled_for_warp_size_vIXT1_EEEvE4typeEPT_S5_S5_S4_,"axG",@progbits,_Z33warp_exclusive_scan_reduce_kernelI12hip_bfloat16Lj32ELj2EENSt9enable_ifIXsr10test_utilsE35device_test_enabled_for_warp_size_vIXT1_EEEvE4typeEPT_S5_S5_S4_,comdat
.Lfunc_end195:
	.size	_Z33warp_exclusive_scan_reduce_kernelI12hip_bfloat16Lj32ELj2EENSt9enable_ifIXsr10test_utilsE35device_test_enabled_for_warp_size_vIXT1_EEEvE4typeEPT_S5_S5_S4_, .Lfunc_end195-_Z33warp_exclusive_scan_reduce_kernelI12hip_bfloat16Lj32ELj2EENSt9enable_ifIXsr10test_utilsE35device_test_enabled_for_warp_size_vIXT1_EEEvE4typeEPT_S5_S5_S4_
                                        ; -- End function
	.set _Z33warp_exclusive_scan_reduce_kernelI12hip_bfloat16Lj32ELj2EENSt9enable_ifIXsr10test_utilsE35device_test_enabled_for_warp_size_vIXT1_EEEvE4typeEPT_S5_S5_S4_.num_vgpr, 9
	.set _Z33warp_exclusive_scan_reduce_kernelI12hip_bfloat16Lj32ELj2EENSt9enable_ifIXsr10test_utilsE35device_test_enabled_for_warp_size_vIXT1_EEEvE4typeEPT_S5_S5_S4_.num_agpr, 0
	.set _Z33warp_exclusive_scan_reduce_kernelI12hip_bfloat16Lj32ELj2EENSt9enable_ifIXsr10test_utilsE35device_test_enabled_for_warp_size_vIXT1_EEEvE4typeEPT_S5_S5_S4_.numbered_sgpr, 9
	.set _Z33warp_exclusive_scan_reduce_kernelI12hip_bfloat16Lj32ELj2EENSt9enable_ifIXsr10test_utilsE35device_test_enabled_for_warp_size_vIXT1_EEEvE4typeEPT_S5_S5_S4_.num_named_barrier, 0
	.set _Z33warp_exclusive_scan_reduce_kernelI12hip_bfloat16Lj32ELj2EENSt9enable_ifIXsr10test_utilsE35device_test_enabled_for_warp_size_vIXT1_EEEvE4typeEPT_S5_S5_S4_.private_seg_size, 0
	.set _Z33warp_exclusive_scan_reduce_kernelI12hip_bfloat16Lj32ELj2EENSt9enable_ifIXsr10test_utilsE35device_test_enabled_for_warp_size_vIXT1_EEEvE4typeEPT_S5_S5_S4_.uses_vcc, 1
	.set _Z33warp_exclusive_scan_reduce_kernelI12hip_bfloat16Lj32ELj2EENSt9enable_ifIXsr10test_utilsE35device_test_enabled_for_warp_size_vIXT1_EEEvE4typeEPT_S5_S5_S4_.uses_flat_scratch, 0
	.set _Z33warp_exclusive_scan_reduce_kernelI12hip_bfloat16Lj32ELj2EENSt9enable_ifIXsr10test_utilsE35device_test_enabled_for_warp_size_vIXT1_EEEvE4typeEPT_S5_S5_S4_.has_dyn_sized_stack, 0
	.set _Z33warp_exclusive_scan_reduce_kernelI12hip_bfloat16Lj32ELj2EENSt9enable_ifIXsr10test_utilsE35device_test_enabled_for_warp_size_vIXT1_EEEvE4typeEPT_S5_S5_S4_.has_recursion, 0
	.set _Z33warp_exclusive_scan_reduce_kernelI12hip_bfloat16Lj32ELj2EENSt9enable_ifIXsr10test_utilsE35device_test_enabled_for_warp_size_vIXT1_EEEvE4typeEPT_S5_S5_S4_.has_indirect_call, 0
	.section	.AMDGPU.csdata,"",@progbits
; Kernel info:
; codeLenInByte = 452
; TotalNumSgprs: 13
; NumVgprs: 9
; ScratchSize: 0
; MemoryBound: 0
; FloatMode: 240
; IeeeMode: 1
; LDSByteSize: 0 bytes/workgroup (compile time only)
; SGPRBlocks: 1
; VGPRBlocks: 2
; NumSGPRsForWavesPerEU: 13
; NumVGPRsForWavesPerEU: 9
; Occupancy: 10
; WaveLimiterHint : 0
; COMPUTE_PGM_RSRC2:SCRATCH_EN: 0
; COMPUTE_PGM_RSRC2:USER_SGPR: 6
; COMPUTE_PGM_RSRC2:TRAP_HANDLER: 0
; COMPUTE_PGM_RSRC2:TGID_X_EN: 1
; COMPUTE_PGM_RSRC2:TGID_Y_EN: 0
; COMPUTE_PGM_RSRC2:TGID_Z_EN: 0
; COMPUTE_PGM_RSRC2:TIDIG_COMP_CNT: 0
	.section	.text._Z33warp_exclusive_scan_reduce_kernelI12hip_bfloat16Lj64ELj2EENSt9enable_ifIXsr10test_utilsE35device_test_enabled_for_warp_size_vIXT1_EEEvE4typeEPT_S5_S5_S4_,"axG",@progbits,_Z33warp_exclusive_scan_reduce_kernelI12hip_bfloat16Lj64ELj2EENSt9enable_ifIXsr10test_utilsE35device_test_enabled_for_warp_size_vIXT1_EEEvE4typeEPT_S5_S5_S4_,comdat
	.protected	_Z33warp_exclusive_scan_reduce_kernelI12hip_bfloat16Lj64ELj2EENSt9enable_ifIXsr10test_utilsE35device_test_enabled_for_warp_size_vIXT1_EEEvE4typeEPT_S5_S5_S4_ ; -- Begin function _Z33warp_exclusive_scan_reduce_kernelI12hip_bfloat16Lj64ELj2EENSt9enable_ifIXsr10test_utilsE35device_test_enabled_for_warp_size_vIXT1_EEEvE4typeEPT_S5_S5_S4_
	.globl	_Z33warp_exclusive_scan_reduce_kernelI12hip_bfloat16Lj64ELj2EENSt9enable_ifIXsr10test_utilsE35device_test_enabled_for_warp_size_vIXT1_EEEvE4typeEPT_S5_S5_S4_
	.p2align	8
	.type	_Z33warp_exclusive_scan_reduce_kernelI12hip_bfloat16Lj64ELj2EENSt9enable_ifIXsr10test_utilsE35device_test_enabled_for_warp_size_vIXT1_EEEvE4typeEPT_S5_S5_S4_,@function
_Z33warp_exclusive_scan_reduce_kernelI12hip_bfloat16Lj64ELj2EENSt9enable_ifIXsr10test_utilsE35device_test_enabled_for_warp_size_vIXT1_EEEvE4typeEPT_S5_S5_S4_: ; @_Z33warp_exclusive_scan_reduce_kernelI12hip_bfloat16Lj64ELj2EENSt9enable_ifIXsr10test_utilsE35device_test_enabled_for_warp_size_vIXT1_EEEvE4typeEPT_S5_S5_S4_
; %bb.0:
	s_load_dword s7, s[4:5], 0x2c
	s_load_dwordx4 s[0:3], s[4:5], 0x0
	v_mov_b32_e32 v2, 0
	s_waitcnt lgkmcnt(0)
	s_and_b32 s7, s7, 0xffff
	s_mul_i32 s6, s6, s7
	v_add_u32_e32 v1, s6, v0
	v_lshlrev_b64 v[2:3], 1, v[1:2]
	v_mov_b32_e32 v5, s1
	v_add_co_u32_e32 v4, vcc, s0, v2
	v_addc_co_u32_e32 v5, vcc, v5, v3, vcc
	global_load_ushort v4, v[4:5], off
	s_mov_b32 s0, 0x7f800000
	s_waitcnt vmcnt(0)
	v_lshlrev_b32_e32 v6, 16, v4
	v_mov_b32_dpp v5, v4 row_shr:1 row_mask:0xf bank_mask:0xf
	v_lshlrev_b32_e32 v5, 16, v5
	v_add_f32_e32 v5, v6, v5
	v_and_b32_e32 v6, 0x7f800000, v5
	v_cmp_ne_u32_e32 vcc, s0, v6
                                        ; implicit-def: $vgpr6
	s_and_saveexec_b64 s[0:1], vcc
	s_xor_b64 s[0:1], exec, s[0:1]
; %bb.1:
	v_bfe_u32 v6, v5, 16, 1
	s_movk_i32 s6, 0x7fff
	v_add3_u32 v6, v5, v6, s6
                                        ; implicit-def: $vgpr5
; %bb.2:
	s_or_saveexec_b64 s[0:1], s[0:1]
	s_load_dwordx2 s[6:7], s[4:5], 0x10
	s_xor_b64 exec, exec, s[0:1]
; %bb.3:
	v_mov_b32_e32 v6, 0
	v_or_b32_e32 v7, 0x10000, v5
	v_cmp_eq_u32_sdwa vcc, v5, v6 src0_sel:WORD_0 src1_sel:DWORD
	v_cndmask_b32_e32 v6, v7, v5, vcc
; %bb.4:
	s_or_b64 exec, exec, s[0:1]
	v_mbcnt_lo_u32_b32 v5, -1, 0
	s_load_dword s8, s[4:5], 0x18
	v_mbcnt_hi_u32_b32 v5, -1, v5
	v_and_b32_e32 v7, 1, v5
	v_cmp_eq_u32_e32 vcc, 0, v7
	v_cndmask_b32_sdwa v6, v6, v4, vcc dst_sel:DWORD dst_unused:UNUSED_PAD src0_sel:WORD_1 src1_sel:DWORD
	v_lshl_or_b32 v4, v5, 2, 4
	ds_bpermute_b32 v4, v4, v6
	s_waitcnt lgkmcnt(0)
	s_lshl_b32 s0, s8, 16
	v_lshlrev_b32_e32 v6, 16, v6
	v_add_f32_e32 v6, s0, v6
	s_mov_b32 s0, 0x7f800000
	v_and_b32_e32 v7, 0x7f800000, v6
	v_cmp_ne_u32_e64 s[0:1], s0, v7
                                        ; implicit-def: $vgpr7
	s_and_saveexec_b64 s[4:5], s[0:1]
	s_xor_b64 s[0:1], exec, s[4:5]
; %bb.5:
	v_bfe_u32 v7, v6, 16, 1
	s_movk_i32 s4, 0x7fff
	v_add3_u32 v7, v6, v7, s4
                                        ; implicit-def: $vgpr6
; %bb.6:
	s_andn2_saveexec_b64 s[4:5], s[0:1]
; %bb.7:
	v_mov_b32_e32 v7, 0
	v_or_b32_e32 v8, 0x10000, v6
	v_cmp_eq_u32_sdwa s[0:1], v6, v7 src0_sel:WORD_0 src1_sel:DWORD
	v_cndmask_b32_e64 v7, v8, v6, s[0:1]
; %bb.8:
	s_or_b64 exec, exec, s[4:5]
	v_and_b32_e32 v6, 0x7e, v5
	v_add_u32_e32 v8, -1, v5
	v_cmp_lt_i32_e64 s[0:1], v8, v6
	v_cndmask_b32_e64 v5, v8, v5, s[0:1]
	v_lshrrev_b32_e32 v7, 16, v7
	v_lshlrev_b32_e32 v5, 2, v5
	ds_bpermute_b32 v5, v5, v7
	v_mov_b32_e32 v6, s8
	v_and_b32_e32 v0, 1, v0
	s_waitcnt lgkmcnt(0)
	v_cndmask_b32_e32 v5, v5, v6, vcc
	v_mov_b32_e32 v6, s3
	v_add_co_u32_e32 v2, vcc, s2, v2
	v_addc_co_u32_e32 v3, vcc, v6, v3, vcc
	v_cmp_eq_u32_e32 vcc, 0, v0
	global_store_short v[2:3], v5, off
	s_and_saveexec_b64 s[0:1], vcc
	s_cbranch_execz .LBB196_10
; %bb.9:
	v_and_b32_e32 v0, -2, v1
	global_store_short v0, v4, s[6:7]
.LBB196_10:
	s_endpgm
	.section	.rodata,"a",@progbits
	.p2align	6, 0x0
	.amdhsa_kernel _Z33warp_exclusive_scan_reduce_kernelI12hip_bfloat16Lj64ELj2EENSt9enable_ifIXsr10test_utilsE35device_test_enabled_for_warp_size_vIXT1_EEEvE4typeEPT_S5_S5_S4_
		.amdhsa_group_segment_fixed_size 0
		.amdhsa_private_segment_fixed_size 0
		.amdhsa_kernarg_size 288
		.amdhsa_user_sgpr_count 6
		.amdhsa_user_sgpr_private_segment_buffer 1
		.amdhsa_user_sgpr_dispatch_ptr 0
		.amdhsa_user_sgpr_queue_ptr 0
		.amdhsa_user_sgpr_kernarg_segment_ptr 1
		.amdhsa_user_sgpr_dispatch_id 0
		.amdhsa_user_sgpr_flat_scratch_init 0
		.amdhsa_user_sgpr_private_segment_size 0
		.amdhsa_uses_dynamic_stack 0
		.amdhsa_system_sgpr_private_segment_wavefront_offset 0
		.amdhsa_system_sgpr_workgroup_id_x 1
		.amdhsa_system_sgpr_workgroup_id_y 0
		.amdhsa_system_sgpr_workgroup_id_z 0
		.amdhsa_system_sgpr_workgroup_info 0
		.amdhsa_system_vgpr_workitem_id 0
		.amdhsa_next_free_vgpr 9
		.amdhsa_next_free_sgpr 9
		.amdhsa_reserve_vcc 1
		.amdhsa_reserve_flat_scratch 0
		.amdhsa_float_round_mode_32 0
		.amdhsa_float_round_mode_16_64 0
		.amdhsa_float_denorm_mode_32 3
		.amdhsa_float_denorm_mode_16_64 3
		.amdhsa_dx10_clamp 1
		.amdhsa_ieee_mode 1
		.amdhsa_fp16_overflow 0
		.amdhsa_exception_fp_ieee_invalid_op 0
		.amdhsa_exception_fp_denorm_src 0
		.amdhsa_exception_fp_ieee_div_zero 0
		.amdhsa_exception_fp_ieee_overflow 0
		.amdhsa_exception_fp_ieee_underflow 0
		.amdhsa_exception_fp_ieee_inexact 0
		.amdhsa_exception_int_div_zero 0
	.end_amdhsa_kernel
	.section	.text._Z33warp_exclusive_scan_reduce_kernelI12hip_bfloat16Lj64ELj2EENSt9enable_ifIXsr10test_utilsE35device_test_enabled_for_warp_size_vIXT1_EEEvE4typeEPT_S5_S5_S4_,"axG",@progbits,_Z33warp_exclusive_scan_reduce_kernelI12hip_bfloat16Lj64ELj2EENSt9enable_ifIXsr10test_utilsE35device_test_enabled_for_warp_size_vIXT1_EEEvE4typeEPT_S5_S5_S4_,comdat
.Lfunc_end196:
	.size	_Z33warp_exclusive_scan_reduce_kernelI12hip_bfloat16Lj64ELj2EENSt9enable_ifIXsr10test_utilsE35device_test_enabled_for_warp_size_vIXT1_EEEvE4typeEPT_S5_S5_S4_, .Lfunc_end196-_Z33warp_exclusive_scan_reduce_kernelI12hip_bfloat16Lj64ELj2EENSt9enable_ifIXsr10test_utilsE35device_test_enabled_for_warp_size_vIXT1_EEEvE4typeEPT_S5_S5_S4_
                                        ; -- End function
	.set _Z33warp_exclusive_scan_reduce_kernelI12hip_bfloat16Lj64ELj2EENSt9enable_ifIXsr10test_utilsE35device_test_enabled_for_warp_size_vIXT1_EEEvE4typeEPT_S5_S5_S4_.num_vgpr, 9
	.set _Z33warp_exclusive_scan_reduce_kernelI12hip_bfloat16Lj64ELj2EENSt9enable_ifIXsr10test_utilsE35device_test_enabled_for_warp_size_vIXT1_EEEvE4typeEPT_S5_S5_S4_.num_agpr, 0
	.set _Z33warp_exclusive_scan_reduce_kernelI12hip_bfloat16Lj64ELj2EENSt9enable_ifIXsr10test_utilsE35device_test_enabled_for_warp_size_vIXT1_EEEvE4typeEPT_S5_S5_S4_.numbered_sgpr, 9
	.set _Z33warp_exclusive_scan_reduce_kernelI12hip_bfloat16Lj64ELj2EENSt9enable_ifIXsr10test_utilsE35device_test_enabled_for_warp_size_vIXT1_EEEvE4typeEPT_S5_S5_S4_.num_named_barrier, 0
	.set _Z33warp_exclusive_scan_reduce_kernelI12hip_bfloat16Lj64ELj2EENSt9enable_ifIXsr10test_utilsE35device_test_enabled_for_warp_size_vIXT1_EEEvE4typeEPT_S5_S5_S4_.private_seg_size, 0
	.set _Z33warp_exclusive_scan_reduce_kernelI12hip_bfloat16Lj64ELj2EENSt9enable_ifIXsr10test_utilsE35device_test_enabled_for_warp_size_vIXT1_EEEvE4typeEPT_S5_S5_S4_.uses_vcc, 1
	.set _Z33warp_exclusive_scan_reduce_kernelI12hip_bfloat16Lj64ELj2EENSt9enable_ifIXsr10test_utilsE35device_test_enabled_for_warp_size_vIXT1_EEEvE4typeEPT_S5_S5_S4_.uses_flat_scratch, 0
	.set _Z33warp_exclusive_scan_reduce_kernelI12hip_bfloat16Lj64ELj2EENSt9enable_ifIXsr10test_utilsE35device_test_enabled_for_warp_size_vIXT1_EEEvE4typeEPT_S5_S5_S4_.has_dyn_sized_stack, 0
	.set _Z33warp_exclusive_scan_reduce_kernelI12hip_bfloat16Lj64ELj2EENSt9enable_ifIXsr10test_utilsE35device_test_enabled_for_warp_size_vIXT1_EEEvE4typeEPT_S5_S5_S4_.has_recursion, 0
	.set _Z33warp_exclusive_scan_reduce_kernelI12hip_bfloat16Lj64ELj2EENSt9enable_ifIXsr10test_utilsE35device_test_enabled_for_warp_size_vIXT1_EEEvE4typeEPT_S5_S5_S4_.has_indirect_call, 0
	.section	.AMDGPU.csdata,"",@progbits
; Kernel info:
; codeLenInByte = 452
; TotalNumSgprs: 13
; NumVgprs: 9
; ScratchSize: 0
; MemoryBound: 0
; FloatMode: 240
; IeeeMode: 1
; LDSByteSize: 0 bytes/workgroup (compile time only)
; SGPRBlocks: 1
; VGPRBlocks: 2
; NumSGPRsForWavesPerEU: 13
; NumVGPRsForWavesPerEU: 9
; Occupancy: 10
; WaveLimiterHint : 0
; COMPUTE_PGM_RSRC2:SCRATCH_EN: 0
; COMPUTE_PGM_RSRC2:USER_SGPR: 6
; COMPUTE_PGM_RSRC2:TRAP_HANDLER: 0
; COMPUTE_PGM_RSRC2:TGID_X_EN: 1
; COMPUTE_PGM_RSRC2:TGID_Y_EN: 0
; COMPUTE_PGM_RSRC2:TGID_Z_EN: 0
; COMPUTE_PGM_RSRC2:TIDIG_COMP_CNT: 0
	.section	.text._Z33warp_exclusive_scan_reduce_kernelI6__halfLj256ELj64EENSt9enable_ifIXsr10test_utilsE35device_test_enabled_for_warp_size_vIXT1_EEEvE4typeEPT_S5_S5_S4_,"axG",@progbits,_Z33warp_exclusive_scan_reduce_kernelI6__halfLj256ELj64EENSt9enable_ifIXsr10test_utilsE35device_test_enabled_for_warp_size_vIXT1_EEEvE4typeEPT_S5_S5_S4_,comdat
	.protected	_Z33warp_exclusive_scan_reduce_kernelI6__halfLj256ELj64EENSt9enable_ifIXsr10test_utilsE35device_test_enabled_for_warp_size_vIXT1_EEEvE4typeEPT_S5_S5_S4_ ; -- Begin function _Z33warp_exclusive_scan_reduce_kernelI6__halfLj256ELj64EENSt9enable_ifIXsr10test_utilsE35device_test_enabled_for_warp_size_vIXT1_EEEvE4typeEPT_S5_S5_S4_
	.globl	_Z33warp_exclusive_scan_reduce_kernelI6__halfLj256ELj64EENSt9enable_ifIXsr10test_utilsE35device_test_enabled_for_warp_size_vIXT1_EEEvE4typeEPT_S5_S5_S4_
	.p2align	8
	.type	_Z33warp_exclusive_scan_reduce_kernelI6__halfLj256ELj64EENSt9enable_ifIXsr10test_utilsE35device_test_enabled_for_warp_size_vIXT1_EEEvE4typeEPT_S5_S5_S4_,@function
_Z33warp_exclusive_scan_reduce_kernelI6__halfLj256ELj64EENSt9enable_ifIXsr10test_utilsE35device_test_enabled_for_warp_size_vIXT1_EEEvE4typeEPT_S5_S5_S4_: ; @_Z33warp_exclusive_scan_reduce_kernelI6__halfLj256ELj64EENSt9enable_ifIXsr10test_utilsE35device_test_enabled_for_warp_size_vIXT1_EEEvE4typeEPT_S5_S5_S4_
; %bb.0:
	s_load_dword s7, s[4:5], 0x2c
	s_load_dwordx4 s[0:3], s[4:5], 0x0
	s_load_dword s8, s[4:5], 0x18
	v_mov_b32_e32 v2, 0
	v_and_b32_e32 v7, 63, v0
	s_waitcnt lgkmcnt(0)
	s_and_b32 s7, s7, 0xffff
	s_mul_i32 s6, s6, s7
	v_add_u32_e32 v1, s6, v0
	v_lshlrev_b64 v[2:3], 1, v[1:2]
	v_mov_b32_e32 v5, s1
	v_add_co_u32_e32 v4, vcc, s0, v2
	v_addc_co_u32_e32 v5, vcc, v5, v3, vcc
	global_load_ushort v4, v[4:5], off
	v_mbcnt_lo_u32_b32 v5, -1, 0
	v_mbcnt_hi_u32_b32 v5, -1, v5
	v_and_b32_e32 v9, 64, v5
	v_subrev_co_u32_e32 v11, vcc, 1, v5
	v_cmp_lt_i32_e64 s[0:1], v11, v9
	v_cndmask_b32_e64 v9, v11, v5, s[0:1]
	v_and_b32_e32 v0, 15, v5
	v_cmp_eq_u32_e64 s[0:1], 0, v0
	v_and_b32_e32 v8, 16, v5
	v_bfrev_b32_e32 v6, 0.5
	v_lshl_or_b32 v6, v5, 2, v6
	v_lshlrev_b32_e32 v9, 2, v9
	v_mov_b32_e32 v10, s8
	v_mov_b32_e32 v12, s3
	s_waitcnt vmcnt(0)
	v_and_b32_e32 v11, 0xffff, v4
	s_nop 1
	v_mov_b32_dpp v11, v11 row_shr:1 row_mask:0xf bank_mask:0xf
	v_add_f16_e32 v11, v4, v11
	v_cndmask_b32_e64 v4, v11, v4, s[0:1]
	v_and_b32_e32 v11, 0xffff, v4
	v_cmp_lt_u32_e64 s[0:1], 1, v0
	s_nop 0
	v_mov_b32_dpp v11, v11 row_shr:2 row_mask:0xf bank_mask:0xf
	v_add_f16_e32 v11, v4, v11
	v_cndmask_b32_e64 v4, v4, v11, s[0:1]
	v_and_b32_e32 v11, 0xffff, v4
	v_cmp_lt_u32_e64 s[0:1], 3, v0
	;; [unrolled: 6-line block ×3, first 2 shown]
	s_nop 0
	v_mov_b32_dpp v11, v11 row_shr:8 row_mask:0xf bank_mask:0xf
	v_add_f16_e32 v11, v4, v11
	v_cndmask_b32_e64 v0, v4, v11, s[0:1]
	v_and_b32_e32 v4, 0xffff, v0
	v_cmp_eq_u32_e64 s[0:1], 0, v8
	s_nop 0
	v_mov_b32_dpp v4, v4 row_bcast:15 row_mask:0xf bank_mask:0xf
	v_add_f16_e32 v4, v0, v4
	v_cndmask_b32_e64 v0, v4, v0, s[0:1]
	v_and_b32_e32 v4, 0xffff, v0
	v_cmp_lt_u32_e64 s[0:1], 31, v5
	s_nop 0
	v_mov_b32_dpp v4, v4 row_bcast:31 row_mask:0xf bank_mask:0xf
	v_add_f16_e32 v4, v0, v4
	v_cndmask_b32_e64 v0, v0, v4, s[0:1]
	v_and_b32_e32 v4, 0xffff, v0
	v_add_f16_e32 v5, s8, v0
	ds_bpermute_b32 v0, v6, v4
	ds_bpermute_b32 v4, v9, v5
	v_add_co_u32_e64 v2, s[0:1], s2, v2
	v_addc_co_u32_e64 v3, s[0:1], v12, v3, s[0:1]
	s_waitcnt lgkmcnt(0)
	v_cndmask_b32_e32 v4, v4, v10, vcc
	v_cmp_eq_u32_e32 vcc, 0, v7
	global_store_short v[2:3], v4, off
	s_and_saveexec_b64 s[0:1], vcc
	s_cbranch_execz .LBB197_2
; %bb.1:
	s_load_dwordx2 s[0:1], s[4:5], 0x10
	v_lshrrev_b32_e32 v1, 5, v1
	v_and_b32_e32 v1, 0x7fffffe, v1
	s_waitcnt lgkmcnt(0)
	global_store_short v1, v0, s[0:1]
.LBB197_2:
	s_endpgm
	.section	.rodata,"a",@progbits
	.p2align	6, 0x0
	.amdhsa_kernel _Z33warp_exclusive_scan_reduce_kernelI6__halfLj256ELj64EENSt9enable_ifIXsr10test_utilsE35device_test_enabled_for_warp_size_vIXT1_EEEvE4typeEPT_S5_S5_S4_
		.amdhsa_group_segment_fixed_size 0
		.amdhsa_private_segment_fixed_size 0
		.amdhsa_kernarg_size 288
		.amdhsa_user_sgpr_count 6
		.amdhsa_user_sgpr_private_segment_buffer 1
		.amdhsa_user_sgpr_dispatch_ptr 0
		.amdhsa_user_sgpr_queue_ptr 0
		.amdhsa_user_sgpr_kernarg_segment_ptr 1
		.amdhsa_user_sgpr_dispatch_id 0
		.amdhsa_user_sgpr_flat_scratch_init 0
		.amdhsa_user_sgpr_private_segment_size 0
		.amdhsa_uses_dynamic_stack 0
		.amdhsa_system_sgpr_private_segment_wavefront_offset 0
		.amdhsa_system_sgpr_workgroup_id_x 1
		.amdhsa_system_sgpr_workgroup_id_y 0
		.amdhsa_system_sgpr_workgroup_id_z 0
		.amdhsa_system_sgpr_workgroup_info 0
		.amdhsa_system_vgpr_workitem_id 0
		.amdhsa_next_free_vgpr 13
		.amdhsa_next_free_sgpr 9
		.amdhsa_reserve_vcc 1
		.amdhsa_reserve_flat_scratch 0
		.amdhsa_float_round_mode_32 0
		.amdhsa_float_round_mode_16_64 0
		.amdhsa_float_denorm_mode_32 3
		.amdhsa_float_denorm_mode_16_64 3
		.amdhsa_dx10_clamp 1
		.amdhsa_ieee_mode 1
		.amdhsa_fp16_overflow 0
		.amdhsa_exception_fp_ieee_invalid_op 0
		.amdhsa_exception_fp_denorm_src 0
		.amdhsa_exception_fp_ieee_div_zero 0
		.amdhsa_exception_fp_ieee_overflow 0
		.amdhsa_exception_fp_ieee_underflow 0
		.amdhsa_exception_fp_ieee_inexact 0
		.amdhsa_exception_int_div_zero 0
	.end_amdhsa_kernel
	.section	.text._Z33warp_exclusive_scan_reduce_kernelI6__halfLj256ELj64EENSt9enable_ifIXsr10test_utilsE35device_test_enabled_for_warp_size_vIXT1_EEEvE4typeEPT_S5_S5_S4_,"axG",@progbits,_Z33warp_exclusive_scan_reduce_kernelI6__halfLj256ELj64EENSt9enable_ifIXsr10test_utilsE35device_test_enabled_for_warp_size_vIXT1_EEEvE4typeEPT_S5_S5_S4_,comdat
.Lfunc_end197:
	.size	_Z33warp_exclusive_scan_reduce_kernelI6__halfLj256ELj64EENSt9enable_ifIXsr10test_utilsE35device_test_enabled_for_warp_size_vIXT1_EEEvE4typeEPT_S5_S5_S4_, .Lfunc_end197-_Z33warp_exclusive_scan_reduce_kernelI6__halfLj256ELj64EENSt9enable_ifIXsr10test_utilsE35device_test_enabled_for_warp_size_vIXT1_EEEvE4typeEPT_S5_S5_S4_
                                        ; -- End function
	.set _Z33warp_exclusive_scan_reduce_kernelI6__halfLj256ELj64EENSt9enable_ifIXsr10test_utilsE35device_test_enabled_for_warp_size_vIXT1_EEEvE4typeEPT_S5_S5_S4_.num_vgpr, 13
	.set _Z33warp_exclusive_scan_reduce_kernelI6__halfLj256ELj64EENSt9enable_ifIXsr10test_utilsE35device_test_enabled_for_warp_size_vIXT1_EEEvE4typeEPT_S5_S5_S4_.num_agpr, 0
	.set _Z33warp_exclusive_scan_reduce_kernelI6__halfLj256ELj64EENSt9enable_ifIXsr10test_utilsE35device_test_enabled_for_warp_size_vIXT1_EEEvE4typeEPT_S5_S5_S4_.numbered_sgpr, 9
	.set _Z33warp_exclusive_scan_reduce_kernelI6__halfLj256ELj64EENSt9enable_ifIXsr10test_utilsE35device_test_enabled_for_warp_size_vIXT1_EEEvE4typeEPT_S5_S5_S4_.num_named_barrier, 0
	.set _Z33warp_exclusive_scan_reduce_kernelI6__halfLj256ELj64EENSt9enable_ifIXsr10test_utilsE35device_test_enabled_for_warp_size_vIXT1_EEEvE4typeEPT_S5_S5_S4_.private_seg_size, 0
	.set _Z33warp_exclusive_scan_reduce_kernelI6__halfLj256ELj64EENSt9enable_ifIXsr10test_utilsE35device_test_enabled_for_warp_size_vIXT1_EEEvE4typeEPT_S5_S5_S4_.uses_vcc, 1
	.set _Z33warp_exclusive_scan_reduce_kernelI6__halfLj256ELj64EENSt9enable_ifIXsr10test_utilsE35device_test_enabled_for_warp_size_vIXT1_EEEvE4typeEPT_S5_S5_S4_.uses_flat_scratch, 0
	.set _Z33warp_exclusive_scan_reduce_kernelI6__halfLj256ELj64EENSt9enable_ifIXsr10test_utilsE35device_test_enabled_for_warp_size_vIXT1_EEEvE4typeEPT_S5_S5_S4_.has_dyn_sized_stack, 0
	.set _Z33warp_exclusive_scan_reduce_kernelI6__halfLj256ELj64EENSt9enable_ifIXsr10test_utilsE35device_test_enabled_for_warp_size_vIXT1_EEEvE4typeEPT_S5_S5_S4_.has_recursion, 0
	.set _Z33warp_exclusive_scan_reduce_kernelI6__halfLj256ELj64EENSt9enable_ifIXsr10test_utilsE35device_test_enabled_for_warp_size_vIXT1_EEEvE4typeEPT_S5_S5_S4_.has_indirect_call, 0
	.section	.AMDGPU.csdata,"",@progbits
; Kernel info:
; codeLenInByte = 504
; TotalNumSgprs: 13
; NumVgprs: 13
; ScratchSize: 0
; MemoryBound: 0
; FloatMode: 240
; IeeeMode: 1
; LDSByteSize: 0 bytes/workgroup (compile time only)
; SGPRBlocks: 1
; VGPRBlocks: 3
; NumSGPRsForWavesPerEU: 13
; NumVGPRsForWavesPerEU: 13
; Occupancy: 10
; WaveLimiterHint : 0
; COMPUTE_PGM_RSRC2:SCRATCH_EN: 0
; COMPUTE_PGM_RSRC2:USER_SGPR: 6
; COMPUTE_PGM_RSRC2:TRAP_HANDLER: 0
; COMPUTE_PGM_RSRC2:TGID_X_EN: 1
; COMPUTE_PGM_RSRC2:TGID_Y_EN: 0
; COMPUTE_PGM_RSRC2:TGID_Z_EN: 0
; COMPUTE_PGM_RSRC2:TIDIG_COMP_CNT: 0
	.section	.text._Z33warp_exclusive_scan_reduce_kernelI6__halfLj128ELj32EENSt9enable_ifIXsr10test_utilsE35device_test_enabled_for_warp_size_vIXT1_EEEvE4typeEPT_S5_S5_S4_,"axG",@progbits,_Z33warp_exclusive_scan_reduce_kernelI6__halfLj128ELj32EENSt9enable_ifIXsr10test_utilsE35device_test_enabled_for_warp_size_vIXT1_EEEvE4typeEPT_S5_S5_S4_,comdat
	.protected	_Z33warp_exclusive_scan_reduce_kernelI6__halfLj128ELj32EENSt9enable_ifIXsr10test_utilsE35device_test_enabled_for_warp_size_vIXT1_EEEvE4typeEPT_S5_S5_S4_ ; -- Begin function _Z33warp_exclusive_scan_reduce_kernelI6__halfLj128ELj32EENSt9enable_ifIXsr10test_utilsE35device_test_enabled_for_warp_size_vIXT1_EEEvE4typeEPT_S5_S5_S4_
	.globl	_Z33warp_exclusive_scan_reduce_kernelI6__halfLj128ELj32EENSt9enable_ifIXsr10test_utilsE35device_test_enabled_for_warp_size_vIXT1_EEEvE4typeEPT_S5_S5_S4_
	.p2align	8
	.type	_Z33warp_exclusive_scan_reduce_kernelI6__halfLj128ELj32EENSt9enable_ifIXsr10test_utilsE35device_test_enabled_for_warp_size_vIXT1_EEEvE4typeEPT_S5_S5_S4_,@function
_Z33warp_exclusive_scan_reduce_kernelI6__halfLj128ELj32EENSt9enable_ifIXsr10test_utilsE35device_test_enabled_for_warp_size_vIXT1_EEEvE4typeEPT_S5_S5_S4_: ; @_Z33warp_exclusive_scan_reduce_kernelI6__halfLj128ELj32EENSt9enable_ifIXsr10test_utilsE35device_test_enabled_for_warp_size_vIXT1_EEEvE4typeEPT_S5_S5_S4_
; %bb.0:
	s_load_dword s7, s[4:5], 0x2c
	s_load_dwordx4 s[0:3], s[4:5], 0x0
	s_load_dword s8, s[4:5], 0x18
	v_mov_b32_e32 v2, 0
	v_mov_b32_e32 v6, 0x7c
	s_waitcnt lgkmcnt(0)
	s_and_b32 s7, s7, 0xffff
	s_mul_i32 s6, s6, s7
	v_add_u32_e32 v1, s6, v0
	v_lshlrev_b64 v[2:3], 1, v[1:2]
	v_mov_b32_e32 v5, s1
	v_add_co_u32_e32 v4, vcc, s0, v2
	v_addc_co_u32_e32 v5, vcc, v5, v3, vcc
	global_load_ushort v4, v[4:5], off
	v_mbcnt_lo_u32_b32 v5, -1, 0
	v_mbcnt_hi_u32_b32 v5, -1, v5
	v_and_b32_e32 v9, 0x60, v5
	v_add_u32_e32 v10, -1, v5
	v_and_b32_e32 v7, 31, v0
	v_and_b32_e32 v0, 15, v5
	v_cmp_lt_i32_e32 vcc, v10, v9
	v_and_b32_e32 v8, 16, v5
	v_lshl_or_b32 v6, v5, 2, v6
	v_and_b32_e32 v11, 31, v5
	v_cndmask_b32_e32 v5, v10, v5, vcc
	v_cmp_eq_u32_e32 vcc, 0, v0
	v_lshlrev_b32_e32 v5, 2, v5
	v_mov_b32_e32 v10, s3
	v_mov_b32_e32 v9, s8
	s_waitcnt vmcnt(0)
	v_and_b32_e32 v12, 0xffff, v4
	s_nop 1
	v_mov_b32_dpp v12, v12 row_shr:1 row_mask:0xf bank_mask:0xf
	v_add_f16_e32 v12, v4, v12
	v_cndmask_b32_e32 v4, v12, v4, vcc
	v_and_b32_e32 v12, 0xffff, v4
	v_cmp_lt_u32_e32 vcc, 1, v0
	s_nop 0
	v_mov_b32_dpp v12, v12 row_shr:2 row_mask:0xf bank_mask:0xf
	v_add_f16_e32 v12, v4, v12
	v_cndmask_b32_e32 v4, v4, v12, vcc
	v_and_b32_e32 v12, 0xffff, v4
	v_cmp_lt_u32_e32 vcc, 3, v0
	;; [unrolled: 6-line block ×3, first 2 shown]
	s_nop 0
	v_mov_b32_dpp v12, v12 row_shr:8 row_mask:0xf bank_mask:0xf
	v_add_f16_e32 v12, v4, v12
	v_cndmask_b32_e32 v0, v4, v12, vcc
	v_and_b32_e32 v4, 0xffff, v0
	v_cmp_eq_u32_e32 vcc, 0, v8
	s_nop 0
	v_mov_b32_dpp v4, v4 row_bcast:15 row_mask:0xf bank_mask:0xf
	v_add_f16_e32 v4, v0, v4
	v_cndmask_b32_e32 v0, v4, v0, vcc
	v_add_f16_e32 v4, s8, v0
	ds_bpermute_b32 v4, v5, v4
	v_and_b32_e32 v0, 0xffff, v0
	ds_bpermute_b32 v0, v6, v0
	v_add_co_u32_e32 v2, vcc, s2, v2
	v_addc_co_u32_e32 v3, vcc, v10, v3, vcc
	v_cmp_eq_u32_e32 vcc, 0, v11
	s_waitcnt lgkmcnt(1)
	v_cndmask_b32_e32 v4, v4, v9, vcc
	v_cmp_eq_u32_e32 vcc, 0, v7
	global_store_short v[2:3], v4, off
	s_and_saveexec_b64 s[0:1], vcc
	s_cbranch_execz .LBB198_2
; %bb.1:
	s_load_dwordx2 s[0:1], s[4:5], 0x10
	v_lshrrev_b32_e32 v1, 4, v1
	v_and_b32_e32 v1, 0xffffffe, v1
	s_waitcnt lgkmcnt(0)
	global_store_short v1, v0, s[0:1]
.LBB198_2:
	s_endpgm
	.section	.rodata,"a",@progbits
	.p2align	6, 0x0
	.amdhsa_kernel _Z33warp_exclusive_scan_reduce_kernelI6__halfLj128ELj32EENSt9enable_ifIXsr10test_utilsE35device_test_enabled_for_warp_size_vIXT1_EEEvE4typeEPT_S5_S5_S4_
		.amdhsa_group_segment_fixed_size 0
		.amdhsa_private_segment_fixed_size 0
		.amdhsa_kernarg_size 288
		.amdhsa_user_sgpr_count 6
		.amdhsa_user_sgpr_private_segment_buffer 1
		.amdhsa_user_sgpr_dispatch_ptr 0
		.amdhsa_user_sgpr_queue_ptr 0
		.amdhsa_user_sgpr_kernarg_segment_ptr 1
		.amdhsa_user_sgpr_dispatch_id 0
		.amdhsa_user_sgpr_flat_scratch_init 0
		.amdhsa_user_sgpr_private_segment_size 0
		.amdhsa_uses_dynamic_stack 0
		.amdhsa_system_sgpr_private_segment_wavefront_offset 0
		.amdhsa_system_sgpr_workgroup_id_x 1
		.amdhsa_system_sgpr_workgroup_id_y 0
		.amdhsa_system_sgpr_workgroup_id_z 0
		.amdhsa_system_sgpr_workgroup_info 0
		.amdhsa_system_vgpr_workitem_id 0
		.amdhsa_next_free_vgpr 13
		.amdhsa_next_free_sgpr 9
		.amdhsa_reserve_vcc 1
		.amdhsa_reserve_flat_scratch 0
		.amdhsa_float_round_mode_32 0
		.amdhsa_float_round_mode_16_64 0
		.amdhsa_float_denorm_mode_32 3
		.amdhsa_float_denorm_mode_16_64 3
		.amdhsa_dx10_clamp 1
		.amdhsa_ieee_mode 1
		.amdhsa_fp16_overflow 0
		.amdhsa_exception_fp_ieee_invalid_op 0
		.amdhsa_exception_fp_denorm_src 0
		.amdhsa_exception_fp_ieee_div_zero 0
		.amdhsa_exception_fp_ieee_overflow 0
		.amdhsa_exception_fp_ieee_underflow 0
		.amdhsa_exception_fp_ieee_inexact 0
		.amdhsa_exception_int_div_zero 0
	.end_amdhsa_kernel
	.section	.text._Z33warp_exclusive_scan_reduce_kernelI6__halfLj128ELj32EENSt9enable_ifIXsr10test_utilsE35device_test_enabled_for_warp_size_vIXT1_EEEvE4typeEPT_S5_S5_S4_,"axG",@progbits,_Z33warp_exclusive_scan_reduce_kernelI6__halfLj128ELj32EENSt9enable_ifIXsr10test_utilsE35device_test_enabled_for_warp_size_vIXT1_EEEvE4typeEPT_S5_S5_S4_,comdat
.Lfunc_end198:
	.size	_Z33warp_exclusive_scan_reduce_kernelI6__halfLj128ELj32EENSt9enable_ifIXsr10test_utilsE35device_test_enabled_for_warp_size_vIXT1_EEEvE4typeEPT_S5_S5_S4_, .Lfunc_end198-_Z33warp_exclusive_scan_reduce_kernelI6__halfLj128ELj32EENSt9enable_ifIXsr10test_utilsE35device_test_enabled_for_warp_size_vIXT1_EEEvE4typeEPT_S5_S5_S4_
                                        ; -- End function
	.set _Z33warp_exclusive_scan_reduce_kernelI6__halfLj128ELj32EENSt9enable_ifIXsr10test_utilsE35device_test_enabled_for_warp_size_vIXT1_EEEvE4typeEPT_S5_S5_S4_.num_vgpr, 13
	.set _Z33warp_exclusive_scan_reduce_kernelI6__halfLj128ELj32EENSt9enable_ifIXsr10test_utilsE35device_test_enabled_for_warp_size_vIXT1_EEEvE4typeEPT_S5_S5_S4_.num_agpr, 0
	.set _Z33warp_exclusive_scan_reduce_kernelI6__halfLj128ELj32EENSt9enable_ifIXsr10test_utilsE35device_test_enabled_for_warp_size_vIXT1_EEEvE4typeEPT_S5_S5_S4_.numbered_sgpr, 9
	.set _Z33warp_exclusive_scan_reduce_kernelI6__halfLj128ELj32EENSt9enable_ifIXsr10test_utilsE35device_test_enabled_for_warp_size_vIXT1_EEEvE4typeEPT_S5_S5_S4_.num_named_barrier, 0
	.set _Z33warp_exclusive_scan_reduce_kernelI6__halfLj128ELj32EENSt9enable_ifIXsr10test_utilsE35device_test_enabled_for_warp_size_vIXT1_EEEvE4typeEPT_S5_S5_S4_.private_seg_size, 0
	.set _Z33warp_exclusive_scan_reduce_kernelI6__halfLj128ELj32EENSt9enable_ifIXsr10test_utilsE35device_test_enabled_for_warp_size_vIXT1_EEEvE4typeEPT_S5_S5_S4_.uses_vcc, 1
	.set _Z33warp_exclusive_scan_reduce_kernelI6__halfLj128ELj32EENSt9enable_ifIXsr10test_utilsE35device_test_enabled_for_warp_size_vIXT1_EEEvE4typeEPT_S5_S5_S4_.uses_flat_scratch, 0
	.set _Z33warp_exclusive_scan_reduce_kernelI6__halfLj128ELj32EENSt9enable_ifIXsr10test_utilsE35device_test_enabled_for_warp_size_vIXT1_EEEvE4typeEPT_S5_S5_S4_.has_dyn_sized_stack, 0
	.set _Z33warp_exclusive_scan_reduce_kernelI6__halfLj128ELj32EENSt9enable_ifIXsr10test_utilsE35device_test_enabled_for_warp_size_vIXT1_EEEvE4typeEPT_S5_S5_S4_.has_recursion, 0
	.set _Z33warp_exclusive_scan_reduce_kernelI6__halfLj128ELj32EENSt9enable_ifIXsr10test_utilsE35device_test_enabled_for_warp_size_vIXT1_EEEvE4typeEPT_S5_S5_S4_.has_indirect_call, 0
	.section	.AMDGPU.csdata,"",@progbits
; Kernel info:
; codeLenInByte = 424
; TotalNumSgprs: 13
; NumVgprs: 13
; ScratchSize: 0
; MemoryBound: 0
; FloatMode: 240
; IeeeMode: 1
; LDSByteSize: 0 bytes/workgroup (compile time only)
; SGPRBlocks: 1
; VGPRBlocks: 3
; NumSGPRsForWavesPerEU: 13
; NumVGPRsForWavesPerEU: 13
; Occupancy: 10
; WaveLimiterHint : 0
; COMPUTE_PGM_RSRC2:SCRATCH_EN: 0
; COMPUTE_PGM_RSRC2:USER_SGPR: 6
; COMPUTE_PGM_RSRC2:TRAP_HANDLER: 0
; COMPUTE_PGM_RSRC2:TGID_X_EN: 1
; COMPUTE_PGM_RSRC2:TGID_Y_EN: 0
; COMPUTE_PGM_RSRC2:TGID_Z_EN: 0
; COMPUTE_PGM_RSRC2:TIDIG_COMP_CNT: 0
	.section	.text._Z33warp_exclusive_scan_reduce_kernelI6__halfLj64ELj16EENSt9enable_ifIXsr10test_utilsE35device_test_enabled_for_warp_size_vIXT1_EEEvE4typeEPT_S5_S5_S4_,"axG",@progbits,_Z33warp_exclusive_scan_reduce_kernelI6__halfLj64ELj16EENSt9enable_ifIXsr10test_utilsE35device_test_enabled_for_warp_size_vIXT1_EEEvE4typeEPT_S5_S5_S4_,comdat
	.protected	_Z33warp_exclusive_scan_reduce_kernelI6__halfLj64ELj16EENSt9enable_ifIXsr10test_utilsE35device_test_enabled_for_warp_size_vIXT1_EEEvE4typeEPT_S5_S5_S4_ ; -- Begin function _Z33warp_exclusive_scan_reduce_kernelI6__halfLj64ELj16EENSt9enable_ifIXsr10test_utilsE35device_test_enabled_for_warp_size_vIXT1_EEEvE4typeEPT_S5_S5_S4_
	.globl	_Z33warp_exclusive_scan_reduce_kernelI6__halfLj64ELj16EENSt9enable_ifIXsr10test_utilsE35device_test_enabled_for_warp_size_vIXT1_EEEvE4typeEPT_S5_S5_S4_
	.p2align	8
	.type	_Z33warp_exclusive_scan_reduce_kernelI6__halfLj64ELj16EENSt9enable_ifIXsr10test_utilsE35device_test_enabled_for_warp_size_vIXT1_EEEvE4typeEPT_S5_S5_S4_,@function
_Z33warp_exclusive_scan_reduce_kernelI6__halfLj64ELj16EENSt9enable_ifIXsr10test_utilsE35device_test_enabled_for_warp_size_vIXT1_EEEvE4typeEPT_S5_S5_S4_: ; @_Z33warp_exclusive_scan_reduce_kernelI6__halfLj64ELj16EENSt9enable_ifIXsr10test_utilsE35device_test_enabled_for_warp_size_vIXT1_EEEvE4typeEPT_S5_S5_S4_
; %bb.0:
	s_load_dword s7, s[4:5], 0x2c
	s_load_dwordx4 s[0:3], s[4:5], 0x0
	s_load_dword s8, s[4:5], 0x18
	v_mov_b32_e32 v2, 0
	v_and_b32_e32 v6, 15, v0
	s_waitcnt lgkmcnt(0)
	s_and_b32 s7, s7, 0xffff
	s_mul_i32 s6, s6, s7
	v_add_u32_e32 v1, s6, v0
	v_lshlrev_b64 v[2:3], 1, v[1:2]
	v_mov_b32_e32 v5, s1
	v_add_co_u32_e32 v4, vcc, s0, v2
	v_addc_co_u32_e32 v5, vcc, v5, v3, vcc
	global_load_ushort v4, v[4:5], off
	v_mbcnt_lo_u32_b32 v5, -1, 0
	v_mbcnt_hi_u32_b32 v5, -1, v5
	v_and_b32_e32 v7, 0x70, v5
	v_add_u32_e32 v9, -1, v5
	v_and_b32_e32 v0, 15, v5
	v_cmp_lt_i32_e32 vcc, v9, v7
	v_lshl_or_b32 v8, v5, 2, 60
	v_cndmask_b32_e32 v5, v9, v5, vcc
	v_cmp_eq_u32_e32 vcc, 0, v0
	v_cmp_lt_u32_e64 s[0:1], 1, v0
	v_lshlrev_b32_e32 v5, 2, v5
	v_mov_b32_e32 v7, s8
	v_mov_b32_e32 v9, s3
	s_waitcnt vmcnt(0)
	v_and_b32_e32 v10, 0xffff, v4
	s_nop 1
	v_mov_b32_dpp v10, v10 row_shr:1 row_mask:0xf bank_mask:0xf
	v_add_f16_e32 v10, v4, v10
	v_cndmask_b32_e32 v4, v10, v4, vcc
	v_and_b32_e32 v10, 0xffff, v4
	s_nop 1
	v_mov_b32_dpp v10, v10 row_shr:2 row_mask:0xf bank_mask:0xf
	v_add_f16_e32 v10, v4, v10
	v_cndmask_b32_e64 v4, v4, v10, s[0:1]
	v_and_b32_e32 v10, 0xffff, v4
	v_cmp_lt_u32_e64 s[0:1], 3, v0
	s_nop 0
	v_mov_b32_dpp v10, v10 row_shr:4 row_mask:0xf bank_mask:0xf
	v_add_f16_e32 v10, v4, v10
	v_cndmask_b32_e64 v4, v4, v10, s[0:1]
	v_and_b32_e32 v10, 0xffff, v4
	v_cmp_lt_u32_e64 s[0:1], 7, v0
	s_nop 0
	v_mov_b32_dpp v10, v10 row_shr:8 row_mask:0xf bank_mask:0xf
	v_add_f16_e32 v10, v4, v10
	v_cndmask_b32_e64 v0, v4, v10, s[0:1]
	v_and_b32_e32 v4, 0xffff, v0
	v_add_f16_e32 v10, s8, v0
	ds_bpermute_b32 v0, v8, v4
	ds_bpermute_b32 v4, v5, v10
	v_add_co_u32_e64 v2, s[0:1], s2, v2
	v_addc_co_u32_e64 v3, s[0:1], v9, v3, s[0:1]
	s_waitcnt lgkmcnt(0)
	v_cndmask_b32_e32 v4, v4, v7, vcc
	v_cmp_eq_u32_e32 vcc, 0, v6
	global_store_short v[2:3], v4, off
	s_and_saveexec_b64 s[0:1], vcc
	s_cbranch_execz .LBB199_2
; %bb.1:
	s_load_dwordx2 s[0:1], s[4:5], 0x10
	v_lshrrev_b32_e32 v1, 3, v1
	v_and_b32_e32 v1, 0x1ffffffe, v1
	s_waitcnt lgkmcnt(0)
	global_store_short v1, v0, s[0:1]
.LBB199_2:
	s_endpgm
	.section	.rodata,"a",@progbits
	.p2align	6, 0x0
	.amdhsa_kernel _Z33warp_exclusive_scan_reduce_kernelI6__halfLj64ELj16EENSt9enable_ifIXsr10test_utilsE35device_test_enabled_for_warp_size_vIXT1_EEEvE4typeEPT_S5_S5_S4_
		.amdhsa_group_segment_fixed_size 0
		.amdhsa_private_segment_fixed_size 0
		.amdhsa_kernarg_size 288
		.amdhsa_user_sgpr_count 6
		.amdhsa_user_sgpr_private_segment_buffer 1
		.amdhsa_user_sgpr_dispatch_ptr 0
		.amdhsa_user_sgpr_queue_ptr 0
		.amdhsa_user_sgpr_kernarg_segment_ptr 1
		.amdhsa_user_sgpr_dispatch_id 0
		.amdhsa_user_sgpr_flat_scratch_init 0
		.amdhsa_user_sgpr_private_segment_size 0
		.amdhsa_uses_dynamic_stack 0
		.amdhsa_system_sgpr_private_segment_wavefront_offset 0
		.amdhsa_system_sgpr_workgroup_id_x 1
		.amdhsa_system_sgpr_workgroup_id_y 0
		.amdhsa_system_sgpr_workgroup_id_z 0
		.amdhsa_system_sgpr_workgroup_info 0
		.amdhsa_system_vgpr_workitem_id 0
		.amdhsa_next_free_vgpr 11
		.amdhsa_next_free_sgpr 9
		.amdhsa_reserve_vcc 1
		.amdhsa_reserve_flat_scratch 0
		.amdhsa_float_round_mode_32 0
		.amdhsa_float_round_mode_16_64 0
		.amdhsa_float_denorm_mode_32 3
		.amdhsa_float_denorm_mode_16_64 3
		.amdhsa_dx10_clamp 1
		.amdhsa_ieee_mode 1
		.amdhsa_fp16_overflow 0
		.amdhsa_exception_fp_ieee_invalid_op 0
		.amdhsa_exception_fp_denorm_src 0
		.amdhsa_exception_fp_ieee_div_zero 0
		.amdhsa_exception_fp_ieee_overflow 0
		.amdhsa_exception_fp_ieee_underflow 0
		.amdhsa_exception_fp_ieee_inexact 0
		.amdhsa_exception_int_div_zero 0
	.end_amdhsa_kernel
	.section	.text._Z33warp_exclusive_scan_reduce_kernelI6__halfLj64ELj16EENSt9enable_ifIXsr10test_utilsE35device_test_enabled_for_warp_size_vIXT1_EEEvE4typeEPT_S5_S5_S4_,"axG",@progbits,_Z33warp_exclusive_scan_reduce_kernelI6__halfLj64ELj16EENSt9enable_ifIXsr10test_utilsE35device_test_enabled_for_warp_size_vIXT1_EEEvE4typeEPT_S5_S5_S4_,comdat
.Lfunc_end199:
	.size	_Z33warp_exclusive_scan_reduce_kernelI6__halfLj64ELj16EENSt9enable_ifIXsr10test_utilsE35device_test_enabled_for_warp_size_vIXT1_EEEvE4typeEPT_S5_S5_S4_, .Lfunc_end199-_Z33warp_exclusive_scan_reduce_kernelI6__halfLj64ELj16EENSt9enable_ifIXsr10test_utilsE35device_test_enabled_for_warp_size_vIXT1_EEEvE4typeEPT_S5_S5_S4_
                                        ; -- End function
	.set _Z33warp_exclusive_scan_reduce_kernelI6__halfLj64ELj16EENSt9enable_ifIXsr10test_utilsE35device_test_enabled_for_warp_size_vIXT1_EEEvE4typeEPT_S5_S5_S4_.num_vgpr, 11
	.set _Z33warp_exclusive_scan_reduce_kernelI6__halfLj64ELj16EENSt9enable_ifIXsr10test_utilsE35device_test_enabled_for_warp_size_vIXT1_EEEvE4typeEPT_S5_S5_S4_.num_agpr, 0
	.set _Z33warp_exclusive_scan_reduce_kernelI6__halfLj64ELj16EENSt9enable_ifIXsr10test_utilsE35device_test_enabled_for_warp_size_vIXT1_EEEvE4typeEPT_S5_S5_S4_.numbered_sgpr, 9
	.set _Z33warp_exclusive_scan_reduce_kernelI6__halfLj64ELj16EENSt9enable_ifIXsr10test_utilsE35device_test_enabled_for_warp_size_vIXT1_EEEvE4typeEPT_S5_S5_S4_.num_named_barrier, 0
	.set _Z33warp_exclusive_scan_reduce_kernelI6__halfLj64ELj16EENSt9enable_ifIXsr10test_utilsE35device_test_enabled_for_warp_size_vIXT1_EEEvE4typeEPT_S5_S5_S4_.private_seg_size, 0
	.set _Z33warp_exclusive_scan_reduce_kernelI6__halfLj64ELj16EENSt9enable_ifIXsr10test_utilsE35device_test_enabled_for_warp_size_vIXT1_EEEvE4typeEPT_S5_S5_S4_.uses_vcc, 1
	.set _Z33warp_exclusive_scan_reduce_kernelI6__halfLj64ELj16EENSt9enable_ifIXsr10test_utilsE35device_test_enabled_for_warp_size_vIXT1_EEEvE4typeEPT_S5_S5_S4_.uses_flat_scratch, 0
	.set _Z33warp_exclusive_scan_reduce_kernelI6__halfLj64ELj16EENSt9enable_ifIXsr10test_utilsE35device_test_enabled_for_warp_size_vIXT1_EEEvE4typeEPT_S5_S5_S4_.has_dyn_sized_stack, 0
	.set _Z33warp_exclusive_scan_reduce_kernelI6__halfLj64ELj16EENSt9enable_ifIXsr10test_utilsE35device_test_enabled_for_warp_size_vIXT1_EEEvE4typeEPT_S5_S5_S4_.has_recursion, 0
	.set _Z33warp_exclusive_scan_reduce_kernelI6__halfLj64ELj16EENSt9enable_ifIXsr10test_utilsE35device_test_enabled_for_warp_size_vIXT1_EEEvE4typeEPT_S5_S5_S4_.has_indirect_call, 0
	.section	.AMDGPU.csdata,"",@progbits
; Kernel info:
; codeLenInByte = 404
; TotalNumSgprs: 13
; NumVgprs: 11
; ScratchSize: 0
; MemoryBound: 0
; FloatMode: 240
; IeeeMode: 1
; LDSByteSize: 0 bytes/workgroup (compile time only)
; SGPRBlocks: 1
; VGPRBlocks: 2
; NumSGPRsForWavesPerEU: 13
; NumVGPRsForWavesPerEU: 11
; Occupancy: 10
; WaveLimiterHint : 0
; COMPUTE_PGM_RSRC2:SCRATCH_EN: 0
; COMPUTE_PGM_RSRC2:USER_SGPR: 6
; COMPUTE_PGM_RSRC2:TRAP_HANDLER: 0
; COMPUTE_PGM_RSRC2:TGID_X_EN: 1
; COMPUTE_PGM_RSRC2:TGID_Y_EN: 0
; COMPUTE_PGM_RSRC2:TGID_Z_EN: 0
; COMPUTE_PGM_RSRC2:TIDIG_COMP_CNT: 0
	.section	.text._Z33warp_exclusive_scan_reduce_kernelI6__halfLj32ELj8EENSt9enable_ifIXsr10test_utilsE35device_test_enabled_for_warp_size_vIXT1_EEEvE4typeEPT_S5_S5_S4_,"axG",@progbits,_Z33warp_exclusive_scan_reduce_kernelI6__halfLj32ELj8EENSt9enable_ifIXsr10test_utilsE35device_test_enabled_for_warp_size_vIXT1_EEEvE4typeEPT_S5_S5_S4_,comdat
	.protected	_Z33warp_exclusive_scan_reduce_kernelI6__halfLj32ELj8EENSt9enable_ifIXsr10test_utilsE35device_test_enabled_for_warp_size_vIXT1_EEEvE4typeEPT_S5_S5_S4_ ; -- Begin function _Z33warp_exclusive_scan_reduce_kernelI6__halfLj32ELj8EENSt9enable_ifIXsr10test_utilsE35device_test_enabled_for_warp_size_vIXT1_EEEvE4typeEPT_S5_S5_S4_
	.globl	_Z33warp_exclusive_scan_reduce_kernelI6__halfLj32ELj8EENSt9enable_ifIXsr10test_utilsE35device_test_enabled_for_warp_size_vIXT1_EEEvE4typeEPT_S5_S5_S4_
	.p2align	8
	.type	_Z33warp_exclusive_scan_reduce_kernelI6__halfLj32ELj8EENSt9enable_ifIXsr10test_utilsE35device_test_enabled_for_warp_size_vIXT1_EEEvE4typeEPT_S5_S5_S4_,@function
_Z33warp_exclusive_scan_reduce_kernelI6__halfLj32ELj8EENSt9enable_ifIXsr10test_utilsE35device_test_enabled_for_warp_size_vIXT1_EEEvE4typeEPT_S5_S5_S4_: ; @_Z33warp_exclusive_scan_reduce_kernelI6__halfLj32ELj8EENSt9enable_ifIXsr10test_utilsE35device_test_enabled_for_warp_size_vIXT1_EEEvE4typeEPT_S5_S5_S4_
; %bb.0:
	s_load_dword s7, s[4:5], 0x2c
	s_load_dwordx4 s[0:3], s[4:5], 0x0
	s_load_dword s8, s[4:5], 0x18
	v_mov_b32_e32 v2, 0
	v_and_b32_e32 v6, 7, v0
	s_waitcnt lgkmcnt(0)
	s_and_b32 s7, s7, 0xffff
	s_mul_i32 s6, s6, s7
	v_add_u32_e32 v1, s6, v0
	v_lshlrev_b64 v[2:3], 1, v[1:2]
	v_mov_b32_e32 v5, s1
	v_add_co_u32_e32 v4, vcc, s0, v2
	v_addc_co_u32_e32 v5, vcc, v5, v3, vcc
	global_load_ushort v4, v[4:5], off
	v_mbcnt_lo_u32_b32 v5, -1, 0
	v_mbcnt_hi_u32_b32 v5, -1, v5
	v_and_b32_e32 v7, 0x78, v5
	v_add_u32_e32 v9, -1, v5
	v_and_b32_e32 v0, 7, v5
	v_cmp_lt_i32_e32 vcc, v9, v7
	v_lshl_or_b32 v8, v5, 2, 28
	v_cndmask_b32_e32 v5, v9, v5, vcc
	v_cmp_eq_u32_e32 vcc, 0, v0
	v_cmp_lt_u32_e64 s[0:1], 1, v0
	v_lshlrev_b32_e32 v5, 2, v5
	v_mov_b32_e32 v7, s8
	v_mov_b32_e32 v9, s3
	s_waitcnt vmcnt(0)
	v_and_b32_e32 v10, 0xffff, v4
	s_nop 1
	v_mov_b32_dpp v10, v10 row_shr:1 row_mask:0xf bank_mask:0xf
	v_add_f16_e32 v10, v4, v10
	v_cndmask_b32_e32 v4, v10, v4, vcc
	v_and_b32_e32 v10, 0xffff, v4
	s_nop 1
	v_mov_b32_dpp v10, v10 row_shr:2 row_mask:0xf bank_mask:0xf
	v_add_f16_e32 v10, v4, v10
	v_cndmask_b32_e64 v4, v4, v10, s[0:1]
	v_and_b32_e32 v10, 0xffff, v4
	v_cmp_lt_u32_e64 s[0:1], 3, v0
	s_nop 0
	v_mov_b32_dpp v10, v10 row_shr:4 row_mask:0xf bank_mask:0xf
	v_add_f16_e32 v10, v4, v10
	v_cndmask_b32_e64 v0, v4, v10, s[0:1]
	v_and_b32_e32 v4, 0xffff, v0
	v_add_f16_e32 v10, s8, v0
	ds_bpermute_b32 v0, v8, v4
	ds_bpermute_b32 v4, v5, v10
	v_add_co_u32_e64 v2, s[0:1], s2, v2
	v_addc_co_u32_e64 v3, s[0:1], v9, v3, s[0:1]
	s_waitcnt lgkmcnt(0)
	v_cndmask_b32_e32 v4, v4, v7, vcc
	v_cmp_eq_u32_e32 vcc, 0, v6
	global_store_short v[2:3], v4, off
	s_and_saveexec_b64 s[0:1], vcc
	s_cbranch_execz .LBB200_2
; %bb.1:
	s_load_dwordx2 s[0:1], s[4:5], 0x10
	v_lshrrev_b32_e32 v1, 2, v1
	v_and_b32_e32 v1, 0x3ffffffe, v1
	s_waitcnt lgkmcnt(0)
	global_store_short v1, v0, s[0:1]
.LBB200_2:
	s_endpgm
	.section	.rodata,"a",@progbits
	.p2align	6, 0x0
	.amdhsa_kernel _Z33warp_exclusive_scan_reduce_kernelI6__halfLj32ELj8EENSt9enable_ifIXsr10test_utilsE35device_test_enabled_for_warp_size_vIXT1_EEEvE4typeEPT_S5_S5_S4_
		.amdhsa_group_segment_fixed_size 0
		.amdhsa_private_segment_fixed_size 0
		.amdhsa_kernarg_size 288
		.amdhsa_user_sgpr_count 6
		.amdhsa_user_sgpr_private_segment_buffer 1
		.amdhsa_user_sgpr_dispatch_ptr 0
		.amdhsa_user_sgpr_queue_ptr 0
		.amdhsa_user_sgpr_kernarg_segment_ptr 1
		.amdhsa_user_sgpr_dispatch_id 0
		.amdhsa_user_sgpr_flat_scratch_init 0
		.amdhsa_user_sgpr_private_segment_size 0
		.amdhsa_uses_dynamic_stack 0
		.amdhsa_system_sgpr_private_segment_wavefront_offset 0
		.amdhsa_system_sgpr_workgroup_id_x 1
		.amdhsa_system_sgpr_workgroup_id_y 0
		.amdhsa_system_sgpr_workgroup_id_z 0
		.amdhsa_system_sgpr_workgroup_info 0
		.amdhsa_system_vgpr_workitem_id 0
		.amdhsa_next_free_vgpr 11
		.amdhsa_next_free_sgpr 9
		.amdhsa_reserve_vcc 1
		.amdhsa_reserve_flat_scratch 0
		.amdhsa_float_round_mode_32 0
		.amdhsa_float_round_mode_16_64 0
		.amdhsa_float_denorm_mode_32 3
		.amdhsa_float_denorm_mode_16_64 3
		.amdhsa_dx10_clamp 1
		.amdhsa_ieee_mode 1
		.amdhsa_fp16_overflow 0
		.amdhsa_exception_fp_ieee_invalid_op 0
		.amdhsa_exception_fp_denorm_src 0
		.amdhsa_exception_fp_ieee_div_zero 0
		.amdhsa_exception_fp_ieee_overflow 0
		.amdhsa_exception_fp_ieee_underflow 0
		.amdhsa_exception_fp_ieee_inexact 0
		.amdhsa_exception_int_div_zero 0
	.end_amdhsa_kernel
	.section	.text._Z33warp_exclusive_scan_reduce_kernelI6__halfLj32ELj8EENSt9enable_ifIXsr10test_utilsE35device_test_enabled_for_warp_size_vIXT1_EEEvE4typeEPT_S5_S5_S4_,"axG",@progbits,_Z33warp_exclusive_scan_reduce_kernelI6__halfLj32ELj8EENSt9enable_ifIXsr10test_utilsE35device_test_enabled_for_warp_size_vIXT1_EEEvE4typeEPT_S5_S5_S4_,comdat
.Lfunc_end200:
	.size	_Z33warp_exclusive_scan_reduce_kernelI6__halfLj32ELj8EENSt9enable_ifIXsr10test_utilsE35device_test_enabled_for_warp_size_vIXT1_EEEvE4typeEPT_S5_S5_S4_, .Lfunc_end200-_Z33warp_exclusive_scan_reduce_kernelI6__halfLj32ELj8EENSt9enable_ifIXsr10test_utilsE35device_test_enabled_for_warp_size_vIXT1_EEEvE4typeEPT_S5_S5_S4_
                                        ; -- End function
	.set _Z33warp_exclusive_scan_reduce_kernelI6__halfLj32ELj8EENSt9enable_ifIXsr10test_utilsE35device_test_enabled_for_warp_size_vIXT1_EEEvE4typeEPT_S5_S5_S4_.num_vgpr, 11
	.set _Z33warp_exclusive_scan_reduce_kernelI6__halfLj32ELj8EENSt9enable_ifIXsr10test_utilsE35device_test_enabled_for_warp_size_vIXT1_EEEvE4typeEPT_S5_S5_S4_.num_agpr, 0
	.set _Z33warp_exclusive_scan_reduce_kernelI6__halfLj32ELj8EENSt9enable_ifIXsr10test_utilsE35device_test_enabled_for_warp_size_vIXT1_EEEvE4typeEPT_S5_S5_S4_.numbered_sgpr, 9
	.set _Z33warp_exclusive_scan_reduce_kernelI6__halfLj32ELj8EENSt9enable_ifIXsr10test_utilsE35device_test_enabled_for_warp_size_vIXT1_EEEvE4typeEPT_S5_S5_S4_.num_named_barrier, 0
	.set _Z33warp_exclusive_scan_reduce_kernelI6__halfLj32ELj8EENSt9enable_ifIXsr10test_utilsE35device_test_enabled_for_warp_size_vIXT1_EEEvE4typeEPT_S5_S5_S4_.private_seg_size, 0
	.set _Z33warp_exclusive_scan_reduce_kernelI6__halfLj32ELj8EENSt9enable_ifIXsr10test_utilsE35device_test_enabled_for_warp_size_vIXT1_EEEvE4typeEPT_S5_S5_S4_.uses_vcc, 1
	.set _Z33warp_exclusive_scan_reduce_kernelI6__halfLj32ELj8EENSt9enable_ifIXsr10test_utilsE35device_test_enabled_for_warp_size_vIXT1_EEEvE4typeEPT_S5_S5_S4_.uses_flat_scratch, 0
	.set _Z33warp_exclusive_scan_reduce_kernelI6__halfLj32ELj8EENSt9enable_ifIXsr10test_utilsE35device_test_enabled_for_warp_size_vIXT1_EEEvE4typeEPT_S5_S5_S4_.has_dyn_sized_stack, 0
	.set _Z33warp_exclusive_scan_reduce_kernelI6__halfLj32ELj8EENSt9enable_ifIXsr10test_utilsE35device_test_enabled_for_warp_size_vIXT1_EEEvE4typeEPT_S5_S5_S4_.has_recursion, 0
	.set _Z33warp_exclusive_scan_reduce_kernelI6__halfLj32ELj8EENSt9enable_ifIXsr10test_utilsE35device_test_enabled_for_warp_size_vIXT1_EEEvE4typeEPT_S5_S5_S4_.has_indirect_call, 0
	.section	.AMDGPU.csdata,"",@progbits
; Kernel info:
; codeLenInByte = 364
; TotalNumSgprs: 13
; NumVgprs: 11
; ScratchSize: 0
; MemoryBound: 0
; FloatMode: 240
; IeeeMode: 1
; LDSByteSize: 0 bytes/workgroup (compile time only)
; SGPRBlocks: 1
; VGPRBlocks: 2
; NumSGPRsForWavesPerEU: 13
; NumVGPRsForWavesPerEU: 11
; Occupancy: 10
; WaveLimiterHint : 0
; COMPUTE_PGM_RSRC2:SCRATCH_EN: 0
; COMPUTE_PGM_RSRC2:USER_SGPR: 6
; COMPUTE_PGM_RSRC2:TRAP_HANDLER: 0
; COMPUTE_PGM_RSRC2:TGID_X_EN: 1
; COMPUTE_PGM_RSRC2:TGID_Y_EN: 0
; COMPUTE_PGM_RSRC2:TGID_Z_EN: 0
; COMPUTE_PGM_RSRC2:TIDIG_COMP_CNT: 0
	.section	.text._Z33warp_exclusive_scan_reduce_kernelI6__halfLj64ELj8EENSt9enable_ifIXsr10test_utilsE35device_test_enabled_for_warp_size_vIXT1_EEEvE4typeEPT_S5_S5_S4_,"axG",@progbits,_Z33warp_exclusive_scan_reduce_kernelI6__halfLj64ELj8EENSt9enable_ifIXsr10test_utilsE35device_test_enabled_for_warp_size_vIXT1_EEEvE4typeEPT_S5_S5_S4_,comdat
	.protected	_Z33warp_exclusive_scan_reduce_kernelI6__halfLj64ELj8EENSt9enable_ifIXsr10test_utilsE35device_test_enabled_for_warp_size_vIXT1_EEEvE4typeEPT_S5_S5_S4_ ; -- Begin function _Z33warp_exclusive_scan_reduce_kernelI6__halfLj64ELj8EENSt9enable_ifIXsr10test_utilsE35device_test_enabled_for_warp_size_vIXT1_EEEvE4typeEPT_S5_S5_S4_
	.globl	_Z33warp_exclusive_scan_reduce_kernelI6__halfLj64ELj8EENSt9enable_ifIXsr10test_utilsE35device_test_enabled_for_warp_size_vIXT1_EEEvE4typeEPT_S5_S5_S4_
	.p2align	8
	.type	_Z33warp_exclusive_scan_reduce_kernelI6__halfLj64ELj8EENSt9enable_ifIXsr10test_utilsE35device_test_enabled_for_warp_size_vIXT1_EEEvE4typeEPT_S5_S5_S4_,@function
_Z33warp_exclusive_scan_reduce_kernelI6__halfLj64ELj8EENSt9enable_ifIXsr10test_utilsE35device_test_enabled_for_warp_size_vIXT1_EEEvE4typeEPT_S5_S5_S4_: ; @_Z33warp_exclusive_scan_reduce_kernelI6__halfLj64ELj8EENSt9enable_ifIXsr10test_utilsE35device_test_enabled_for_warp_size_vIXT1_EEEvE4typeEPT_S5_S5_S4_
; %bb.0:
	s_load_dword s7, s[4:5], 0x2c
	s_load_dwordx4 s[0:3], s[4:5], 0x0
	s_load_dword s8, s[4:5], 0x18
	v_mov_b32_e32 v2, 0
	v_and_b32_e32 v6, 7, v0
	s_waitcnt lgkmcnt(0)
	s_and_b32 s7, s7, 0xffff
	s_mul_i32 s6, s6, s7
	v_add_u32_e32 v1, s6, v0
	v_lshlrev_b64 v[2:3], 1, v[1:2]
	v_mov_b32_e32 v5, s1
	v_add_co_u32_e32 v4, vcc, s0, v2
	v_addc_co_u32_e32 v5, vcc, v5, v3, vcc
	global_load_ushort v4, v[4:5], off
	v_mbcnt_lo_u32_b32 v5, -1, 0
	v_mbcnt_hi_u32_b32 v5, -1, v5
	v_and_b32_e32 v7, 0x78, v5
	v_add_u32_e32 v9, -1, v5
	v_and_b32_e32 v0, 7, v5
	v_cmp_lt_i32_e32 vcc, v9, v7
	v_lshl_or_b32 v8, v5, 2, 28
	v_cndmask_b32_e32 v5, v9, v5, vcc
	v_cmp_eq_u32_e32 vcc, 0, v0
	v_cmp_lt_u32_e64 s[0:1], 1, v0
	v_lshlrev_b32_e32 v5, 2, v5
	v_mov_b32_e32 v7, s8
	v_mov_b32_e32 v9, s3
	s_waitcnt vmcnt(0)
	v_and_b32_e32 v10, 0xffff, v4
	s_nop 1
	v_mov_b32_dpp v10, v10 row_shr:1 row_mask:0xf bank_mask:0xf
	v_add_f16_e32 v10, v4, v10
	v_cndmask_b32_e32 v4, v10, v4, vcc
	v_and_b32_e32 v10, 0xffff, v4
	s_nop 1
	v_mov_b32_dpp v10, v10 row_shr:2 row_mask:0xf bank_mask:0xf
	v_add_f16_e32 v10, v4, v10
	v_cndmask_b32_e64 v4, v4, v10, s[0:1]
	v_and_b32_e32 v10, 0xffff, v4
	v_cmp_lt_u32_e64 s[0:1], 3, v0
	s_nop 0
	v_mov_b32_dpp v10, v10 row_shr:4 row_mask:0xf bank_mask:0xf
	v_add_f16_e32 v10, v4, v10
	v_cndmask_b32_e64 v0, v4, v10, s[0:1]
	v_and_b32_e32 v4, 0xffff, v0
	v_add_f16_e32 v10, s8, v0
	ds_bpermute_b32 v0, v8, v4
	ds_bpermute_b32 v4, v5, v10
	v_add_co_u32_e64 v2, s[0:1], s2, v2
	v_addc_co_u32_e64 v3, s[0:1], v9, v3, s[0:1]
	s_waitcnt lgkmcnt(0)
	v_cndmask_b32_e32 v4, v4, v7, vcc
	v_cmp_eq_u32_e32 vcc, 0, v6
	global_store_short v[2:3], v4, off
	s_and_saveexec_b64 s[0:1], vcc
	s_cbranch_execz .LBB201_2
; %bb.1:
	s_load_dwordx2 s[0:1], s[4:5], 0x10
	v_lshrrev_b32_e32 v1, 2, v1
	v_and_b32_e32 v1, 0x3ffffffe, v1
	s_waitcnt lgkmcnt(0)
	global_store_short v1, v0, s[0:1]
.LBB201_2:
	s_endpgm
	.section	.rodata,"a",@progbits
	.p2align	6, 0x0
	.amdhsa_kernel _Z33warp_exclusive_scan_reduce_kernelI6__halfLj64ELj8EENSt9enable_ifIXsr10test_utilsE35device_test_enabled_for_warp_size_vIXT1_EEEvE4typeEPT_S5_S5_S4_
		.amdhsa_group_segment_fixed_size 0
		.amdhsa_private_segment_fixed_size 0
		.amdhsa_kernarg_size 288
		.amdhsa_user_sgpr_count 6
		.amdhsa_user_sgpr_private_segment_buffer 1
		.amdhsa_user_sgpr_dispatch_ptr 0
		.amdhsa_user_sgpr_queue_ptr 0
		.amdhsa_user_sgpr_kernarg_segment_ptr 1
		.amdhsa_user_sgpr_dispatch_id 0
		.amdhsa_user_sgpr_flat_scratch_init 0
		.amdhsa_user_sgpr_private_segment_size 0
		.amdhsa_uses_dynamic_stack 0
		.amdhsa_system_sgpr_private_segment_wavefront_offset 0
		.amdhsa_system_sgpr_workgroup_id_x 1
		.amdhsa_system_sgpr_workgroup_id_y 0
		.amdhsa_system_sgpr_workgroup_id_z 0
		.amdhsa_system_sgpr_workgroup_info 0
		.amdhsa_system_vgpr_workitem_id 0
		.amdhsa_next_free_vgpr 11
		.amdhsa_next_free_sgpr 9
		.amdhsa_reserve_vcc 1
		.amdhsa_reserve_flat_scratch 0
		.amdhsa_float_round_mode_32 0
		.amdhsa_float_round_mode_16_64 0
		.amdhsa_float_denorm_mode_32 3
		.amdhsa_float_denorm_mode_16_64 3
		.amdhsa_dx10_clamp 1
		.amdhsa_ieee_mode 1
		.amdhsa_fp16_overflow 0
		.amdhsa_exception_fp_ieee_invalid_op 0
		.amdhsa_exception_fp_denorm_src 0
		.amdhsa_exception_fp_ieee_div_zero 0
		.amdhsa_exception_fp_ieee_overflow 0
		.amdhsa_exception_fp_ieee_underflow 0
		.amdhsa_exception_fp_ieee_inexact 0
		.amdhsa_exception_int_div_zero 0
	.end_amdhsa_kernel
	.section	.text._Z33warp_exclusive_scan_reduce_kernelI6__halfLj64ELj8EENSt9enable_ifIXsr10test_utilsE35device_test_enabled_for_warp_size_vIXT1_EEEvE4typeEPT_S5_S5_S4_,"axG",@progbits,_Z33warp_exclusive_scan_reduce_kernelI6__halfLj64ELj8EENSt9enable_ifIXsr10test_utilsE35device_test_enabled_for_warp_size_vIXT1_EEEvE4typeEPT_S5_S5_S4_,comdat
.Lfunc_end201:
	.size	_Z33warp_exclusive_scan_reduce_kernelI6__halfLj64ELj8EENSt9enable_ifIXsr10test_utilsE35device_test_enabled_for_warp_size_vIXT1_EEEvE4typeEPT_S5_S5_S4_, .Lfunc_end201-_Z33warp_exclusive_scan_reduce_kernelI6__halfLj64ELj8EENSt9enable_ifIXsr10test_utilsE35device_test_enabled_for_warp_size_vIXT1_EEEvE4typeEPT_S5_S5_S4_
                                        ; -- End function
	.set _Z33warp_exclusive_scan_reduce_kernelI6__halfLj64ELj8EENSt9enable_ifIXsr10test_utilsE35device_test_enabled_for_warp_size_vIXT1_EEEvE4typeEPT_S5_S5_S4_.num_vgpr, 11
	.set _Z33warp_exclusive_scan_reduce_kernelI6__halfLj64ELj8EENSt9enable_ifIXsr10test_utilsE35device_test_enabled_for_warp_size_vIXT1_EEEvE4typeEPT_S5_S5_S4_.num_agpr, 0
	.set _Z33warp_exclusive_scan_reduce_kernelI6__halfLj64ELj8EENSt9enable_ifIXsr10test_utilsE35device_test_enabled_for_warp_size_vIXT1_EEEvE4typeEPT_S5_S5_S4_.numbered_sgpr, 9
	.set _Z33warp_exclusive_scan_reduce_kernelI6__halfLj64ELj8EENSt9enable_ifIXsr10test_utilsE35device_test_enabled_for_warp_size_vIXT1_EEEvE4typeEPT_S5_S5_S4_.num_named_barrier, 0
	.set _Z33warp_exclusive_scan_reduce_kernelI6__halfLj64ELj8EENSt9enable_ifIXsr10test_utilsE35device_test_enabled_for_warp_size_vIXT1_EEEvE4typeEPT_S5_S5_S4_.private_seg_size, 0
	.set _Z33warp_exclusive_scan_reduce_kernelI6__halfLj64ELj8EENSt9enable_ifIXsr10test_utilsE35device_test_enabled_for_warp_size_vIXT1_EEEvE4typeEPT_S5_S5_S4_.uses_vcc, 1
	.set _Z33warp_exclusive_scan_reduce_kernelI6__halfLj64ELj8EENSt9enable_ifIXsr10test_utilsE35device_test_enabled_for_warp_size_vIXT1_EEEvE4typeEPT_S5_S5_S4_.uses_flat_scratch, 0
	.set _Z33warp_exclusive_scan_reduce_kernelI6__halfLj64ELj8EENSt9enable_ifIXsr10test_utilsE35device_test_enabled_for_warp_size_vIXT1_EEEvE4typeEPT_S5_S5_S4_.has_dyn_sized_stack, 0
	.set _Z33warp_exclusive_scan_reduce_kernelI6__halfLj64ELj8EENSt9enable_ifIXsr10test_utilsE35device_test_enabled_for_warp_size_vIXT1_EEEvE4typeEPT_S5_S5_S4_.has_recursion, 0
	.set _Z33warp_exclusive_scan_reduce_kernelI6__halfLj64ELj8EENSt9enable_ifIXsr10test_utilsE35device_test_enabled_for_warp_size_vIXT1_EEEvE4typeEPT_S5_S5_S4_.has_indirect_call, 0
	.section	.AMDGPU.csdata,"",@progbits
; Kernel info:
; codeLenInByte = 364
; TotalNumSgprs: 13
; NumVgprs: 11
; ScratchSize: 0
; MemoryBound: 0
; FloatMode: 240
; IeeeMode: 1
; LDSByteSize: 0 bytes/workgroup (compile time only)
; SGPRBlocks: 1
; VGPRBlocks: 2
; NumSGPRsForWavesPerEU: 13
; NumVGPRsForWavesPerEU: 11
; Occupancy: 10
; WaveLimiterHint : 0
; COMPUTE_PGM_RSRC2:SCRATCH_EN: 0
; COMPUTE_PGM_RSRC2:USER_SGPR: 6
; COMPUTE_PGM_RSRC2:TRAP_HANDLER: 0
; COMPUTE_PGM_RSRC2:TGID_X_EN: 1
; COMPUTE_PGM_RSRC2:TGID_Y_EN: 0
; COMPUTE_PGM_RSRC2:TGID_Z_EN: 0
; COMPUTE_PGM_RSRC2:TIDIG_COMP_CNT: 0
	.section	.text._Z33warp_exclusive_scan_reduce_kernelI6__halfLj32ELj4EENSt9enable_ifIXsr10test_utilsE35device_test_enabled_for_warp_size_vIXT1_EEEvE4typeEPT_S5_S5_S4_,"axG",@progbits,_Z33warp_exclusive_scan_reduce_kernelI6__halfLj32ELj4EENSt9enable_ifIXsr10test_utilsE35device_test_enabled_for_warp_size_vIXT1_EEEvE4typeEPT_S5_S5_S4_,comdat
	.protected	_Z33warp_exclusive_scan_reduce_kernelI6__halfLj32ELj4EENSt9enable_ifIXsr10test_utilsE35device_test_enabled_for_warp_size_vIXT1_EEEvE4typeEPT_S5_S5_S4_ ; -- Begin function _Z33warp_exclusive_scan_reduce_kernelI6__halfLj32ELj4EENSt9enable_ifIXsr10test_utilsE35device_test_enabled_for_warp_size_vIXT1_EEEvE4typeEPT_S5_S5_S4_
	.globl	_Z33warp_exclusive_scan_reduce_kernelI6__halfLj32ELj4EENSt9enable_ifIXsr10test_utilsE35device_test_enabled_for_warp_size_vIXT1_EEEvE4typeEPT_S5_S5_S4_
	.p2align	8
	.type	_Z33warp_exclusive_scan_reduce_kernelI6__halfLj32ELj4EENSt9enable_ifIXsr10test_utilsE35device_test_enabled_for_warp_size_vIXT1_EEEvE4typeEPT_S5_S5_S4_,@function
_Z33warp_exclusive_scan_reduce_kernelI6__halfLj32ELj4EENSt9enable_ifIXsr10test_utilsE35device_test_enabled_for_warp_size_vIXT1_EEEvE4typeEPT_S5_S5_S4_: ; @_Z33warp_exclusive_scan_reduce_kernelI6__halfLj32ELj4EENSt9enable_ifIXsr10test_utilsE35device_test_enabled_for_warp_size_vIXT1_EEEvE4typeEPT_S5_S5_S4_
; %bb.0:
	s_load_dword s7, s[4:5], 0x2c
	s_load_dwordx4 s[0:3], s[4:5], 0x0
	s_load_dword s8, s[4:5], 0x18
	v_mov_b32_e32 v2, 0
	v_and_b32_e32 v6, 3, v0
	s_waitcnt lgkmcnt(0)
	s_and_b32 s7, s7, 0xffff
	s_mul_i32 s6, s6, s7
	v_add_u32_e32 v1, s6, v0
	v_lshlrev_b64 v[2:3], 1, v[1:2]
	v_mov_b32_e32 v5, s1
	v_add_co_u32_e32 v4, vcc, s0, v2
	v_addc_co_u32_e32 v5, vcc, v5, v3, vcc
	global_load_ushort v4, v[4:5], off
	v_mbcnt_lo_u32_b32 v5, -1, 0
	v_mbcnt_hi_u32_b32 v5, -1, v5
	v_and_b32_e32 v7, 0x7c, v5
	v_add_u32_e32 v9, -1, v5
	v_and_b32_e32 v0, 3, v5
	v_cmp_lt_i32_e32 vcc, v9, v7
	v_lshl_or_b32 v8, v5, 2, 12
	v_cndmask_b32_e32 v5, v9, v5, vcc
	v_cmp_eq_u32_e32 vcc, 0, v0
	v_cmp_lt_u32_e64 s[0:1], 1, v0
	v_lshlrev_b32_e32 v5, 2, v5
	v_mov_b32_e32 v7, s8
	v_mov_b32_e32 v9, s3
	s_waitcnt vmcnt(0)
	v_and_b32_e32 v10, 0xffff, v4
	s_nop 1
	v_mov_b32_dpp v10, v10 row_shr:1 row_mask:0xf bank_mask:0xf
	v_add_f16_e32 v10, v4, v10
	v_cndmask_b32_e32 v4, v10, v4, vcc
	v_and_b32_e32 v10, 0xffff, v4
	s_nop 1
	v_mov_b32_dpp v10, v10 row_shr:2 row_mask:0xf bank_mask:0xf
	v_add_f16_e32 v10, v4, v10
	v_cndmask_b32_e64 v0, v4, v10, s[0:1]
	v_and_b32_e32 v4, 0xffff, v0
	v_add_f16_e32 v10, s8, v0
	ds_bpermute_b32 v0, v8, v4
	ds_bpermute_b32 v4, v5, v10
	v_add_co_u32_e64 v2, s[0:1], s2, v2
	v_addc_co_u32_e64 v3, s[0:1], v9, v3, s[0:1]
	s_waitcnt lgkmcnt(0)
	v_cndmask_b32_e32 v4, v4, v7, vcc
	v_cmp_eq_u32_e32 vcc, 0, v6
	global_store_short v[2:3], v4, off
	s_and_saveexec_b64 s[0:1], vcc
	s_cbranch_execz .LBB202_2
; %bb.1:
	s_load_dwordx2 s[0:1], s[4:5], 0x10
	v_lshrrev_b32_e32 v1, 1, v1
	v_and_b32_e32 v1, 0x7ffffffe, v1
	s_waitcnt lgkmcnt(0)
	global_store_short v1, v0, s[0:1]
.LBB202_2:
	s_endpgm
	.section	.rodata,"a",@progbits
	.p2align	6, 0x0
	.amdhsa_kernel _Z33warp_exclusive_scan_reduce_kernelI6__halfLj32ELj4EENSt9enable_ifIXsr10test_utilsE35device_test_enabled_for_warp_size_vIXT1_EEEvE4typeEPT_S5_S5_S4_
		.amdhsa_group_segment_fixed_size 0
		.amdhsa_private_segment_fixed_size 0
		.amdhsa_kernarg_size 288
		.amdhsa_user_sgpr_count 6
		.amdhsa_user_sgpr_private_segment_buffer 1
		.amdhsa_user_sgpr_dispatch_ptr 0
		.amdhsa_user_sgpr_queue_ptr 0
		.amdhsa_user_sgpr_kernarg_segment_ptr 1
		.amdhsa_user_sgpr_dispatch_id 0
		.amdhsa_user_sgpr_flat_scratch_init 0
		.amdhsa_user_sgpr_private_segment_size 0
		.amdhsa_uses_dynamic_stack 0
		.amdhsa_system_sgpr_private_segment_wavefront_offset 0
		.amdhsa_system_sgpr_workgroup_id_x 1
		.amdhsa_system_sgpr_workgroup_id_y 0
		.amdhsa_system_sgpr_workgroup_id_z 0
		.amdhsa_system_sgpr_workgroup_info 0
		.amdhsa_system_vgpr_workitem_id 0
		.amdhsa_next_free_vgpr 11
		.amdhsa_next_free_sgpr 9
		.amdhsa_reserve_vcc 1
		.amdhsa_reserve_flat_scratch 0
		.amdhsa_float_round_mode_32 0
		.amdhsa_float_round_mode_16_64 0
		.amdhsa_float_denorm_mode_32 3
		.amdhsa_float_denorm_mode_16_64 3
		.amdhsa_dx10_clamp 1
		.amdhsa_ieee_mode 1
		.amdhsa_fp16_overflow 0
		.amdhsa_exception_fp_ieee_invalid_op 0
		.amdhsa_exception_fp_denorm_src 0
		.amdhsa_exception_fp_ieee_div_zero 0
		.amdhsa_exception_fp_ieee_overflow 0
		.amdhsa_exception_fp_ieee_underflow 0
		.amdhsa_exception_fp_ieee_inexact 0
		.amdhsa_exception_int_div_zero 0
	.end_amdhsa_kernel
	.section	.text._Z33warp_exclusive_scan_reduce_kernelI6__halfLj32ELj4EENSt9enable_ifIXsr10test_utilsE35device_test_enabled_for_warp_size_vIXT1_EEEvE4typeEPT_S5_S5_S4_,"axG",@progbits,_Z33warp_exclusive_scan_reduce_kernelI6__halfLj32ELj4EENSt9enable_ifIXsr10test_utilsE35device_test_enabled_for_warp_size_vIXT1_EEEvE4typeEPT_S5_S5_S4_,comdat
.Lfunc_end202:
	.size	_Z33warp_exclusive_scan_reduce_kernelI6__halfLj32ELj4EENSt9enable_ifIXsr10test_utilsE35device_test_enabled_for_warp_size_vIXT1_EEEvE4typeEPT_S5_S5_S4_, .Lfunc_end202-_Z33warp_exclusive_scan_reduce_kernelI6__halfLj32ELj4EENSt9enable_ifIXsr10test_utilsE35device_test_enabled_for_warp_size_vIXT1_EEEvE4typeEPT_S5_S5_S4_
                                        ; -- End function
	.set _Z33warp_exclusive_scan_reduce_kernelI6__halfLj32ELj4EENSt9enable_ifIXsr10test_utilsE35device_test_enabled_for_warp_size_vIXT1_EEEvE4typeEPT_S5_S5_S4_.num_vgpr, 11
	.set _Z33warp_exclusive_scan_reduce_kernelI6__halfLj32ELj4EENSt9enable_ifIXsr10test_utilsE35device_test_enabled_for_warp_size_vIXT1_EEEvE4typeEPT_S5_S5_S4_.num_agpr, 0
	.set _Z33warp_exclusive_scan_reduce_kernelI6__halfLj32ELj4EENSt9enable_ifIXsr10test_utilsE35device_test_enabled_for_warp_size_vIXT1_EEEvE4typeEPT_S5_S5_S4_.numbered_sgpr, 9
	.set _Z33warp_exclusive_scan_reduce_kernelI6__halfLj32ELj4EENSt9enable_ifIXsr10test_utilsE35device_test_enabled_for_warp_size_vIXT1_EEEvE4typeEPT_S5_S5_S4_.num_named_barrier, 0
	.set _Z33warp_exclusive_scan_reduce_kernelI6__halfLj32ELj4EENSt9enable_ifIXsr10test_utilsE35device_test_enabled_for_warp_size_vIXT1_EEEvE4typeEPT_S5_S5_S4_.private_seg_size, 0
	.set _Z33warp_exclusive_scan_reduce_kernelI6__halfLj32ELj4EENSt9enable_ifIXsr10test_utilsE35device_test_enabled_for_warp_size_vIXT1_EEEvE4typeEPT_S5_S5_S4_.uses_vcc, 1
	.set _Z33warp_exclusive_scan_reduce_kernelI6__halfLj32ELj4EENSt9enable_ifIXsr10test_utilsE35device_test_enabled_for_warp_size_vIXT1_EEEvE4typeEPT_S5_S5_S4_.uses_flat_scratch, 0
	.set _Z33warp_exclusive_scan_reduce_kernelI6__halfLj32ELj4EENSt9enable_ifIXsr10test_utilsE35device_test_enabled_for_warp_size_vIXT1_EEEvE4typeEPT_S5_S5_S4_.has_dyn_sized_stack, 0
	.set _Z33warp_exclusive_scan_reduce_kernelI6__halfLj32ELj4EENSt9enable_ifIXsr10test_utilsE35device_test_enabled_for_warp_size_vIXT1_EEEvE4typeEPT_S5_S5_S4_.has_recursion, 0
	.set _Z33warp_exclusive_scan_reduce_kernelI6__halfLj32ELj4EENSt9enable_ifIXsr10test_utilsE35device_test_enabled_for_warp_size_vIXT1_EEEvE4typeEPT_S5_S5_S4_.has_indirect_call, 0
	.section	.AMDGPU.csdata,"",@progbits
; Kernel info:
; codeLenInByte = 324
; TotalNumSgprs: 13
; NumVgprs: 11
; ScratchSize: 0
; MemoryBound: 0
; FloatMode: 240
; IeeeMode: 1
; LDSByteSize: 0 bytes/workgroup (compile time only)
; SGPRBlocks: 1
; VGPRBlocks: 2
; NumSGPRsForWavesPerEU: 13
; NumVGPRsForWavesPerEU: 11
; Occupancy: 10
; WaveLimiterHint : 0
; COMPUTE_PGM_RSRC2:SCRATCH_EN: 0
; COMPUTE_PGM_RSRC2:USER_SGPR: 6
; COMPUTE_PGM_RSRC2:TRAP_HANDLER: 0
; COMPUTE_PGM_RSRC2:TGID_X_EN: 1
; COMPUTE_PGM_RSRC2:TGID_Y_EN: 0
; COMPUTE_PGM_RSRC2:TGID_Z_EN: 0
; COMPUTE_PGM_RSRC2:TIDIG_COMP_CNT: 0
	.section	.text._Z33warp_exclusive_scan_reduce_kernelI6__halfLj64ELj4EENSt9enable_ifIXsr10test_utilsE35device_test_enabled_for_warp_size_vIXT1_EEEvE4typeEPT_S5_S5_S4_,"axG",@progbits,_Z33warp_exclusive_scan_reduce_kernelI6__halfLj64ELj4EENSt9enable_ifIXsr10test_utilsE35device_test_enabled_for_warp_size_vIXT1_EEEvE4typeEPT_S5_S5_S4_,comdat
	.protected	_Z33warp_exclusive_scan_reduce_kernelI6__halfLj64ELj4EENSt9enable_ifIXsr10test_utilsE35device_test_enabled_for_warp_size_vIXT1_EEEvE4typeEPT_S5_S5_S4_ ; -- Begin function _Z33warp_exclusive_scan_reduce_kernelI6__halfLj64ELj4EENSt9enable_ifIXsr10test_utilsE35device_test_enabled_for_warp_size_vIXT1_EEEvE4typeEPT_S5_S5_S4_
	.globl	_Z33warp_exclusive_scan_reduce_kernelI6__halfLj64ELj4EENSt9enable_ifIXsr10test_utilsE35device_test_enabled_for_warp_size_vIXT1_EEEvE4typeEPT_S5_S5_S4_
	.p2align	8
	.type	_Z33warp_exclusive_scan_reduce_kernelI6__halfLj64ELj4EENSt9enable_ifIXsr10test_utilsE35device_test_enabled_for_warp_size_vIXT1_EEEvE4typeEPT_S5_S5_S4_,@function
_Z33warp_exclusive_scan_reduce_kernelI6__halfLj64ELj4EENSt9enable_ifIXsr10test_utilsE35device_test_enabled_for_warp_size_vIXT1_EEEvE4typeEPT_S5_S5_S4_: ; @_Z33warp_exclusive_scan_reduce_kernelI6__halfLj64ELj4EENSt9enable_ifIXsr10test_utilsE35device_test_enabled_for_warp_size_vIXT1_EEEvE4typeEPT_S5_S5_S4_
; %bb.0:
	s_load_dword s7, s[4:5], 0x2c
	s_load_dwordx4 s[0:3], s[4:5], 0x0
	s_load_dword s8, s[4:5], 0x18
	v_mov_b32_e32 v2, 0
	v_and_b32_e32 v6, 3, v0
	s_waitcnt lgkmcnt(0)
	s_and_b32 s7, s7, 0xffff
	s_mul_i32 s6, s6, s7
	v_add_u32_e32 v1, s6, v0
	v_lshlrev_b64 v[2:3], 1, v[1:2]
	v_mov_b32_e32 v5, s1
	v_add_co_u32_e32 v4, vcc, s0, v2
	v_addc_co_u32_e32 v5, vcc, v5, v3, vcc
	global_load_ushort v4, v[4:5], off
	v_mbcnt_lo_u32_b32 v5, -1, 0
	v_mbcnt_hi_u32_b32 v5, -1, v5
	v_and_b32_e32 v7, 0x7c, v5
	v_add_u32_e32 v9, -1, v5
	v_and_b32_e32 v0, 3, v5
	v_cmp_lt_i32_e32 vcc, v9, v7
	v_lshl_or_b32 v8, v5, 2, 12
	v_cndmask_b32_e32 v5, v9, v5, vcc
	v_cmp_eq_u32_e32 vcc, 0, v0
	v_cmp_lt_u32_e64 s[0:1], 1, v0
	v_lshlrev_b32_e32 v5, 2, v5
	v_mov_b32_e32 v7, s8
	v_mov_b32_e32 v9, s3
	s_waitcnt vmcnt(0)
	v_and_b32_e32 v10, 0xffff, v4
	s_nop 1
	v_mov_b32_dpp v10, v10 row_shr:1 row_mask:0xf bank_mask:0xf
	v_add_f16_e32 v10, v4, v10
	v_cndmask_b32_e32 v4, v10, v4, vcc
	v_and_b32_e32 v10, 0xffff, v4
	s_nop 1
	v_mov_b32_dpp v10, v10 row_shr:2 row_mask:0xf bank_mask:0xf
	v_add_f16_e32 v10, v4, v10
	v_cndmask_b32_e64 v0, v4, v10, s[0:1]
	v_and_b32_e32 v4, 0xffff, v0
	v_add_f16_e32 v10, s8, v0
	ds_bpermute_b32 v0, v8, v4
	ds_bpermute_b32 v4, v5, v10
	v_add_co_u32_e64 v2, s[0:1], s2, v2
	v_addc_co_u32_e64 v3, s[0:1], v9, v3, s[0:1]
	s_waitcnt lgkmcnt(0)
	v_cndmask_b32_e32 v4, v4, v7, vcc
	v_cmp_eq_u32_e32 vcc, 0, v6
	global_store_short v[2:3], v4, off
	s_and_saveexec_b64 s[0:1], vcc
	s_cbranch_execz .LBB203_2
; %bb.1:
	s_load_dwordx2 s[0:1], s[4:5], 0x10
	v_lshrrev_b32_e32 v1, 1, v1
	v_and_b32_e32 v1, 0x7ffffffe, v1
	s_waitcnt lgkmcnt(0)
	global_store_short v1, v0, s[0:1]
.LBB203_2:
	s_endpgm
	.section	.rodata,"a",@progbits
	.p2align	6, 0x0
	.amdhsa_kernel _Z33warp_exclusive_scan_reduce_kernelI6__halfLj64ELj4EENSt9enable_ifIXsr10test_utilsE35device_test_enabled_for_warp_size_vIXT1_EEEvE4typeEPT_S5_S5_S4_
		.amdhsa_group_segment_fixed_size 0
		.amdhsa_private_segment_fixed_size 0
		.amdhsa_kernarg_size 288
		.amdhsa_user_sgpr_count 6
		.amdhsa_user_sgpr_private_segment_buffer 1
		.amdhsa_user_sgpr_dispatch_ptr 0
		.amdhsa_user_sgpr_queue_ptr 0
		.amdhsa_user_sgpr_kernarg_segment_ptr 1
		.amdhsa_user_sgpr_dispatch_id 0
		.amdhsa_user_sgpr_flat_scratch_init 0
		.amdhsa_user_sgpr_private_segment_size 0
		.amdhsa_uses_dynamic_stack 0
		.amdhsa_system_sgpr_private_segment_wavefront_offset 0
		.amdhsa_system_sgpr_workgroup_id_x 1
		.amdhsa_system_sgpr_workgroup_id_y 0
		.amdhsa_system_sgpr_workgroup_id_z 0
		.amdhsa_system_sgpr_workgroup_info 0
		.amdhsa_system_vgpr_workitem_id 0
		.amdhsa_next_free_vgpr 11
		.amdhsa_next_free_sgpr 9
		.amdhsa_reserve_vcc 1
		.amdhsa_reserve_flat_scratch 0
		.amdhsa_float_round_mode_32 0
		.amdhsa_float_round_mode_16_64 0
		.amdhsa_float_denorm_mode_32 3
		.amdhsa_float_denorm_mode_16_64 3
		.amdhsa_dx10_clamp 1
		.amdhsa_ieee_mode 1
		.amdhsa_fp16_overflow 0
		.amdhsa_exception_fp_ieee_invalid_op 0
		.amdhsa_exception_fp_denorm_src 0
		.amdhsa_exception_fp_ieee_div_zero 0
		.amdhsa_exception_fp_ieee_overflow 0
		.amdhsa_exception_fp_ieee_underflow 0
		.amdhsa_exception_fp_ieee_inexact 0
		.amdhsa_exception_int_div_zero 0
	.end_amdhsa_kernel
	.section	.text._Z33warp_exclusive_scan_reduce_kernelI6__halfLj64ELj4EENSt9enable_ifIXsr10test_utilsE35device_test_enabled_for_warp_size_vIXT1_EEEvE4typeEPT_S5_S5_S4_,"axG",@progbits,_Z33warp_exclusive_scan_reduce_kernelI6__halfLj64ELj4EENSt9enable_ifIXsr10test_utilsE35device_test_enabled_for_warp_size_vIXT1_EEEvE4typeEPT_S5_S5_S4_,comdat
.Lfunc_end203:
	.size	_Z33warp_exclusive_scan_reduce_kernelI6__halfLj64ELj4EENSt9enable_ifIXsr10test_utilsE35device_test_enabled_for_warp_size_vIXT1_EEEvE4typeEPT_S5_S5_S4_, .Lfunc_end203-_Z33warp_exclusive_scan_reduce_kernelI6__halfLj64ELj4EENSt9enable_ifIXsr10test_utilsE35device_test_enabled_for_warp_size_vIXT1_EEEvE4typeEPT_S5_S5_S4_
                                        ; -- End function
	.set _Z33warp_exclusive_scan_reduce_kernelI6__halfLj64ELj4EENSt9enable_ifIXsr10test_utilsE35device_test_enabled_for_warp_size_vIXT1_EEEvE4typeEPT_S5_S5_S4_.num_vgpr, 11
	.set _Z33warp_exclusive_scan_reduce_kernelI6__halfLj64ELj4EENSt9enable_ifIXsr10test_utilsE35device_test_enabled_for_warp_size_vIXT1_EEEvE4typeEPT_S5_S5_S4_.num_agpr, 0
	.set _Z33warp_exclusive_scan_reduce_kernelI6__halfLj64ELj4EENSt9enable_ifIXsr10test_utilsE35device_test_enabled_for_warp_size_vIXT1_EEEvE4typeEPT_S5_S5_S4_.numbered_sgpr, 9
	.set _Z33warp_exclusive_scan_reduce_kernelI6__halfLj64ELj4EENSt9enable_ifIXsr10test_utilsE35device_test_enabled_for_warp_size_vIXT1_EEEvE4typeEPT_S5_S5_S4_.num_named_barrier, 0
	.set _Z33warp_exclusive_scan_reduce_kernelI6__halfLj64ELj4EENSt9enable_ifIXsr10test_utilsE35device_test_enabled_for_warp_size_vIXT1_EEEvE4typeEPT_S5_S5_S4_.private_seg_size, 0
	.set _Z33warp_exclusive_scan_reduce_kernelI6__halfLj64ELj4EENSt9enable_ifIXsr10test_utilsE35device_test_enabled_for_warp_size_vIXT1_EEEvE4typeEPT_S5_S5_S4_.uses_vcc, 1
	.set _Z33warp_exclusive_scan_reduce_kernelI6__halfLj64ELj4EENSt9enable_ifIXsr10test_utilsE35device_test_enabled_for_warp_size_vIXT1_EEEvE4typeEPT_S5_S5_S4_.uses_flat_scratch, 0
	.set _Z33warp_exclusive_scan_reduce_kernelI6__halfLj64ELj4EENSt9enable_ifIXsr10test_utilsE35device_test_enabled_for_warp_size_vIXT1_EEEvE4typeEPT_S5_S5_S4_.has_dyn_sized_stack, 0
	.set _Z33warp_exclusive_scan_reduce_kernelI6__halfLj64ELj4EENSt9enable_ifIXsr10test_utilsE35device_test_enabled_for_warp_size_vIXT1_EEEvE4typeEPT_S5_S5_S4_.has_recursion, 0
	.set _Z33warp_exclusive_scan_reduce_kernelI6__halfLj64ELj4EENSt9enable_ifIXsr10test_utilsE35device_test_enabled_for_warp_size_vIXT1_EEEvE4typeEPT_S5_S5_S4_.has_indirect_call, 0
	.section	.AMDGPU.csdata,"",@progbits
; Kernel info:
; codeLenInByte = 324
; TotalNumSgprs: 13
; NumVgprs: 11
; ScratchSize: 0
; MemoryBound: 0
; FloatMode: 240
; IeeeMode: 1
; LDSByteSize: 0 bytes/workgroup (compile time only)
; SGPRBlocks: 1
; VGPRBlocks: 2
; NumSGPRsForWavesPerEU: 13
; NumVGPRsForWavesPerEU: 11
; Occupancy: 10
; WaveLimiterHint : 0
; COMPUTE_PGM_RSRC2:SCRATCH_EN: 0
; COMPUTE_PGM_RSRC2:USER_SGPR: 6
; COMPUTE_PGM_RSRC2:TRAP_HANDLER: 0
; COMPUTE_PGM_RSRC2:TGID_X_EN: 1
; COMPUTE_PGM_RSRC2:TGID_Y_EN: 0
; COMPUTE_PGM_RSRC2:TGID_Z_EN: 0
; COMPUTE_PGM_RSRC2:TIDIG_COMP_CNT: 0
	.section	.text._Z33warp_exclusive_scan_reduce_kernelI6__halfLj32ELj2EENSt9enable_ifIXsr10test_utilsE35device_test_enabled_for_warp_size_vIXT1_EEEvE4typeEPT_S5_S5_S4_,"axG",@progbits,_Z33warp_exclusive_scan_reduce_kernelI6__halfLj32ELj2EENSt9enable_ifIXsr10test_utilsE35device_test_enabled_for_warp_size_vIXT1_EEEvE4typeEPT_S5_S5_S4_,comdat
	.protected	_Z33warp_exclusive_scan_reduce_kernelI6__halfLj32ELj2EENSt9enable_ifIXsr10test_utilsE35device_test_enabled_for_warp_size_vIXT1_EEEvE4typeEPT_S5_S5_S4_ ; -- Begin function _Z33warp_exclusive_scan_reduce_kernelI6__halfLj32ELj2EENSt9enable_ifIXsr10test_utilsE35device_test_enabled_for_warp_size_vIXT1_EEEvE4typeEPT_S5_S5_S4_
	.globl	_Z33warp_exclusive_scan_reduce_kernelI6__halfLj32ELj2EENSt9enable_ifIXsr10test_utilsE35device_test_enabled_for_warp_size_vIXT1_EEEvE4typeEPT_S5_S5_S4_
	.p2align	8
	.type	_Z33warp_exclusive_scan_reduce_kernelI6__halfLj32ELj2EENSt9enable_ifIXsr10test_utilsE35device_test_enabled_for_warp_size_vIXT1_EEEvE4typeEPT_S5_S5_S4_,@function
_Z33warp_exclusive_scan_reduce_kernelI6__halfLj32ELj2EENSt9enable_ifIXsr10test_utilsE35device_test_enabled_for_warp_size_vIXT1_EEEvE4typeEPT_S5_S5_S4_: ; @_Z33warp_exclusive_scan_reduce_kernelI6__halfLj32ELj2EENSt9enable_ifIXsr10test_utilsE35device_test_enabled_for_warp_size_vIXT1_EEEvE4typeEPT_S5_S5_S4_
; %bb.0:
	s_load_dword s7, s[4:5], 0x2c
	s_load_dwordx4 s[0:3], s[4:5], 0x0
	s_load_dword s8, s[4:5], 0x18
	v_mov_b32_e32 v2, 0
	v_and_b32_e32 v6, 1, v0
	s_waitcnt lgkmcnt(0)
	s_and_b32 s7, s7, 0xffff
	s_mul_i32 s6, s6, s7
	v_add_u32_e32 v1, s6, v0
	v_lshlrev_b64 v[2:3], 1, v[1:2]
	v_mov_b32_e32 v5, s1
	v_add_co_u32_e32 v4, vcc, s0, v2
	v_addc_co_u32_e32 v5, vcc, v5, v3, vcc
	global_load_ushort v4, v[4:5], off
	v_mbcnt_lo_u32_b32 v5, -1, 0
	v_mbcnt_hi_u32_b32 v5, -1, v5
	v_and_b32_e32 v7, 0x7e, v5
	v_add_u32_e32 v9, -1, v5
	v_and_b32_e32 v0, 1, v5
	v_cmp_lt_i32_e32 vcc, v9, v7
	v_lshl_or_b32 v8, v5, 2, 4
	v_cndmask_b32_e32 v5, v9, v5, vcc
	v_cmp_eq_u32_e32 vcc, 0, v0
	v_lshlrev_b32_e32 v5, 2, v5
	v_mov_b32_e32 v7, s8
	v_mov_b32_e32 v9, s3
	v_add_co_u32_e64 v2, s[0:1], s2, v2
	v_addc_co_u32_e64 v3, s[0:1], v9, v3, s[0:1]
	s_waitcnt vmcnt(0)
	v_and_b32_e32 v10, 0xffff, v4
	s_nop 1
	v_mov_b32_dpp v10, v10 row_shr:1 row_mask:0xf bank_mask:0xf
	v_add_f16_e32 v10, v4, v10
	v_cndmask_b32_e32 v0, v10, v4, vcc
	v_and_b32_e32 v4, 0xffff, v0
	v_add_f16_e32 v10, s8, v0
	ds_bpermute_b32 v0, v8, v4
	ds_bpermute_b32 v4, v5, v10
	s_waitcnt lgkmcnt(0)
	v_cndmask_b32_e32 v4, v4, v7, vcc
	v_cmp_eq_u32_e32 vcc, 0, v6
	global_store_short v[2:3], v4, off
	s_and_saveexec_b64 s[0:1], vcc
	s_cbranch_execz .LBB204_2
; %bb.1:
	s_load_dwordx2 s[0:1], s[4:5], 0x10
	v_and_b32_e32 v1, -2, v1
	s_waitcnt lgkmcnt(0)
	global_store_short v1, v0, s[0:1]
.LBB204_2:
	s_endpgm
	.section	.rodata,"a",@progbits
	.p2align	6, 0x0
	.amdhsa_kernel _Z33warp_exclusive_scan_reduce_kernelI6__halfLj32ELj2EENSt9enable_ifIXsr10test_utilsE35device_test_enabled_for_warp_size_vIXT1_EEEvE4typeEPT_S5_S5_S4_
		.amdhsa_group_segment_fixed_size 0
		.amdhsa_private_segment_fixed_size 0
		.amdhsa_kernarg_size 288
		.amdhsa_user_sgpr_count 6
		.amdhsa_user_sgpr_private_segment_buffer 1
		.amdhsa_user_sgpr_dispatch_ptr 0
		.amdhsa_user_sgpr_queue_ptr 0
		.amdhsa_user_sgpr_kernarg_segment_ptr 1
		.amdhsa_user_sgpr_dispatch_id 0
		.amdhsa_user_sgpr_flat_scratch_init 0
		.amdhsa_user_sgpr_private_segment_size 0
		.amdhsa_uses_dynamic_stack 0
		.amdhsa_system_sgpr_private_segment_wavefront_offset 0
		.amdhsa_system_sgpr_workgroup_id_x 1
		.amdhsa_system_sgpr_workgroup_id_y 0
		.amdhsa_system_sgpr_workgroup_id_z 0
		.amdhsa_system_sgpr_workgroup_info 0
		.amdhsa_system_vgpr_workitem_id 0
		.amdhsa_next_free_vgpr 11
		.amdhsa_next_free_sgpr 9
		.amdhsa_reserve_vcc 1
		.amdhsa_reserve_flat_scratch 0
		.amdhsa_float_round_mode_32 0
		.amdhsa_float_round_mode_16_64 0
		.amdhsa_float_denorm_mode_32 3
		.amdhsa_float_denorm_mode_16_64 3
		.amdhsa_dx10_clamp 1
		.amdhsa_ieee_mode 1
		.amdhsa_fp16_overflow 0
		.amdhsa_exception_fp_ieee_invalid_op 0
		.amdhsa_exception_fp_denorm_src 0
		.amdhsa_exception_fp_ieee_div_zero 0
		.amdhsa_exception_fp_ieee_overflow 0
		.amdhsa_exception_fp_ieee_underflow 0
		.amdhsa_exception_fp_ieee_inexact 0
		.amdhsa_exception_int_div_zero 0
	.end_amdhsa_kernel
	.section	.text._Z33warp_exclusive_scan_reduce_kernelI6__halfLj32ELj2EENSt9enable_ifIXsr10test_utilsE35device_test_enabled_for_warp_size_vIXT1_EEEvE4typeEPT_S5_S5_S4_,"axG",@progbits,_Z33warp_exclusive_scan_reduce_kernelI6__halfLj32ELj2EENSt9enable_ifIXsr10test_utilsE35device_test_enabled_for_warp_size_vIXT1_EEEvE4typeEPT_S5_S5_S4_,comdat
.Lfunc_end204:
	.size	_Z33warp_exclusive_scan_reduce_kernelI6__halfLj32ELj2EENSt9enable_ifIXsr10test_utilsE35device_test_enabled_for_warp_size_vIXT1_EEEvE4typeEPT_S5_S5_S4_, .Lfunc_end204-_Z33warp_exclusive_scan_reduce_kernelI6__halfLj32ELj2EENSt9enable_ifIXsr10test_utilsE35device_test_enabled_for_warp_size_vIXT1_EEEvE4typeEPT_S5_S5_S4_
                                        ; -- End function
	.set _Z33warp_exclusive_scan_reduce_kernelI6__halfLj32ELj2EENSt9enable_ifIXsr10test_utilsE35device_test_enabled_for_warp_size_vIXT1_EEEvE4typeEPT_S5_S5_S4_.num_vgpr, 11
	.set _Z33warp_exclusive_scan_reduce_kernelI6__halfLj32ELj2EENSt9enable_ifIXsr10test_utilsE35device_test_enabled_for_warp_size_vIXT1_EEEvE4typeEPT_S5_S5_S4_.num_agpr, 0
	.set _Z33warp_exclusive_scan_reduce_kernelI6__halfLj32ELj2EENSt9enable_ifIXsr10test_utilsE35device_test_enabled_for_warp_size_vIXT1_EEEvE4typeEPT_S5_S5_S4_.numbered_sgpr, 9
	.set _Z33warp_exclusive_scan_reduce_kernelI6__halfLj32ELj2EENSt9enable_ifIXsr10test_utilsE35device_test_enabled_for_warp_size_vIXT1_EEEvE4typeEPT_S5_S5_S4_.num_named_barrier, 0
	.set _Z33warp_exclusive_scan_reduce_kernelI6__halfLj32ELj2EENSt9enable_ifIXsr10test_utilsE35device_test_enabled_for_warp_size_vIXT1_EEEvE4typeEPT_S5_S5_S4_.private_seg_size, 0
	.set _Z33warp_exclusive_scan_reduce_kernelI6__halfLj32ELj2EENSt9enable_ifIXsr10test_utilsE35device_test_enabled_for_warp_size_vIXT1_EEEvE4typeEPT_S5_S5_S4_.uses_vcc, 1
	.set _Z33warp_exclusive_scan_reduce_kernelI6__halfLj32ELj2EENSt9enable_ifIXsr10test_utilsE35device_test_enabled_for_warp_size_vIXT1_EEEvE4typeEPT_S5_S5_S4_.uses_flat_scratch, 0
	.set _Z33warp_exclusive_scan_reduce_kernelI6__halfLj32ELj2EENSt9enable_ifIXsr10test_utilsE35device_test_enabled_for_warp_size_vIXT1_EEEvE4typeEPT_S5_S5_S4_.has_dyn_sized_stack, 0
	.set _Z33warp_exclusive_scan_reduce_kernelI6__halfLj32ELj2EENSt9enable_ifIXsr10test_utilsE35device_test_enabled_for_warp_size_vIXT1_EEEvE4typeEPT_S5_S5_S4_.has_recursion, 0
	.set _Z33warp_exclusive_scan_reduce_kernelI6__halfLj32ELj2EENSt9enable_ifIXsr10test_utilsE35device_test_enabled_for_warp_size_vIXT1_EEEvE4typeEPT_S5_S5_S4_.has_indirect_call, 0
	.section	.AMDGPU.csdata,"",@progbits
; Kernel info:
; codeLenInByte = 276
; TotalNumSgprs: 13
; NumVgprs: 11
; ScratchSize: 0
; MemoryBound: 0
; FloatMode: 240
; IeeeMode: 1
; LDSByteSize: 0 bytes/workgroup (compile time only)
; SGPRBlocks: 1
; VGPRBlocks: 2
; NumSGPRsForWavesPerEU: 13
; NumVGPRsForWavesPerEU: 11
; Occupancy: 10
; WaveLimiterHint : 0
; COMPUTE_PGM_RSRC2:SCRATCH_EN: 0
; COMPUTE_PGM_RSRC2:USER_SGPR: 6
; COMPUTE_PGM_RSRC2:TRAP_HANDLER: 0
; COMPUTE_PGM_RSRC2:TGID_X_EN: 1
; COMPUTE_PGM_RSRC2:TGID_Y_EN: 0
; COMPUTE_PGM_RSRC2:TGID_Z_EN: 0
; COMPUTE_PGM_RSRC2:TIDIG_COMP_CNT: 0
	.section	.text._Z33warp_exclusive_scan_reduce_kernelI6__halfLj64ELj2EENSt9enable_ifIXsr10test_utilsE35device_test_enabled_for_warp_size_vIXT1_EEEvE4typeEPT_S5_S5_S4_,"axG",@progbits,_Z33warp_exclusive_scan_reduce_kernelI6__halfLj64ELj2EENSt9enable_ifIXsr10test_utilsE35device_test_enabled_for_warp_size_vIXT1_EEEvE4typeEPT_S5_S5_S4_,comdat
	.protected	_Z33warp_exclusive_scan_reduce_kernelI6__halfLj64ELj2EENSt9enable_ifIXsr10test_utilsE35device_test_enabled_for_warp_size_vIXT1_EEEvE4typeEPT_S5_S5_S4_ ; -- Begin function _Z33warp_exclusive_scan_reduce_kernelI6__halfLj64ELj2EENSt9enable_ifIXsr10test_utilsE35device_test_enabled_for_warp_size_vIXT1_EEEvE4typeEPT_S5_S5_S4_
	.globl	_Z33warp_exclusive_scan_reduce_kernelI6__halfLj64ELj2EENSt9enable_ifIXsr10test_utilsE35device_test_enabled_for_warp_size_vIXT1_EEEvE4typeEPT_S5_S5_S4_
	.p2align	8
	.type	_Z33warp_exclusive_scan_reduce_kernelI6__halfLj64ELj2EENSt9enable_ifIXsr10test_utilsE35device_test_enabled_for_warp_size_vIXT1_EEEvE4typeEPT_S5_S5_S4_,@function
_Z33warp_exclusive_scan_reduce_kernelI6__halfLj64ELj2EENSt9enable_ifIXsr10test_utilsE35device_test_enabled_for_warp_size_vIXT1_EEEvE4typeEPT_S5_S5_S4_: ; @_Z33warp_exclusive_scan_reduce_kernelI6__halfLj64ELj2EENSt9enable_ifIXsr10test_utilsE35device_test_enabled_for_warp_size_vIXT1_EEEvE4typeEPT_S5_S5_S4_
; %bb.0:
	s_load_dword s7, s[4:5], 0x2c
	s_load_dwordx4 s[0:3], s[4:5], 0x0
	s_load_dword s8, s[4:5], 0x18
	v_mov_b32_e32 v2, 0
	v_and_b32_e32 v6, 1, v0
	s_waitcnt lgkmcnt(0)
	s_and_b32 s7, s7, 0xffff
	s_mul_i32 s6, s6, s7
	v_add_u32_e32 v1, s6, v0
	v_lshlrev_b64 v[2:3], 1, v[1:2]
	v_mov_b32_e32 v5, s1
	v_add_co_u32_e32 v4, vcc, s0, v2
	v_addc_co_u32_e32 v5, vcc, v5, v3, vcc
	global_load_ushort v4, v[4:5], off
	v_mbcnt_lo_u32_b32 v5, -1, 0
	v_mbcnt_hi_u32_b32 v5, -1, v5
	v_and_b32_e32 v7, 0x7e, v5
	v_add_u32_e32 v9, -1, v5
	v_and_b32_e32 v0, 1, v5
	v_cmp_lt_i32_e32 vcc, v9, v7
	v_lshl_or_b32 v8, v5, 2, 4
	v_cndmask_b32_e32 v5, v9, v5, vcc
	v_cmp_eq_u32_e32 vcc, 0, v0
	v_lshlrev_b32_e32 v5, 2, v5
	v_mov_b32_e32 v7, s8
	v_mov_b32_e32 v9, s3
	v_add_co_u32_e64 v2, s[0:1], s2, v2
	v_addc_co_u32_e64 v3, s[0:1], v9, v3, s[0:1]
	s_waitcnt vmcnt(0)
	v_and_b32_e32 v10, 0xffff, v4
	s_nop 1
	v_mov_b32_dpp v10, v10 row_shr:1 row_mask:0xf bank_mask:0xf
	v_add_f16_e32 v10, v4, v10
	v_cndmask_b32_e32 v0, v10, v4, vcc
	v_and_b32_e32 v4, 0xffff, v0
	v_add_f16_e32 v10, s8, v0
	ds_bpermute_b32 v0, v8, v4
	ds_bpermute_b32 v4, v5, v10
	s_waitcnt lgkmcnt(0)
	v_cndmask_b32_e32 v4, v4, v7, vcc
	v_cmp_eq_u32_e32 vcc, 0, v6
	global_store_short v[2:3], v4, off
	s_and_saveexec_b64 s[0:1], vcc
	s_cbranch_execz .LBB205_2
; %bb.1:
	s_load_dwordx2 s[0:1], s[4:5], 0x10
	v_and_b32_e32 v1, -2, v1
	s_waitcnt lgkmcnt(0)
	global_store_short v1, v0, s[0:1]
.LBB205_2:
	s_endpgm
	.section	.rodata,"a",@progbits
	.p2align	6, 0x0
	.amdhsa_kernel _Z33warp_exclusive_scan_reduce_kernelI6__halfLj64ELj2EENSt9enable_ifIXsr10test_utilsE35device_test_enabled_for_warp_size_vIXT1_EEEvE4typeEPT_S5_S5_S4_
		.amdhsa_group_segment_fixed_size 0
		.amdhsa_private_segment_fixed_size 0
		.amdhsa_kernarg_size 288
		.amdhsa_user_sgpr_count 6
		.amdhsa_user_sgpr_private_segment_buffer 1
		.amdhsa_user_sgpr_dispatch_ptr 0
		.amdhsa_user_sgpr_queue_ptr 0
		.amdhsa_user_sgpr_kernarg_segment_ptr 1
		.amdhsa_user_sgpr_dispatch_id 0
		.amdhsa_user_sgpr_flat_scratch_init 0
		.amdhsa_user_sgpr_private_segment_size 0
		.amdhsa_uses_dynamic_stack 0
		.amdhsa_system_sgpr_private_segment_wavefront_offset 0
		.amdhsa_system_sgpr_workgroup_id_x 1
		.amdhsa_system_sgpr_workgroup_id_y 0
		.amdhsa_system_sgpr_workgroup_id_z 0
		.amdhsa_system_sgpr_workgroup_info 0
		.amdhsa_system_vgpr_workitem_id 0
		.amdhsa_next_free_vgpr 11
		.amdhsa_next_free_sgpr 9
		.amdhsa_reserve_vcc 1
		.amdhsa_reserve_flat_scratch 0
		.amdhsa_float_round_mode_32 0
		.amdhsa_float_round_mode_16_64 0
		.amdhsa_float_denorm_mode_32 3
		.amdhsa_float_denorm_mode_16_64 3
		.amdhsa_dx10_clamp 1
		.amdhsa_ieee_mode 1
		.amdhsa_fp16_overflow 0
		.amdhsa_exception_fp_ieee_invalid_op 0
		.amdhsa_exception_fp_denorm_src 0
		.amdhsa_exception_fp_ieee_div_zero 0
		.amdhsa_exception_fp_ieee_overflow 0
		.amdhsa_exception_fp_ieee_underflow 0
		.amdhsa_exception_fp_ieee_inexact 0
		.amdhsa_exception_int_div_zero 0
	.end_amdhsa_kernel
	.section	.text._Z33warp_exclusive_scan_reduce_kernelI6__halfLj64ELj2EENSt9enable_ifIXsr10test_utilsE35device_test_enabled_for_warp_size_vIXT1_EEEvE4typeEPT_S5_S5_S4_,"axG",@progbits,_Z33warp_exclusive_scan_reduce_kernelI6__halfLj64ELj2EENSt9enable_ifIXsr10test_utilsE35device_test_enabled_for_warp_size_vIXT1_EEEvE4typeEPT_S5_S5_S4_,comdat
.Lfunc_end205:
	.size	_Z33warp_exclusive_scan_reduce_kernelI6__halfLj64ELj2EENSt9enable_ifIXsr10test_utilsE35device_test_enabled_for_warp_size_vIXT1_EEEvE4typeEPT_S5_S5_S4_, .Lfunc_end205-_Z33warp_exclusive_scan_reduce_kernelI6__halfLj64ELj2EENSt9enable_ifIXsr10test_utilsE35device_test_enabled_for_warp_size_vIXT1_EEEvE4typeEPT_S5_S5_S4_
                                        ; -- End function
	.set _Z33warp_exclusive_scan_reduce_kernelI6__halfLj64ELj2EENSt9enable_ifIXsr10test_utilsE35device_test_enabled_for_warp_size_vIXT1_EEEvE4typeEPT_S5_S5_S4_.num_vgpr, 11
	.set _Z33warp_exclusive_scan_reduce_kernelI6__halfLj64ELj2EENSt9enable_ifIXsr10test_utilsE35device_test_enabled_for_warp_size_vIXT1_EEEvE4typeEPT_S5_S5_S4_.num_agpr, 0
	.set _Z33warp_exclusive_scan_reduce_kernelI6__halfLj64ELj2EENSt9enable_ifIXsr10test_utilsE35device_test_enabled_for_warp_size_vIXT1_EEEvE4typeEPT_S5_S5_S4_.numbered_sgpr, 9
	.set _Z33warp_exclusive_scan_reduce_kernelI6__halfLj64ELj2EENSt9enable_ifIXsr10test_utilsE35device_test_enabled_for_warp_size_vIXT1_EEEvE4typeEPT_S5_S5_S4_.num_named_barrier, 0
	.set _Z33warp_exclusive_scan_reduce_kernelI6__halfLj64ELj2EENSt9enable_ifIXsr10test_utilsE35device_test_enabled_for_warp_size_vIXT1_EEEvE4typeEPT_S5_S5_S4_.private_seg_size, 0
	.set _Z33warp_exclusive_scan_reduce_kernelI6__halfLj64ELj2EENSt9enable_ifIXsr10test_utilsE35device_test_enabled_for_warp_size_vIXT1_EEEvE4typeEPT_S5_S5_S4_.uses_vcc, 1
	.set _Z33warp_exclusive_scan_reduce_kernelI6__halfLj64ELj2EENSt9enable_ifIXsr10test_utilsE35device_test_enabled_for_warp_size_vIXT1_EEEvE4typeEPT_S5_S5_S4_.uses_flat_scratch, 0
	.set _Z33warp_exclusive_scan_reduce_kernelI6__halfLj64ELj2EENSt9enable_ifIXsr10test_utilsE35device_test_enabled_for_warp_size_vIXT1_EEEvE4typeEPT_S5_S5_S4_.has_dyn_sized_stack, 0
	.set _Z33warp_exclusive_scan_reduce_kernelI6__halfLj64ELj2EENSt9enable_ifIXsr10test_utilsE35device_test_enabled_for_warp_size_vIXT1_EEEvE4typeEPT_S5_S5_S4_.has_recursion, 0
	.set _Z33warp_exclusive_scan_reduce_kernelI6__halfLj64ELj2EENSt9enable_ifIXsr10test_utilsE35device_test_enabled_for_warp_size_vIXT1_EEEvE4typeEPT_S5_S5_S4_.has_indirect_call, 0
	.section	.AMDGPU.csdata,"",@progbits
; Kernel info:
; codeLenInByte = 276
; TotalNumSgprs: 13
; NumVgprs: 11
; ScratchSize: 0
; MemoryBound: 0
; FloatMode: 240
; IeeeMode: 1
; LDSByteSize: 0 bytes/workgroup (compile time only)
; SGPRBlocks: 1
; VGPRBlocks: 2
; NumSGPRsForWavesPerEU: 13
; NumVGPRsForWavesPerEU: 11
; Occupancy: 10
; WaveLimiterHint : 0
; COMPUTE_PGM_RSRC2:SCRATCH_EN: 0
; COMPUTE_PGM_RSRC2:USER_SGPR: 6
; COMPUTE_PGM_RSRC2:TRAP_HANDLER: 0
; COMPUTE_PGM_RSRC2:TGID_X_EN: 1
; COMPUTE_PGM_RSRC2:TGID_Y_EN: 0
; COMPUTE_PGM_RSRC2:TGID_Z_EN: 0
; COMPUTE_PGM_RSRC2:TIDIG_COMP_CNT: 0
	.section	.text._Z33warp_exclusive_scan_reduce_kernelIfLj256ELj64EENSt9enable_ifIXsr10test_utilsE35device_test_enabled_for_warp_size_vIXT1_EEEvE4typeEPT_S4_S4_S3_,"axG",@progbits,_Z33warp_exclusive_scan_reduce_kernelIfLj256ELj64EENSt9enable_ifIXsr10test_utilsE35device_test_enabled_for_warp_size_vIXT1_EEEvE4typeEPT_S4_S4_S3_,comdat
	.protected	_Z33warp_exclusive_scan_reduce_kernelIfLj256ELj64EENSt9enable_ifIXsr10test_utilsE35device_test_enabled_for_warp_size_vIXT1_EEEvE4typeEPT_S4_S4_S3_ ; -- Begin function _Z33warp_exclusive_scan_reduce_kernelIfLj256ELj64EENSt9enable_ifIXsr10test_utilsE35device_test_enabled_for_warp_size_vIXT1_EEEvE4typeEPT_S4_S4_S3_
	.globl	_Z33warp_exclusive_scan_reduce_kernelIfLj256ELj64EENSt9enable_ifIXsr10test_utilsE35device_test_enabled_for_warp_size_vIXT1_EEEvE4typeEPT_S4_S4_S3_
	.p2align	8
	.type	_Z33warp_exclusive_scan_reduce_kernelIfLj256ELj64EENSt9enable_ifIXsr10test_utilsE35device_test_enabled_for_warp_size_vIXT1_EEEvE4typeEPT_S4_S4_S3_,@function
_Z33warp_exclusive_scan_reduce_kernelIfLj256ELj64EENSt9enable_ifIXsr10test_utilsE35device_test_enabled_for_warp_size_vIXT1_EEEvE4typeEPT_S4_S4_S3_: ; @_Z33warp_exclusive_scan_reduce_kernelIfLj256ELj64EENSt9enable_ifIXsr10test_utilsE35device_test_enabled_for_warp_size_vIXT1_EEEvE4typeEPT_S4_S4_S3_
; %bb.0:
	s_load_dword s7, s[4:5], 0x2c
	s_load_dwordx4 s[0:3], s[4:5], 0x0
	s_load_dword s8, s[4:5], 0x18
	v_mov_b32_e32 v2, 0
	v_and_b32_e32 v7, 63, v0
	s_waitcnt lgkmcnt(0)
	s_and_b32 s7, s7, 0xffff
	s_mul_i32 s6, s6, s7
	v_add_u32_e32 v1, s6, v0
	v_lshlrev_b64 v[2:3], 2, v[1:2]
	v_mov_b32_e32 v5, s1
	v_add_co_u32_e32 v4, vcc, s0, v2
	v_addc_co_u32_e32 v5, vcc, v5, v3, vcc
	global_load_dword v4, v[4:5], off
	v_mbcnt_lo_u32_b32 v5, -1, 0
	v_mbcnt_hi_u32_b32 v5, -1, v5
	v_and_b32_e32 v9, 64, v5
	v_subrev_co_u32_e32 v11, vcc, 1, v5
	v_cmp_lt_i32_e64 s[0:1], v11, v9
	v_and_b32_e32 v0, 15, v5
	v_cndmask_b32_e64 v9, v11, v5, s[0:1]
	v_cmp_eq_u32_e64 s[0:1], 0, v0
	v_and_b32_e32 v8, 16, v5
	v_bfrev_b32_e32 v6, 0.5
	v_lshl_or_b32 v6, v5, 2, v6
	v_lshlrev_b32_e32 v9, 2, v9
	v_mov_b32_e32 v10, s8
	v_mov_b32_e32 v12, s3
	s_waitcnt vmcnt(0)
	v_mov_b32_dpp v11, v4 row_shr:1 row_mask:0xf bank_mask:0xf
	v_add_f32_e32 v11, v4, v11
	v_cndmask_b32_e64 v4, v11, v4, s[0:1]
	v_cmp_lt_u32_e64 s[0:1], 1, v0
	s_nop 0
	v_mov_b32_dpp v11, v4 row_shr:2 row_mask:0xf bank_mask:0xf
	v_add_f32_e32 v11, v4, v11
	v_cndmask_b32_e64 v4, v4, v11, s[0:1]
	v_cmp_lt_u32_e64 s[0:1], 3, v0
	s_nop 0
	;; [unrolled: 5-line block ×3, first 2 shown]
	v_mov_b32_dpp v11, v4 row_shr:8 row_mask:0xf bank_mask:0xf
	v_add_f32_e32 v11, v4, v11
	v_cndmask_b32_e64 v0, v4, v11, s[0:1]
	v_cmp_eq_u32_e64 s[0:1], 0, v8
	s_nop 0
	v_mov_b32_dpp v4, v0 row_bcast:15 row_mask:0xf bank_mask:0xf
	v_add_f32_e32 v4, v0, v4
	v_cndmask_b32_e64 v0, v4, v0, s[0:1]
	v_cmp_lt_u32_e64 s[0:1], 31, v5
	s_nop 0
	v_mov_b32_dpp v4, v0 row_bcast:31 row_mask:0xf bank_mask:0xf
	v_add_f32_e32 v4, v0, v4
	v_cndmask_b32_e64 v4, v0, v4, s[0:1]
	ds_bpermute_b32 v0, v6, v4
	v_add_f32_e32 v4, s8, v4
	ds_bpermute_b32 v4, v9, v4
	v_add_co_u32_e64 v2, s[0:1], s2, v2
	v_addc_co_u32_e64 v3, s[0:1], v12, v3, s[0:1]
	s_waitcnt lgkmcnt(0)
	v_cndmask_b32_e32 v4, v4, v10, vcc
	v_cmp_eq_u32_e32 vcc, 0, v7
	global_store_dword v[2:3], v4, off
	s_and_saveexec_b64 s[0:1], vcc
	s_cbranch_execz .LBB206_2
; %bb.1:
	s_load_dwordx2 s[0:1], s[4:5], 0x10
	v_lshrrev_b32_e32 v1, 4, v1
	v_and_b32_e32 v1, 0xffffffc, v1
	s_waitcnt lgkmcnt(0)
	global_store_dword v1, v0, s[0:1]
.LBB206_2:
	s_endpgm
	.section	.rodata,"a",@progbits
	.p2align	6, 0x0
	.amdhsa_kernel _Z33warp_exclusive_scan_reduce_kernelIfLj256ELj64EENSt9enable_ifIXsr10test_utilsE35device_test_enabled_for_warp_size_vIXT1_EEEvE4typeEPT_S4_S4_S3_
		.amdhsa_group_segment_fixed_size 0
		.amdhsa_private_segment_fixed_size 0
		.amdhsa_kernarg_size 288
		.amdhsa_user_sgpr_count 6
		.amdhsa_user_sgpr_private_segment_buffer 1
		.amdhsa_user_sgpr_dispatch_ptr 0
		.amdhsa_user_sgpr_queue_ptr 0
		.amdhsa_user_sgpr_kernarg_segment_ptr 1
		.amdhsa_user_sgpr_dispatch_id 0
		.amdhsa_user_sgpr_flat_scratch_init 0
		.amdhsa_user_sgpr_private_segment_size 0
		.amdhsa_uses_dynamic_stack 0
		.amdhsa_system_sgpr_private_segment_wavefront_offset 0
		.amdhsa_system_sgpr_workgroup_id_x 1
		.amdhsa_system_sgpr_workgroup_id_y 0
		.amdhsa_system_sgpr_workgroup_id_z 0
		.amdhsa_system_sgpr_workgroup_info 0
		.amdhsa_system_vgpr_workitem_id 0
		.amdhsa_next_free_vgpr 13
		.amdhsa_next_free_sgpr 9
		.amdhsa_reserve_vcc 1
		.amdhsa_reserve_flat_scratch 0
		.amdhsa_float_round_mode_32 0
		.amdhsa_float_round_mode_16_64 0
		.amdhsa_float_denorm_mode_32 3
		.amdhsa_float_denorm_mode_16_64 3
		.amdhsa_dx10_clamp 1
		.amdhsa_ieee_mode 1
		.amdhsa_fp16_overflow 0
		.amdhsa_exception_fp_ieee_invalid_op 0
		.amdhsa_exception_fp_denorm_src 0
		.amdhsa_exception_fp_ieee_div_zero 0
		.amdhsa_exception_fp_ieee_overflow 0
		.amdhsa_exception_fp_ieee_underflow 0
		.amdhsa_exception_fp_ieee_inexact 0
		.amdhsa_exception_int_div_zero 0
	.end_amdhsa_kernel
	.section	.text._Z33warp_exclusive_scan_reduce_kernelIfLj256ELj64EENSt9enable_ifIXsr10test_utilsE35device_test_enabled_for_warp_size_vIXT1_EEEvE4typeEPT_S4_S4_S3_,"axG",@progbits,_Z33warp_exclusive_scan_reduce_kernelIfLj256ELj64EENSt9enable_ifIXsr10test_utilsE35device_test_enabled_for_warp_size_vIXT1_EEEvE4typeEPT_S4_S4_S3_,comdat
.Lfunc_end206:
	.size	_Z33warp_exclusive_scan_reduce_kernelIfLj256ELj64EENSt9enable_ifIXsr10test_utilsE35device_test_enabled_for_warp_size_vIXT1_EEEvE4typeEPT_S4_S4_S3_, .Lfunc_end206-_Z33warp_exclusive_scan_reduce_kernelIfLj256ELj64EENSt9enable_ifIXsr10test_utilsE35device_test_enabled_for_warp_size_vIXT1_EEEvE4typeEPT_S4_S4_S3_
                                        ; -- End function
	.set _Z33warp_exclusive_scan_reduce_kernelIfLj256ELj64EENSt9enable_ifIXsr10test_utilsE35device_test_enabled_for_warp_size_vIXT1_EEEvE4typeEPT_S4_S4_S3_.num_vgpr, 13
	.set _Z33warp_exclusive_scan_reduce_kernelIfLj256ELj64EENSt9enable_ifIXsr10test_utilsE35device_test_enabled_for_warp_size_vIXT1_EEEvE4typeEPT_S4_S4_S3_.num_agpr, 0
	.set _Z33warp_exclusive_scan_reduce_kernelIfLj256ELj64EENSt9enable_ifIXsr10test_utilsE35device_test_enabled_for_warp_size_vIXT1_EEEvE4typeEPT_S4_S4_S3_.numbered_sgpr, 9
	.set _Z33warp_exclusive_scan_reduce_kernelIfLj256ELj64EENSt9enable_ifIXsr10test_utilsE35device_test_enabled_for_warp_size_vIXT1_EEEvE4typeEPT_S4_S4_S3_.num_named_barrier, 0
	.set _Z33warp_exclusive_scan_reduce_kernelIfLj256ELj64EENSt9enable_ifIXsr10test_utilsE35device_test_enabled_for_warp_size_vIXT1_EEEvE4typeEPT_S4_S4_S3_.private_seg_size, 0
	.set _Z33warp_exclusive_scan_reduce_kernelIfLj256ELj64EENSt9enable_ifIXsr10test_utilsE35device_test_enabled_for_warp_size_vIXT1_EEEvE4typeEPT_S4_S4_S3_.uses_vcc, 1
	.set _Z33warp_exclusive_scan_reduce_kernelIfLj256ELj64EENSt9enable_ifIXsr10test_utilsE35device_test_enabled_for_warp_size_vIXT1_EEEvE4typeEPT_S4_S4_S3_.uses_flat_scratch, 0
	.set _Z33warp_exclusive_scan_reduce_kernelIfLj256ELj64EENSt9enable_ifIXsr10test_utilsE35device_test_enabled_for_warp_size_vIXT1_EEEvE4typeEPT_S4_S4_S3_.has_dyn_sized_stack, 0
	.set _Z33warp_exclusive_scan_reduce_kernelIfLj256ELj64EENSt9enable_ifIXsr10test_utilsE35device_test_enabled_for_warp_size_vIXT1_EEEvE4typeEPT_S4_S4_S3_.has_recursion, 0
	.set _Z33warp_exclusive_scan_reduce_kernelIfLj256ELj64EENSt9enable_ifIXsr10test_utilsE35device_test_enabled_for_warp_size_vIXT1_EEEvE4typeEPT_S4_S4_S3_.has_indirect_call, 0
	.section	.AMDGPU.csdata,"",@progbits
; Kernel info:
; codeLenInByte = 444
; TotalNumSgprs: 13
; NumVgprs: 13
; ScratchSize: 0
; MemoryBound: 0
; FloatMode: 240
; IeeeMode: 1
; LDSByteSize: 0 bytes/workgroup (compile time only)
; SGPRBlocks: 1
; VGPRBlocks: 3
; NumSGPRsForWavesPerEU: 13
; NumVGPRsForWavesPerEU: 13
; Occupancy: 10
; WaveLimiterHint : 0
; COMPUTE_PGM_RSRC2:SCRATCH_EN: 0
; COMPUTE_PGM_RSRC2:USER_SGPR: 6
; COMPUTE_PGM_RSRC2:TRAP_HANDLER: 0
; COMPUTE_PGM_RSRC2:TGID_X_EN: 1
; COMPUTE_PGM_RSRC2:TGID_Y_EN: 0
; COMPUTE_PGM_RSRC2:TGID_Z_EN: 0
; COMPUTE_PGM_RSRC2:TIDIG_COMP_CNT: 0
	.section	.text._Z33warp_exclusive_scan_reduce_kernelIfLj128ELj32EENSt9enable_ifIXsr10test_utilsE35device_test_enabled_for_warp_size_vIXT1_EEEvE4typeEPT_S4_S4_S3_,"axG",@progbits,_Z33warp_exclusive_scan_reduce_kernelIfLj128ELj32EENSt9enable_ifIXsr10test_utilsE35device_test_enabled_for_warp_size_vIXT1_EEEvE4typeEPT_S4_S4_S3_,comdat
	.protected	_Z33warp_exclusive_scan_reduce_kernelIfLj128ELj32EENSt9enable_ifIXsr10test_utilsE35device_test_enabled_for_warp_size_vIXT1_EEEvE4typeEPT_S4_S4_S3_ ; -- Begin function _Z33warp_exclusive_scan_reduce_kernelIfLj128ELj32EENSt9enable_ifIXsr10test_utilsE35device_test_enabled_for_warp_size_vIXT1_EEEvE4typeEPT_S4_S4_S3_
	.globl	_Z33warp_exclusive_scan_reduce_kernelIfLj128ELj32EENSt9enable_ifIXsr10test_utilsE35device_test_enabled_for_warp_size_vIXT1_EEEvE4typeEPT_S4_S4_S3_
	.p2align	8
	.type	_Z33warp_exclusive_scan_reduce_kernelIfLj128ELj32EENSt9enable_ifIXsr10test_utilsE35device_test_enabled_for_warp_size_vIXT1_EEEvE4typeEPT_S4_S4_S3_,@function
_Z33warp_exclusive_scan_reduce_kernelIfLj128ELj32EENSt9enable_ifIXsr10test_utilsE35device_test_enabled_for_warp_size_vIXT1_EEEvE4typeEPT_S4_S4_S3_: ; @_Z33warp_exclusive_scan_reduce_kernelIfLj128ELj32EENSt9enable_ifIXsr10test_utilsE35device_test_enabled_for_warp_size_vIXT1_EEEvE4typeEPT_S4_S4_S3_
; %bb.0:
	s_load_dword s7, s[4:5], 0x2c
	s_load_dwordx4 s[0:3], s[4:5], 0x0
	s_load_dword s8, s[4:5], 0x18
	v_mov_b32_e32 v2, 0
	v_mov_b32_e32 v6, 0x7c
	s_waitcnt lgkmcnt(0)
	s_and_b32 s7, s7, 0xffff
	s_mul_i32 s6, s6, s7
	v_add_u32_e32 v1, s6, v0
	v_lshlrev_b64 v[2:3], 2, v[1:2]
	v_mov_b32_e32 v5, s1
	v_add_co_u32_e32 v4, vcc, s0, v2
	v_addc_co_u32_e32 v5, vcc, v5, v3, vcc
	global_load_dword v4, v[4:5], off
	v_mbcnt_lo_u32_b32 v5, -1, 0
	v_mbcnt_hi_u32_b32 v5, -1, v5
	v_and_b32_e32 v9, 0x60, v5
	v_add_u32_e32 v10, -1, v5
	v_and_b32_e32 v7, 31, v0
	v_and_b32_e32 v0, 15, v5
	v_cmp_lt_i32_e32 vcc, v10, v9
	v_and_b32_e32 v8, 16, v5
	v_lshl_or_b32 v6, v5, 2, v6
	v_and_b32_e32 v11, 31, v5
	v_cndmask_b32_e32 v5, v10, v5, vcc
	v_cmp_eq_u32_e32 vcc, 0, v0
	v_lshlrev_b32_e32 v5, 2, v5
	v_mov_b32_e32 v10, s3
	v_mov_b32_e32 v9, s8
	s_waitcnt vmcnt(0)
	v_mov_b32_dpp v12, v4 row_shr:1 row_mask:0xf bank_mask:0xf
	v_add_f32_e32 v12, v4, v12
	v_cndmask_b32_e32 v4, v12, v4, vcc
	v_cmp_lt_u32_e32 vcc, 1, v0
	s_nop 0
	v_mov_b32_dpp v12, v4 row_shr:2 row_mask:0xf bank_mask:0xf
	v_add_f32_e32 v12, v4, v12
	v_cndmask_b32_e32 v4, v4, v12, vcc
	v_cmp_lt_u32_e32 vcc, 3, v0
	s_nop 0
	;; [unrolled: 5-line block ×3, first 2 shown]
	v_mov_b32_dpp v12, v4 row_shr:8 row_mask:0xf bank_mask:0xf
	v_add_f32_e32 v12, v4, v12
	v_cndmask_b32_e32 v0, v4, v12, vcc
	v_cmp_eq_u32_e32 vcc, 0, v8
	s_nop 0
	v_mov_b32_dpp v4, v0 row_bcast:15 row_mask:0xf bank_mask:0xf
	v_add_f32_e32 v4, v0, v4
	v_cndmask_b32_e32 v0, v4, v0, vcc
	v_add_f32_e32 v4, s8, v0
	ds_bpermute_b32 v4, v5, v4
	ds_bpermute_b32 v0, v6, v0
	v_add_co_u32_e32 v2, vcc, s2, v2
	v_addc_co_u32_e32 v3, vcc, v10, v3, vcc
	v_cmp_eq_u32_e32 vcc, 0, v11
	s_waitcnt lgkmcnt(1)
	v_cndmask_b32_e32 v4, v4, v9, vcc
	v_cmp_eq_u32_e32 vcc, 0, v7
	global_store_dword v[2:3], v4, off
	s_and_saveexec_b64 s[0:1], vcc
	s_cbranch_execz .LBB207_2
; %bb.1:
	s_load_dwordx2 s[0:1], s[4:5], 0x10
	v_lshrrev_b32_e32 v1, 3, v1
	v_and_b32_e32 v1, 0x1ffffffc, v1
	s_waitcnt lgkmcnt(0)
	global_store_dword v1, v0, s[0:1]
.LBB207_2:
	s_endpgm
	.section	.rodata,"a",@progbits
	.p2align	6, 0x0
	.amdhsa_kernel _Z33warp_exclusive_scan_reduce_kernelIfLj128ELj32EENSt9enable_ifIXsr10test_utilsE35device_test_enabled_for_warp_size_vIXT1_EEEvE4typeEPT_S4_S4_S3_
		.amdhsa_group_segment_fixed_size 0
		.amdhsa_private_segment_fixed_size 0
		.amdhsa_kernarg_size 288
		.amdhsa_user_sgpr_count 6
		.amdhsa_user_sgpr_private_segment_buffer 1
		.amdhsa_user_sgpr_dispatch_ptr 0
		.amdhsa_user_sgpr_queue_ptr 0
		.amdhsa_user_sgpr_kernarg_segment_ptr 1
		.amdhsa_user_sgpr_dispatch_id 0
		.amdhsa_user_sgpr_flat_scratch_init 0
		.amdhsa_user_sgpr_private_segment_size 0
		.amdhsa_uses_dynamic_stack 0
		.amdhsa_system_sgpr_private_segment_wavefront_offset 0
		.amdhsa_system_sgpr_workgroup_id_x 1
		.amdhsa_system_sgpr_workgroup_id_y 0
		.amdhsa_system_sgpr_workgroup_id_z 0
		.amdhsa_system_sgpr_workgroup_info 0
		.amdhsa_system_vgpr_workitem_id 0
		.amdhsa_next_free_vgpr 13
		.amdhsa_next_free_sgpr 9
		.amdhsa_reserve_vcc 1
		.amdhsa_reserve_flat_scratch 0
		.amdhsa_float_round_mode_32 0
		.amdhsa_float_round_mode_16_64 0
		.amdhsa_float_denorm_mode_32 3
		.amdhsa_float_denorm_mode_16_64 3
		.amdhsa_dx10_clamp 1
		.amdhsa_ieee_mode 1
		.amdhsa_fp16_overflow 0
		.amdhsa_exception_fp_ieee_invalid_op 0
		.amdhsa_exception_fp_denorm_src 0
		.amdhsa_exception_fp_ieee_div_zero 0
		.amdhsa_exception_fp_ieee_overflow 0
		.amdhsa_exception_fp_ieee_underflow 0
		.amdhsa_exception_fp_ieee_inexact 0
		.amdhsa_exception_int_div_zero 0
	.end_amdhsa_kernel
	.section	.text._Z33warp_exclusive_scan_reduce_kernelIfLj128ELj32EENSt9enable_ifIXsr10test_utilsE35device_test_enabled_for_warp_size_vIXT1_EEEvE4typeEPT_S4_S4_S3_,"axG",@progbits,_Z33warp_exclusive_scan_reduce_kernelIfLj128ELj32EENSt9enable_ifIXsr10test_utilsE35device_test_enabled_for_warp_size_vIXT1_EEEvE4typeEPT_S4_S4_S3_,comdat
.Lfunc_end207:
	.size	_Z33warp_exclusive_scan_reduce_kernelIfLj128ELj32EENSt9enable_ifIXsr10test_utilsE35device_test_enabled_for_warp_size_vIXT1_EEEvE4typeEPT_S4_S4_S3_, .Lfunc_end207-_Z33warp_exclusive_scan_reduce_kernelIfLj128ELj32EENSt9enable_ifIXsr10test_utilsE35device_test_enabled_for_warp_size_vIXT1_EEEvE4typeEPT_S4_S4_S3_
                                        ; -- End function
	.set _Z33warp_exclusive_scan_reduce_kernelIfLj128ELj32EENSt9enable_ifIXsr10test_utilsE35device_test_enabled_for_warp_size_vIXT1_EEEvE4typeEPT_S4_S4_S3_.num_vgpr, 13
	.set _Z33warp_exclusive_scan_reduce_kernelIfLj128ELj32EENSt9enable_ifIXsr10test_utilsE35device_test_enabled_for_warp_size_vIXT1_EEEvE4typeEPT_S4_S4_S3_.num_agpr, 0
	.set _Z33warp_exclusive_scan_reduce_kernelIfLj128ELj32EENSt9enable_ifIXsr10test_utilsE35device_test_enabled_for_warp_size_vIXT1_EEEvE4typeEPT_S4_S4_S3_.numbered_sgpr, 9
	.set _Z33warp_exclusive_scan_reduce_kernelIfLj128ELj32EENSt9enable_ifIXsr10test_utilsE35device_test_enabled_for_warp_size_vIXT1_EEEvE4typeEPT_S4_S4_S3_.num_named_barrier, 0
	.set _Z33warp_exclusive_scan_reduce_kernelIfLj128ELj32EENSt9enable_ifIXsr10test_utilsE35device_test_enabled_for_warp_size_vIXT1_EEEvE4typeEPT_S4_S4_S3_.private_seg_size, 0
	.set _Z33warp_exclusive_scan_reduce_kernelIfLj128ELj32EENSt9enable_ifIXsr10test_utilsE35device_test_enabled_for_warp_size_vIXT1_EEEvE4typeEPT_S4_S4_S3_.uses_vcc, 1
	.set _Z33warp_exclusive_scan_reduce_kernelIfLj128ELj32EENSt9enable_ifIXsr10test_utilsE35device_test_enabled_for_warp_size_vIXT1_EEEvE4typeEPT_S4_S4_S3_.uses_flat_scratch, 0
	.set _Z33warp_exclusive_scan_reduce_kernelIfLj128ELj32EENSt9enable_ifIXsr10test_utilsE35device_test_enabled_for_warp_size_vIXT1_EEEvE4typeEPT_S4_S4_S3_.has_dyn_sized_stack, 0
	.set _Z33warp_exclusive_scan_reduce_kernelIfLj128ELj32EENSt9enable_ifIXsr10test_utilsE35device_test_enabled_for_warp_size_vIXT1_EEEvE4typeEPT_S4_S4_S3_.has_recursion, 0
	.set _Z33warp_exclusive_scan_reduce_kernelIfLj128ELj32EENSt9enable_ifIXsr10test_utilsE35device_test_enabled_for_warp_size_vIXT1_EEEvE4typeEPT_S4_S4_S3_.has_indirect_call, 0
	.section	.AMDGPU.csdata,"",@progbits
; Kernel info:
; codeLenInByte = 372
; TotalNumSgprs: 13
; NumVgprs: 13
; ScratchSize: 0
; MemoryBound: 0
; FloatMode: 240
; IeeeMode: 1
; LDSByteSize: 0 bytes/workgroup (compile time only)
; SGPRBlocks: 1
; VGPRBlocks: 3
; NumSGPRsForWavesPerEU: 13
; NumVGPRsForWavesPerEU: 13
; Occupancy: 10
; WaveLimiterHint : 0
; COMPUTE_PGM_RSRC2:SCRATCH_EN: 0
; COMPUTE_PGM_RSRC2:USER_SGPR: 6
; COMPUTE_PGM_RSRC2:TRAP_HANDLER: 0
; COMPUTE_PGM_RSRC2:TGID_X_EN: 1
; COMPUTE_PGM_RSRC2:TGID_Y_EN: 0
; COMPUTE_PGM_RSRC2:TGID_Z_EN: 0
; COMPUTE_PGM_RSRC2:TIDIG_COMP_CNT: 0
	.section	.text._Z33warp_exclusive_scan_reduce_kernelIfLj64ELj16EENSt9enable_ifIXsr10test_utilsE35device_test_enabled_for_warp_size_vIXT1_EEEvE4typeEPT_S4_S4_S3_,"axG",@progbits,_Z33warp_exclusive_scan_reduce_kernelIfLj64ELj16EENSt9enable_ifIXsr10test_utilsE35device_test_enabled_for_warp_size_vIXT1_EEEvE4typeEPT_S4_S4_S3_,comdat
	.protected	_Z33warp_exclusive_scan_reduce_kernelIfLj64ELj16EENSt9enable_ifIXsr10test_utilsE35device_test_enabled_for_warp_size_vIXT1_EEEvE4typeEPT_S4_S4_S3_ ; -- Begin function _Z33warp_exclusive_scan_reduce_kernelIfLj64ELj16EENSt9enable_ifIXsr10test_utilsE35device_test_enabled_for_warp_size_vIXT1_EEEvE4typeEPT_S4_S4_S3_
	.globl	_Z33warp_exclusive_scan_reduce_kernelIfLj64ELj16EENSt9enable_ifIXsr10test_utilsE35device_test_enabled_for_warp_size_vIXT1_EEEvE4typeEPT_S4_S4_S3_
	.p2align	8
	.type	_Z33warp_exclusive_scan_reduce_kernelIfLj64ELj16EENSt9enable_ifIXsr10test_utilsE35device_test_enabled_for_warp_size_vIXT1_EEEvE4typeEPT_S4_S4_S3_,@function
_Z33warp_exclusive_scan_reduce_kernelIfLj64ELj16EENSt9enable_ifIXsr10test_utilsE35device_test_enabled_for_warp_size_vIXT1_EEEvE4typeEPT_S4_S4_S3_: ; @_Z33warp_exclusive_scan_reduce_kernelIfLj64ELj16EENSt9enable_ifIXsr10test_utilsE35device_test_enabled_for_warp_size_vIXT1_EEEvE4typeEPT_S4_S4_S3_
; %bb.0:
	s_load_dword s7, s[4:5], 0x2c
	s_load_dwordx4 s[0:3], s[4:5], 0x0
	s_load_dword s8, s[4:5], 0x18
	v_mov_b32_e32 v2, 0
	v_and_b32_e32 v6, 15, v0
	s_waitcnt lgkmcnt(0)
	s_and_b32 s7, s7, 0xffff
	s_mul_i32 s6, s6, s7
	v_add_u32_e32 v1, s6, v0
	v_lshlrev_b64 v[2:3], 2, v[1:2]
	v_mov_b32_e32 v5, s1
	v_add_co_u32_e32 v4, vcc, s0, v2
	v_addc_co_u32_e32 v5, vcc, v5, v3, vcc
	global_load_dword v4, v[4:5], off
	v_mbcnt_lo_u32_b32 v5, -1, 0
	v_mbcnt_hi_u32_b32 v5, -1, v5
	v_and_b32_e32 v7, 0x70, v5
	v_add_u32_e32 v9, -1, v5
	v_and_b32_e32 v0, 15, v5
	v_cmp_lt_i32_e32 vcc, v9, v7
	v_lshl_or_b32 v8, v5, 2, 60
	v_cndmask_b32_e32 v5, v9, v5, vcc
	v_cmp_eq_u32_e32 vcc, 0, v0
	v_cmp_lt_u32_e64 s[0:1], 1, v0
	v_lshlrev_b32_e32 v5, 2, v5
	v_mov_b32_e32 v7, s8
	v_mov_b32_e32 v9, s3
	s_waitcnt vmcnt(0)
	v_mov_b32_dpp v10, v4 row_shr:1 row_mask:0xf bank_mask:0xf
	v_add_f32_e32 v10, v4, v10
	v_cndmask_b32_e32 v4, v10, v4, vcc
	s_nop 1
	v_mov_b32_dpp v10, v4 row_shr:2 row_mask:0xf bank_mask:0xf
	v_add_f32_e32 v10, v4, v10
	v_cndmask_b32_e64 v4, v4, v10, s[0:1]
	v_cmp_lt_u32_e64 s[0:1], 3, v0
	s_nop 0
	v_mov_b32_dpp v10, v4 row_shr:4 row_mask:0xf bank_mask:0xf
	v_add_f32_e32 v10, v4, v10
	v_cndmask_b32_e64 v4, v4, v10, s[0:1]
	v_cmp_lt_u32_e64 s[0:1], 7, v0
	s_nop 0
	v_mov_b32_dpp v10, v4 row_shr:8 row_mask:0xf bank_mask:0xf
	v_add_f32_e32 v10, v4, v10
	v_cndmask_b32_e64 v4, v4, v10, s[0:1]
	ds_bpermute_b32 v0, v8, v4
	v_add_f32_e32 v4, s8, v4
	ds_bpermute_b32 v4, v5, v4
	v_add_co_u32_e64 v2, s[0:1], s2, v2
	v_addc_co_u32_e64 v3, s[0:1], v9, v3, s[0:1]
	s_waitcnt lgkmcnt(0)
	v_cndmask_b32_e32 v4, v4, v7, vcc
	v_cmp_eq_u32_e32 vcc, 0, v6
	global_store_dword v[2:3], v4, off
	s_and_saveexec_b64 s[0:1], vcc
	s_cbranch_execz .LBB208_2
; %bb.1:
	s_load_dwordx2 s[0:1], s[4:5], 0x10
	v_lshrrev_b32_e32 v1, 2, v1
	v_and_b32_e32 v1, 0x3ffffffc, v1
	s_waitcnt lgkmcnt(0)
	global_store_dword v1, v0, s[0:1]
.LBB208_2:
	s_endpgm
	.section	.rodata,"a",@progbits
	.p2align	6, 0x0
	.amdhsa_kernel _Z33warp_exclusive_scan_reduce_kernelIfLj64ELj16EENSt9enable_ifIXsr10test_utilsE35device_test_enabled_for_warp_size_vIXT1_EEEvE4typeEPT_S4_S4_S3_
		.amdhsa_group_segment_fixed_size 0
		.amdhsa_private_segment_fixed_size 0
		.amdhsa_kernarg_size 288
		.amdhsa_user_sgpr_count 6
		.amdhsa_user_sgpr_private_segment_buffer 1
		.amdhsa_user_sgpr_dispatch_ptr 0
		.amdhsa_user_sgpr_queue_ptr 0
		.amdhsa_user_sgpr_kernarg_segment_ptr 1
		.amdhsa_user_sgpr_dispatch_id 0
		.amdhsa_user_sgpr_flat_scratch_init 0
		.amdhsa_user_sgpr_private_segment_size 0
		.amdhsa_uses_dynamic_stack 0
		.amdhsa_system_sgpr_private_segment_wavefront_offset 0
		.amdhsa_system_sgpr_workgroup_id_x 1
		.amdhsa_system_sgpr_workgroup_id_y 0
		.amdhsa_system_sgpr_workgroup_id_z 0
		.amdhsa_system_sgpr_workgroup_info 0
		.amdhsa_system_vgpr_workitem_id 0
		.amdhsa_next_free_vgpr 11
		.amdhsa_next_free_sgpr 9
		.amdhsa_reserve_vcc 1
		.amdhsa_reserve_flat_scratch 0
		.amdhsa_float_round_mode_32 0
		.amdhsa_float_round_mode_16_64 0
		.amdhsa_float_denorm_mode_32 3
		.amdhsa_float_denorm_mode_16_64 3
		.amdhsa_dx10_clamp 1
		.amdhsa_ieee_mode 1
		.amdhsa_fp16_overflow 0
		.amdhsa_exception_fp_ieee_invalid_op 0
		.amdhsa_exception_fp_denorm_src 0
		.amdhsa_exception_fp_ieee_div_zero 0
		.amdhsa_exception_fp_ieee_overflow 0
		.amdhsa_exception_fp_ieee_underflow 0
		.amdhsa_exception_fp_ieee_inexact 0
		.amdhsa_exception_int_div_zero 0
	.end_amdhsa_kernel
	.section	.text._Z33warp_exclusive_scan_reduce_kernelIfLj64ELj16EENSt9enable_ifIXsr10test_utilsE35device_test_enabled_for_warp_size_vIXT1_EEEvE4typeEPT_S4_S4_S3_,"axG",@progbits,_Z33warp_exclusive_scan_reduce_kernelIfLj64ELj16EENSt9enable_ifIXsr10test_utilsE35device_test_enabled_for_warp_size_vIXT1_EEEvE4typeEPT_S4_S4_S3_,comdat
.Lfunc_end208:
	.size	_Z33warp_exclusive_scan_reduce_kernelIfLj64ELj16EENSt9enable_ifIXsr10test_utilsE35device_test_enabled_for_warp_size_vIXT1_EEEvE4typeEPT_S4_S4_S3_, .Lfunc_end208-_Z33warp_exclusive_scan_reduce_kernelIfLj64ELj16EENSt9enable_ifIXsr10test_utilsE35device_test_enabled_for_warp_size_vIXT1_EEEvE4typeEPT_S4_S4_S3_
                                        ; -- End function
	.set _Z33warp_exclusive_scan_reduce_kernelIfLj64ELj16EENSt9enable_ifIXsr10test_utilsE35device_test_enabled_for_warp_size_vIXT1_EEEvE4typeEPT_S4_S4_S3_.num_vgpr, 11
	.set _Z33warp_exclusive_scan_reduce_kernelIfLj64ELj16EENSt9enable_ifIXsr10test_utilsE35device_test_enabled_for_warp_size_vIXT1_EEEvE4typeEPT_S4_S4_S3_.num_agpr, 0
	.set _Z33warp_exclusive_scan_reduce_kernelIfLj64ELj16EENSt9enable_ifIXsr10test_utilsE35device_test_enabled_for_warp_size_vIXT1_EEEvE4typeEPT_S4_S4_S3_.numbered_sgpr, 9
	.set _Z33warp_exclusive_scan_reduce_kernelIfLj64ELj16EENSt9enable_ifIXsr10test_utilsE35device_test_enabled_for_warp_size_vIXT1_EEEvE4typeEPT_S4_S4_S3_.num_named_barrier, 0
	.set _Z33warp_exclusive_scan_reduce_kernelIfLj64ELj16EENSt9enable_ifIXsr10test_utilsE35device_test_enabled_for_warp_size_vIXT1_EEEvE4typeEPT_S4_S4_S3_.private_seg_size, 0
	.set _Z33warp_exclusive_scan_reduce_kernelIfLj64ELj16EENSt9enable_ifIXsr10test_utilsE35device_test_enabled_for_warp_size_vIXT1_EEEvE4typeEPT_S4_S4_S3_.uses_vcc, 1
	.set _Z33warp_exclusive_scan_reduce_kernelIfLj64ELj16EENSt9enable_ifIXsr10test_utilsE35device_test_enabled_for_warp_size_vIXT1_EEEvE4typeEPT_S4_S4_S3_.uses_flat_scratch, 0
	.set _Z33warp_exclusive_scan_reduce_kernelIfLj64ELj16EENSt9enable_ifIXsr10test_utilsE35device_test_enabled_for_warp_size_vIXT1_EEEvE4typeEPT_S4_S4_S3_.has_dyn_sized_stack, 0
	.set _Z33warp_exclusive_scan_reduce_kernelIfLj64ELj16EENSt9enable_ifIXsr10test_utilsE35device_test_enabled_for_warp_size_vIXT1_EEEvE4typeEPT_S4_S4_S3_.has_recursion, 0
	.set _Z33warp_exclusive_scan_reduce_kernelIfLj64ELj16EENSt9enable_ifIXsr10test_utilsE35device_test_enabled_for_warp_size_vIXT1_EEEvE4typeEPT_S4_S4_S3_.has_indirect_call, 0
	.section	.AMDGPU.csdata,"",@progbits
; Kernel info:
; codeLenInByte = 360
; TotalNumSgprs: 13
; NumVgprs: 11
; ScratchSize: 0
; MemoryBound: 0
; FloatMode: 240
; IeeeMode: 1
; LDSByteSize: 0 bytes/workgroup (compile time only)
; SGPRBlocks: 1
; VGPRBlocks: 2
; NumSGPRsForWavesPerEU: 13
; NumVGPRsForWavesPerEU: 11
; Occupancy: 10
; WaveLimiterHint : 0
; COMPUTE_PGM_RSRC2:SCRATCH_EN: 0
; COMPUTE_PGM_RSRC2:USER_SGPR: 6
; COMPUTE_PGM_RSRC2:TRAP_HANDLER: 0
; COMPUTE_PGM_RSRC2:TGID_X_EN: 1
; COMPUTE_PGM_RSRC2:TGID_Y_EN: 0
; COMPUTE_PGM_RSRC2:TGID_Z_EN: 0
; COMPUTE_PGM_RSRC2:TIDIG_COMP_CNT: 0
	.section	.text._Z33warp_exclusive_scan_reduce_kernelIfLj32ELj8EENSt9enable_ifIXsr10test_utilsE35device_test_enabled_for_warp_size_vIXT1_EEEvE4typeEPT_S4_S4_S3_,"axG",@progbits,_Z33warp_exclusive_scan_reduce_kernelIfLj32ELj8EENSt9enable_ifIXsr10test_utilsE35device_test_enabled_for_warp_size_vIXT1_EEEvE4typeEPT_S4_S4_S3_,comdat
	.protected	_Z33warp_exclusive_scan_reduce_kernelIfLj32ELj8EENSt9enable_ifIXsr10test_utilsE35device_test_enabled_for_warp_size_vIXT1_EEEvE4typeEPT_S4_S4_S3_ ; -- Begin function _Z33warp_exclusive_scan_reduce_kernelIfLj32ELj8EENSt9enable_ifIXsr10test_utilsE35device_test_enabled_for_warp_size_vIXT1_EEEvE4typeEPT_S4_S4_S3_
	.globl	_Z33warp_exclusive_scan_reduce_kernelIfLj32ELj8EENSt9enable_ifIXsr10test_utilsE35device_test_enabled_for_warp_size_vIXT1_EEEvE4typeEPT_S4_S4_S3_
	.p2align	8
	.type	_Z33warp_exclusive_scan_reduce_kernelIfLj32ELj8EENSt9enable_ifIXsr10test_utilsE35device_test_enabled_for_warp_size_vIXT1_EEEvE4typeEPT_S4_S4_S3_,@function
_Z33warp_exclusive_scan_reduce_kernelIfLj32ELj8EENSt9enable_ifIXsr10test_utilsE35device_test_enabled_for_warp_size_vIXT1_EEEvE4typeEPT_S4_S4_S3_: ; @_Z33warp_exclusive_scan_reduce_kernelIfLj32ELj8EENSt9enable_ifIXsr10test_utilsE35device_test_enabled_for_warp_size_vIXT1_EEEvE4typeEPT_S4_S4_S3_
; %bb.0:
	s_load_dword s7, s[4:5], 0x2c
	s_load_dwordx4 s[0:3], s[4:5], 0x0
	s_load_dword s8, s[4:5], 0x18
	v_mov_b32_e32 v2, 0
	v_and_b32_e32 v6, 7, v0
	s_waitcnt lgkmcnt(0)
	s_and_b32 s7, s7, 0xffff
	s_mul_i32 s6, s6, s7
	v_add_u32_e32 v1, s6, v0
	v_lshlrev_b64 v[2:3], 2, v[1:2]
	v_mov_b32_e32 v5, s1
	v_add_co_u32_e32 v4, vcc, s0, v2
	v_addc_co_u32_e32 v5, vcc, v5, v3, vcc
	global_load_dword v4, v[4:5], off
	v_mbcnt_lo_u32_b32 v5, -1, 0
	v_mbcnt_hi_u32_b32 v5, -1, v5
	v_and_b32_e32 v7, 0x78, v5
	v_add_u32_e32 v9, -1, v5
	v_and_b32_e32 v0, 7, v5
	v_cmp_lt_i32_e32 vcc, v9, v7
	v_lshl_or_b32 v8, v5, 2, 28
	v_cndmask_b32_e32 v5, v9, v5, vcc
	v_cmp_eq_u32_e32 vcc, 0, v0
	v_cmp_lt_u32_e64 s[0:1], 1, v0
	v_lshlrev_b32_e32 v5, 2, v5
	v_mov_b32_e32 v7, s8
	v_mov_b32_e32 v9, s3
	s_waitcnt vmcnt(0)
	v_mov_b32_dpp v10, v4 row_shr:1 row_mask:0xf bank_mask:0xf
	v_add_f32_e32 v10, v4, v10
	v_cndmask_b32_e32 v4, v10, v4, vcc
	s_nop 1
	v_mov_b32_dpp v10, v4 row_shr:2 row_mask:0xf bank_mask:0xf
	v_add_f32_e32 v10, v4, v10
	v_cndmask_b32_e64 v4, v4, v10, s[0:1]
	v_cmp_lt_u32_e64 s[0:1], 3, v0
	s_nop 0
	v_mov_b32_dpp v10, v4 row_shr:4 row_mask:0xf bank_mask:0xf
	v_add_f32_e32 v10, v4, v10
	v_cndmask_b32_e64 v4, v4, v10, s[0:1]
	ds_bpermute_b32 v0, v8, v4
	v_add_f32_e32 v4, s8, v4
	ds_bpermute_b32 v4, v5, v4
	v_add_co_u32_e64 v2, s[0:1], s2, v2
	v_addc_co_u32_e64 v3, s[0:1], v9, v3, s[0:1]
	s_waitcnt lgkmcnt(0)
	v_cndmask_b32_e32 v4, v4, v7, vcc
	v_cmp_eq_u32_e32 vcc, 0, v6
	global_store_dword v[2:3], v4, off
	s_and_saveexec_b64 s[0:1], vcc
	s_cbranch_execz .LBB209_2
; %bb.1:
	s_load_dwordx2 s[0:1], s[4:5], 0x10
	v_lshrrev_b32_e32 v1, 1, v1
	v_and_b32_e32 v1, 0x7ffffffc, v1
	s_waitcnt lgkmcnt(0)
	global_store_dword v1, v0, s[0:1]
.LBB209_2:
	s_endpgm
	.section	.rodata,"a",@progbits
	.p2align	6, 0x0
	.amdhsa_kernel _Z33warp_exclusive_scan_reduce_kernelIfLj32ELj8EENSt9enable_ifIXsr10test_utilsE35device_test_enabled_for_warp_size_vIXT1_EEEvE4typeEPT_S4_S4_S3_
		.amdhsa_group_segment_fixed_size 0
		.amdhsa_private_segment_fixed_size 0
		.amdhsa_kernarg_size 288
		.amdhsa_user_sgpr_count 6
		.amdhsa_user_sgpr_private_segment_buffer 1
		.amdhsa_user_sgpr_dispatch_ptr 0
		.amdhsa_user_sgpr_queue_ptr 0
		.amdhsa_user_sgpr_kernarg_segment_ptr 1
		.amdhsa_user_sgpr_dispatch_id 0
		.amdhsa_user_sgpr_flat_scratch_init 0
		.amdhsa_user_sgpr_private_segment_size 0
		.amdhsa_uses_dynamic_stack 0
		.amdhsa_system_sgpr_private_segment_wavefront_offset 0
		.amdhsa_system_sgpr_workgroup_id_x 1
		.amdhsa_system_sgpr_workgroup_id_y 0
		.amdhsa_system_sgpr_workgroup_id_z 0
		.amdhsa_system_sgpr_workgroup_info 0
		.amdhsa_system_vgpr_workitem_id 0
		.amdhsa_next_free_vgpr 11
		.amdhsa_next_free_sgpr 9
		.amdhsa_reserve_vcc 1
		.amdhsa_reserve_flat_scratch 0
		.amdhsa_float_round_mode_32 0
		.amdhsa_float_round_mode_16_64 0
		.amdhsa_float_denorm_mode_32 3
		.amdhsa_float_denorm_mode_16_64 3
		.amdhsa_dx10_clamp 1
		.amdhsa_ieee_mode 1
		.amdhsa_fp16_overflow 0
		.amdhsa_exception_fp_ieee_invalid_op 0
		.amdhsa_exception_fp_denorm_src 0
		.amdhsa_exception_fp_ieee_div_zero 0
		.amdhsa_exception_fp_ieee_overflow 0
		.amdhsa_exception_fp_ieee_underflow 0
		.amdhsa_exception_fp_ieee_inexact 0
		.amdhsa_exception_int_div_zero 0
	.end_amdhsa_kernel
	.section	.text._Z33warp_exclusive_scan_reduce_kernelIfLj32ELj8EENSt9enable_ifIXsr10test_utilsE35device_test_enabled_for_warp_size_vIXT1_EEEvE4typeEPT_S4_S4_S3_,"axG",@progbits,_Z33warp_exclusive_scan_reduce_kernelIfLj32ELj8EENSt9enable_ifIXsr10test_utilsE35device_test_enabled_for_warp_size_vIXT1_EEEvE4typeEPT_S4_S4_S3_,comdat
.Lfunc_end209:
	.size	_Z33warp_exclusive_scan_reduce_kernelIfLj32ELj8EENSt9enable_ifIXsr10test_utilsE35device_test_enabled_for_warp_size_vIXT1_EEEvE4typeEPT_S4_S4_S3_, .Lfunc_end209-_Z33warp_exclusive_scan_reduce_kernelIfLj32ELj8EENSt9enable_ifIXsr10test_utilsE35device_test_enabled_for_warp_size_vIXT1_EEEvE4typeEPT_S4_S4_S3_
                                        ; -- End function
	.set _Z33warp_exclusive_scan_reduce_kernelIfLj32ELj8EENSt9enable_ifIXsr10test_utilsE35device_test_enabled_for_warp_size_vIXT1_EEEvE4typeEPT_S4_S4_S3_.num_vgpr, 11
	.set _Z33warp_exclusive_scan_reduce_kernelIfLj32ELj8EENSt9enable_ifIXsr10test_utilsE35device_test_enabled_for_warp_size_vIXT1_EEEvE4typeEPT_S4_S4_S3_.num_agpr, 0
	.set _Z33warp_exclusive_scan_reduce_kernelIfLj32ELj8EENSt9enable_ifIXsr10test_utilsE35device_test_enabled_for_warp_size_vIXT1_EEEvE4typeEPT_S4_S4_S3_.numbered_sgpr, 9
	.set _Z33warp_exclusive_scan_reduce_kernelIfLj32ELj8EENSt9enable_ifIXsr10test_utilsE35device_test_enabled_for_warp_size_vIXT1_EEEvE4typeEPT_S4_S4_S3_.num_named_barrier, 0
	.set _Z33warp_exclusive_scan_reduce_kernelIfLj32ELj8EENSt9enable_ifIXsr10test_utilsE35device_test_enabled_for_warp_size_vIXT1_EEEvE4typeEPT_S4_S4_S3_.private_seg_size, 0
	.set _Z33warp_exclusive_scan_reduce_kernelIfLj32ELj8EENSt9enable_ifIXsr10test_utilsE35device_test_enabled_for_warp_size_vIXT1_EEEvE4typeEPT_S4_S4_S3_.uses_vcc, 1
	.set _Z33warp_exclusive_scan_reduce_kernelIfLj32ELj8EENSt9enable_ifIXsr10test_utilsE35device_test_enabled_for_warp_size_vIXT1_EEEvE4typeEPT_S4_S4_S3_.uses_flat_scratch, 0
	.set _Z33warp_exclusive_scan_reduce_kernelIfLj32ELj8EENSt9enable_ifIXsr10test_utilsE35device_test_enabled_for_warp_size_vIXT1_EEEvE4typeEPT_S4_S4_S3_.has_dyn_sized_stack, 0
	.set _Z33warp_exclusive_scan_reduce_kernelIfLj32ELj8EENSt9enable_ifIXsr10test_utilsE35device_test_enabled_for_warp_size_vIXT1_EEEvE4typeEPT_S4_S4_S3_.has_recursion, 0
	.set _Z33warp_exclusive_scan_reduce_kernelIfLj32ELj8EENSt9enable_ifIXsr10test_utilsE35device_test_enabled_for_warp_size_vIXT1_EEEvE4typeEPT_S4_S4_S3_.has_indirect_call, 0
	.section	.AMDGPU.csdata,"",@progbits
; Kernel info:
; codeLenInByte = 328
; TotalNumSgprs: 13
; NumVgprs: 11
; ScratchSize: 0
; MemoryBound: 0
; FloatMode: 240
; IeeeMode: 1
; LDSByteSize: 0 bytes/workgroup (compile time only)
; SGPRBlocks: 1
; VGPRBlocks: 2
; NumSGPRsForWavesPerEU: 13
; NumVGPRsForWavesPerEU: 11
; Occupancy: 10
; WaveLimiterHint : 0
; COMPUTE_PGM_RSRC2:SCRATCH_EN: 0
; COMPUTE_PGM_RSRC2:USER_SGPR: 6
; COMPUTE_PGM_RSRC2:TRAP_HANDLER: 0
; COMPUTE_PGM_RSRC2:TGID_X_EN: 1
; COMPUTE_PGM_RSRC2:TGID_Y_EN: 0
; COMPUTE_PGM_RSRC2:TGID_Z_EN: 0
; COMPUTE_PGM_RSRC2:TIDIG_COMP_CNT: 0
	.section	.text._Z33warp_exclusive_scan_reduce_kernelIfLj64ELj8EENSt9enable_ifIXsr10test_utilsE35device_test_enabled_for_warp_size_vIXT1_EEEvE4typeEPT_S4_S4_S3_,"axG",@progbits,_Z33warp_exclusive_scan_reduce_kernelIfLj64ELj8EENSt9enable_ifIXsr10test_utilsE35device_test_enabled_for_warp_size_vIXT1_EEEvE4typeEPT_S4_S4_S3_,comdat
	.protected	_Z33warp_exclusive_scan_reduce_kernelIfLj64ELj8EENSt9enable_ifIXsr10test_utilsE35device_test_enabled_for_warp_size_vIXT1_EEEvE4typeEPT_S4_S4_S3_ ; -- Begin function _Z33warp_exclusive_scan_reduce_kernelIfLj64ELj8EENSt9enable_ifIXsr10test_utilsE35device_test_enabled_for_warp_size_vIXT1_EEEvE4typeEPT_S4_S4_S3_
	.globl	_Z33warp_exclusive_scan_reduce_kernelIfLj64ELj8EENSt9enable_ifIXsr10test_utilsE35device_test_enabled_for_warp_size_vIXT1_EEEvE4typeEPT_S4_S4_S3_
	.p2align	8
	.type	_Z33warp_exclusive_scan_reduce_kernelIfLj64ELj8EENSt9enable_ifIXsr10test_utilsE35device_test_enabled_for_warp_size_vIXT1_EEEvE4typeEPT_S4_S4_S3_,@function
_Z33warp_exclusive_scan_reduce_kernelIfLj64ELj8EENSt9enable_ifIXsr10test_utilsE35device_test_enabled_for_warp_size_vIXT1_EEEvE4typeEPT_S4_S4_S3_: ; @_Z33warp_exclusive_scan_reduce_kernelIfLj64ELj8EENSt9enable_ifIXsr10test_utilsE35device_test_enabled_for_warp_size_vIXT1_EEEvE4typeEPT_S4_S4_S3_
; %bb.0:
	s_load_dword s7, s[4:5], 0x2c
	s_load_dwordx4 s[0:3], s[4:5], 0x0
	s_load_dword s8, s[4:5], 0x18
	v_mov_b32_e32 v2, 0
	v_and_b32_e32 v6, 7, v0
	s_waitcnt lgkmcnt(0)
	s_and_b32 s7, s7, 0xffff
	s_mul_i32 s6, s6, s7
	v_add_u32_e32 v1, s6, v0
	v_lshlrev_b64 v[2:3], 2, v[1:2]
	v_mov_b32_e32 v5, s1
	v_add_co_u32_e32 v4, vcc, s0, v2
	v_addc_co_u32_e32 v5, vcc, v5, v3, vcc
	global_load_dword v4, v[4:5], off
	v_mbcnt_lo_u32_b32 v5, -1, 0
	v_mbcnt_hi_u32_b32 v5, -1, v5
	v_and_b32_e32 v7, 0x78, v5
	v_add_u32_e32 v9, -1, v5
	v_and_b32_e32 v0, 7, v5
	v_cmp_lt_i32_e32 vcc, v9, v7
	v_lshl_or_b32 v8, v5, 2, 28
	v_cndmask_b32_e32 v5, v9, v5, vcc
	v_cmp_eq_u32_e32 vcc, 0, v0
	v_cmp_lt_u32_e64 s[0:1], 1, v0
	v_lshlrev_b32_e32 v5, 2, v5
	v_mov_b32_e32 v7, s8
	v_mov_b32_e32 v9, s3
	s_waitcnt vmcnt(0)
	v_mov_b32_dpp v10, v4 row_shr:1 row_mask:0xf bank_mask:0xf
	v_add_f32_e32 v10, v4, v10
	v_cndmask_b32_e32 v4, v10, v4, vcc
	s_nop 1
	v_mov_b32_dpp v10, v4 row_shr:2 row_mask:0xf bank_mask:0xf
	v_add_f32_e32 v10, v4, v10
	v_cndmask_b32_e64 v4, v4, v10, s[0:1]
	v_cmp_lt_u32_e64 s[0:1], 3, v0
	s_nop 0
	v_mov_b32_dpp v10, v4 row_shr:4 row_mask:0xf bank_mask:0xf
	v_add_f32_e32 v10, v4, v10
	v_cndmask_b32_e64 v4, v4, v10, s[0:1]
	ds_bpermute_b32 v0, v8, v4
	v_add_f32_e32 v4, s8, v4
	ds_bpermute_b32 v4, v5, v4
	v_add_co_u32_e64 v2, s[0:1], s2, v2
	v_addc_co_u32_e64 v3, s[0:1], v9, v3, s[0:1]
	s_waitcnt lgkmcnt(0)
	v_cndmask_b32_e32 v4, v4, v7, vcc
	v_cmp_eq_u32_e32 vcc, 0, v6
	global_store_dword v[2:3], v4, off
	s_and_saveexec_b64 s[0:1], vcc
	s_cbranch_execz .LBB210_2
; %bb.1:
	s_load_dwordx2 s[0:1], s[4:5], 0x10
	v_lshrrev_b32_e32 v1, 1, v1
	v_and_b32_e32 v1, 0x7ffffffc, v1
	s_waitcnt lgkmcnt(0)
	global_store_dword v1, v0, s[0:1]
.LBB210_2:
	s_endpgm
	.section	.rodata,"a",@progbits
	.p2align	6, 0x0
	.amdhsa_kernel _Z33warp_exclusive_scan_reduce_kernelIfLj64ELj8EENSt9enable_ifIXsr10test_utilsE35device_test_enabled_for_warp_size_vIXT1_EEEvE4typeEPT_S4_S4_S3_
		.amdhsa_group_segment_fixed_size 0
		.amdhsa_private_segment_fixed_size 0
		.amdhsa_kernarg_size 288
		.amdhsa_user_sgpr_count 6
		.amdhsa_user_sgpr_private_segment_buffer 1
		.amdhsa_user_sgpr_dispatch_ptr 0
		.amdhsa_user_sgpr_queue_ptr 0
		.amdhsa_user_sgpr_kernarg_segment_ptr 1
		.amdhsa_user_sgpr_dispatch_id 0
		.amdhsa_user_sgpr_flat_scratch_init 0
		.amdhsa_user_sgpr_private_segment_size 0
		.amdhsa_uses_dynamic_stack 0
		.amdhsa_system_sgpr_private_segment_wavefront_offset 0
		.amdhsa_system_sgpr_workgroup_id_x 1
		.amdhsa_system_sgpr_workgroup_id_y 0
		.amdhsa_system_sgpr_workgroup_id_z 0
		.amdhsa_system_sgpr_workgroup_info 0
		.amdhsa_system_vgpr_workitem_id 0
		.amdhsa_next_free_vgpr 11
		.amdhsa_next_free_sgpr 9
		.amdhsa_reserve_vcc 1
		.amdhsa_reserve_flat_scratch 0
		.amdhsa_float_round_mode_32 0
		.amdhsa_float_round_mode_16_64 0
		.amdhsa_float_denorm_mode_32 3
		.amdhsa_float_denorm_mode_16_64 3
		.amdhsa_dx10_clamp 1
		.amdhsa_ieee_mode 1
		.amdhsa_fp16_overflow 0
		.amdhsa_exception_fp_ieee_invalid_op 0
		.amdhsa_exception_fp_denorm_src 0
		.amdhsa_exception_fp_ieee_div_zero 0
		.amdhsa_exception_fp_ieee_overflow 0
		.amdhsa_exception_fp_ieee_underflow 0
		.amdhsa_exception_fp_ieee_inexact 0
		.amdhsa_exception_int_div_zero 0
	.end_amdhsa_kernel
	.section	.text._Z33warp_exclusive_scan_reduce_kernelIfLj64ELj8EENSt9enable_ifIXsr10test_utilsE35device_test_enabled_for_warp_size_vIXT1_EEEvE4typeEPT_S4_S4_S3_,"axG",@progbits,_Z33warp_exclusive_scan_reduce_kernelIfLj64ELj8EENSt9enable_ifIXsr10test_utilsE35device_test_enabled_for_warp_size_vIXT1_EEEvE4typeEPT_S4_S4_S3_,comdat
.Lfunc_end210:
	.size	_Z33warp_exclusive_scan_reduce_kernelIfLj64ELj8EENSt9enable_ifIXsr10test_utilsE35device_test_enabled_for_warp_size_vIXT1_EEEvE4typeEPT_S4_S4_S3_, .Lfunc_end210-_Z33warp_exclusive_scan_reduce_kernelIfLj64ELj8EENSt9enable_ifIXsr10test_utilsE35device_test_enabled_for_warp_size_vIXT1_EEEvE4typeEPT_S4_S4_S3_
                                        ; -- End function
	.set _Z33warp_exclusive_scan_reduce_kernelIfLj64ELj8EENSt9enable_ifIXsr10test_utilsE35device_test_enabled_for_warp_size_vIXT1_EEEvE4typeEPT_S4_S4_S3_.num_vgpr, 11
	.set _Z33warp_exclusive_scan_reduce_kernelIfLj64ELj8EENSt9enable_ifIXsr10test_utilsE35device_test_enabled_for_warp_size_vIXT1_EEEvE4typeEPT_S4_S4_S3_.num_agpr, 0
	.set _Z33warp_exclusive_scan_reduce_kernelIfLj64ELj8EENSt9enable_ifIXsr10test_utilsE35device_test_enabled_for_warp_size_vIXT1_EEEvE4typeEPT_S4_S4_S3_.numbered_sgpr, 9
	.set _Z33warp_exclusive_scan_reduce_kernelIfLj64ELj8EENSt9enable_ifIXsr10test_utilsE35device_test_enabled_for_warp_size_vIXT1_EEEvE4typeEPT_S4_S4_S3_.num_named_barrier, 0
	.set _Z33warp_exclusive_scan_reduce_kernelIfLj64ELj8EENSt9enable_ifIXsr10test_utilsE35device_test_enabled_for_warp_size_vIXT1_EEEvE4typeEPT_S4_S4_S3_.private_seg_size, 0
	.set _Z33warp_exclusive_scan_reduce_kernelIfLj64ELj8EENSt9enable_ifIXsr10test_utilsE35device_test_enabled_for_warp_size_vIXT1_EEEvE4typeEPT_S4_S4_S3_.uses_vcc, 1
	.set _Z33warp_exclusive_scan_reduce_kernelIfLj64ELj8EENSt9enable_ifIXsr10test_utilsE35device_test_enabled_for_warp_size_vIXT1_EEEvE4typeEPT_S4_S4_S3_.uses_flat_scratch, 0
	.set _Z33warp_exclusive_scan_reduce_kernelIfLj64ELj8EENSt9enable_ifIXsr10test_utilsE35device_test_enabled_for_warp_size_vIXT1_EEEvE4typeEPT_S4_S4_S3_.has_dyn_sized_stack, 0
	.set _Z33warp_exclusive_scan_reduce_kernelIfLj64ELj8EENSt9enable_ifIXsr10test_utilsE35device_test_enabled_for_warp_size_vIXT1_EEEvE4typeEPT_S4_S4_S3_.has_recursion, 0
	.set _Z33warp_exclusive_scan_reduce_kernelIfLj64ELj8EENSt9enable_ifIXsr10test_utilsE35device_test_enabled_for_warp_size_vIXT1_EEEvE4typeEPT_S4_S4_S3_.has_indirect_call, 0
	.section	.AMDGPU.csdata,"",@progbits
; Kernel info:
; codeLenInByte = 328
; TotalNumSgprs: 13
; NumVgprs: 11
; ScratchSize: 0
; MemoryBound: 0
; FloatMode: 240
; IeeeMode: 1
; LDSByteSize: 0 bytes/workgroup (compile time only)
; SGPRBlocks: 1
; VGPRBlocks: 2
; NumSGPRsForWavesPerEU: 13
; NumVGPRsForWavesPerEU: 11
; Occupancy: 10
; WaveLimiterHint : 0
; COMPUTE_PGM_RSRC2:SCRATCH_EN: 0
; COMPUTE_PGM_RSRC2:USER_SGPR: 6
; COMPUTE_PGM_RSRC2:TRAP_HANDLER: 0
; COMPUTE_PGM_RSRC2:TGID_X_EN: 1
; COMPUTE_PGM_RSRC2:TGID_Y_EN: 0
; COMPUTE_PGM_RSRC2:TGID_Z_EN: 0
; COMPUTE_PGM_RSRC2:TIDIG_COMP_CNT: 0
	.section	.text._Z33warp_exclusive_scan_reduce_kernelIfLj32ELj4EENSt9enable_ifIXsr10test_utilsE35device_test_enabled_for_warp_size_vIXT1_EEEvE4typeEPT_S4_S4_S3_,"axG",@progbits,_Z33warp_exclusive_scan_reduce_kernelIfLj32ELj4EENSt9enable_ifIXsr10test_utilsE35device_test_enabled_for_warp_size_vIXT1_EEEvE4typeEPT_S4_S4_S3_,comdat
	.protected	_Z33warp_exclusive_scan_reduce_kernelIfLj32ELj4EENSt9enable_ifIXsr10test_utilsE35device_test_enabled_for_warp_size_vIXT1_EEEvE4typeEPT_S4_S4_S3_ ; -- Begin function _Z33warp_exclusive_scan_reduce_kernelIfLj32ELj4EENSt9enable_ifIXsr10test_utilsE35device_test_enabled_for_warp_size_vIXT1_EEEvE4typeEPT_S4_S4_S3_
	.globl	_Z33warp_exclusive_scan_reduce_kernelIfLj32ELj4EENSt9enable_ifIXsr10test_utilsE35device_test_enabled_for_warp_size_vIXT1_EEEvE4typeEPT_S4_S4_S3_
	.p2align	8
	.type	_Z33warp_exclusive_scan_reduce_kernelIfLj32ELj4EENSt9enable_ifIXsr10test_utilsE35device_test_enabled_for_warp_size_vIXT1_EEEvE4typeEPT_S4_S4_S3_,@function
_Z33warp_exclusive_scan_reduce_kernelIfLj32ELj4EENSt9enable_ifIXsr10test_utilsE35device_test_enabled_for_warp_size_vIXT1_EEEvE4typeEPT_S4_S4_S3_: ; @_Z33warp_exclusive_scan_reduce_kernelIfLj32ELj4EENSt9enable_ifIXsr10test_utilsE35device_test_enabled_for_warp_size_vIXT1_EEEvE4typeEPT_S4_S4_S3_
; %bb.0:
	s_load_dword s7, s[4:5], 0x2c
	s_load_dwordx4 s[0:3], s[4:5], 0x0
	s_load_dword s8, s[4:5], 0x18
	v_mov_b32_e32 v2, 0
	v_and_b32_e32 v6, 3, v0
	s_waitcnt lgkmcnt(0)
	s_and_b32 s7, s7, 0xffff
	s_mul_i32 s6, s6, s7
	v_add_u32_e32 v1, s6, v0
	v_lshlrev_b64 v[2:3], 2, v[1:2]
	v_mov_b32_e32 v5, s1
	v_add_co_u32_e32 v4, vcc, s0, v2
	v_addc_co_u32_e32 v5, vcc, v5, v3, vcc
	global_load_dword v4, v[4:5], off
	v_mbcnt_lo_u32_b32 v5, -1, 0
	v_mbcnt_hi_u32_b32 v5, -1, v5
	v_and_b32_e32 v7, 0x7c, v5
	v_add_u32_e32 v9, -1, v5
	v_and_b32_e32 v0, 3, v5
	v_cmp_lt_i32_e32 vcc, v9, v7
	v_lshl_or_b32 v8, v5, 2, 12
	v_cndmask_b32_e32 v5, v9, v5, vcc
	v_cmp_eq_u32_e32 vcc, 0, v0
	v_cmp_lt_u32_e64 s[0:1], 1, v0
	v_lshlrev_b32_e32 v5, 2, v5
	v_mov_b32_e32 v7, s8
	v_mov_b32_e32 v9, s3
	s_waitcnt vmcnt(0)
	v_mov_b32_dpp v10, v4 row_shr:1 row_mask:0xf bank_mask:0xf
	v_add_f32_e32 v10, v4, v10
	v_cndmask_b32_e32 v4, v10, v4, vcc
	s_nop 1
	v_mov_b32_dpp v10, v4 row_shr:2 row_mask:0xf bank_mask:0xf
	v_add_f32_e32 v10, v4, v10
	v_cndmask_b32_e64 v4, v4, v10, s[0:1]
	ds_bpermute_b32 v0, v8, v4
	v_add_f32_e32 v4, s8, v4
	ds_bpermute_b32 v4, v5, v4
	v_add_co_u32_e64 v2, s[0:1], s2, v2
	v_addc_co_u32_e64 v3, s[0:1], v9, v3, s[0:1]
	s_waitcnt lgkmcnt(0)
	v_cndmask_b32_e32 v4, v4, v7, vcc
	v_cmp_eq_u32_e32 vcc, 0, v6
	global_store_dword v[2:3], v4, off
	s_and_saveexec_b64 s[0:1], vcc
	s_cbranch_execz .LBB211_2
; %bb.1:
	s_load_dwordx2 s[0:1], s[4:5], 0x10
	v_and_b32_e32 v1, -4, v1
	s_waitcnt lgkmcnt(0)
	global_store_dword v1, v0, s[0:1]
.LBB211_2:
	s_endpgm
	.section	.rodata,"a",@progbits
	.p2align	6, 0x0
	.amdhsa_kernel _Z33warp_exclusive_scan_reduce_kernelIfLj32ELj4EENSt9enable_ifIXsr10test_utilsE35device_test_enabled_for_warp_size_vIXT1_EEEvE4typeEPT_S4_S4_S3_
		.amdhsa_group_segment_fixed_size 0
		.amdhsa_private_segment_fixed_size 0
		.amdhsa_kernarg_size 288
		.amdhsa_user_sgpr_count 6
		.amdhsa_user_sgpr_private_segment_buffer 1
		.amdhsa_user_sgpr_dispatch_ptr 0
		.amdhsa_user_sgpr_queue_ptr 0
		.amdhsa_user_sgpr_kernarg_segment_ptr 1
		.amdhsa_user_sgpr_dispatch_id 0
		.amdhsa_user_sgpr_flat_scratch_init 0
		.amdhsa_user_sgpr_private_segment_size 0
		.amdhsa_uses_dynamic_stack 0
		.amdhsa_system_sgpr_private_segment_wavefront_offset 0
		.amdhsa_system_sgpr_workgroup_id_x 1
		.amdhsa_system_sgpr_workgroup_id_y 0
		.amdhsa_system_sgpr_workgroup_id_z 0
		.amdhsa_system_sgpr_workgroup_info 0
		.amdhsa_system_vgpr_workitem_id 0
		.amdhsa_next_free_vgpr 11
		.amdhsa_next_free_sgpr 9
		.amdhsa_reserve_vcc 1
		.amdhsa_reserve_flat_scratch 0
		.amdhsa_float_round_mode_32 0
		.amdhsa_float_round_mode_16_64 0
		.amdhsa_float_denorm_mode_32 3
		.amdhsa_float_denorm_mode_16_64 3
		.amdhsa_dx10_clamp 1
		.amdhsa_ieee_mode 1
		.amdhsa_fp16_overflow 0
		.amdhsa_exception_fp_ieee_invalid_op 0
		.amdhsa_exception_fp_denorm_src 0
		.amdhsa_exception_fp_ieee_div_zero 0
		.amdhsa_exception_fp_ieee_overflow 0
		.amdhsa_exception_fp_ieee_underflow 0
		.amdhsa_exception_fp_ieee_inexact 0
		.amdhsa_exception_int_div_zero 0
	.end_amdhsa_kernel
	.section	.text._Z33warp_exclusive_scan_reduce_kernelIfLj32ELj4EENSt9enable_ifIXsr10test_utilsE35device_test_enabled_for_warp_size_vIXT1_EEEvE4typeEPT_S4_S4_S3_,"axG",@progbits,_Z33warp_exclusive_scan_reduce_kernelIfLj32ELj4EENSt9enable_ifIXsr10test_utilsE35device_test_enabled_for_warp_size_vIXT1_EEEvE4typeEPT_S4_S4_S3_,comdat
.Lfunc_end211:
	.size	_Z33warp_exclusive_scan_reduce_kernelIfLj32ELj4EENSt9enable_ifIXsr10test_utilsE35device_test_enabled_for_warp_size_vIXT1_EEEvE4typeEPT_S4_S4_S3_, .Lfunc_end211-_Z33warp_exclusive_scan_reduce_kernelIfLj32ELj4EENSt9enable_ifIXsr10test_utilsE35device_test_enabled_for_warp_size_vIXT1_EEEvE4typeEPT_S4_S4_S3_
                                        ; -- End function
	.set _Z33warp_exclusive_scan_reduce_kernelIfLj32ELj4EENSt9enable_ifIXsr10test_utilsE35device_test_enabled_for_warp_size_vIXT1_EEEvE4typeEPT_S4_S4_S3_.num_vgpr, 11
	.set _Z33warp_exclusive_scan_reduce_kernelIfLj32ELj4EENSt9enable_ifIXsr10test_utilsE35device_test_enabled_for_warp_size_vIXT1_EEEvE4typeEPT_S4_S4_S3_.num_agpr, 0
	.set _Z33warp_exclusive_scan_reduce_kernelIfLj32ELj4EENSt9enable_ifIXsr10test_utilsE35device_test_enabled_for_warp_size_vIXT1_EEEvE4typeEPT_S4_S4_S3_.numbered_sgpr, 9
	.set _Z33warp_exclusive_scan_reduce_kernelIfLj32ELj4EENSt9enable_ifIXsr10test_utilsE35device_test_enabled_for_warp_size_vIXT1_EEEvE4typeEPT_S4_S4_S3_.num_named_barrier, 0
	.set _Z33warp_exclusive_scan_reduce_kernelIfLj32ELj4EENSt9enable_ifIXsr10test_utilsE35device_test_enabled_for_warp_size_vIXT1_EEEvE4typeEPT_S4_S4_S3_.private_seg_size, 0
	.set _Z33warp_exclusive_scan_reduce_kernelIfLj32ELj4EENSt9enable_ifIXsr10test_utilsE35device_test_enabled_for_warp_size_vIXT1_EEEvE4typeEPT_S4_S4_S3_.uses_vcc, 1
	.set _Z33warp_exclusive_scan_reduce_kernelIfLj32ELj4EENSt9enable_ifIXsr10test_utilsE35device_test_enabled_for_warp_size_vIXT1_EEEvE4typeEPT_S4_S4_S3_.uses_flat_scratch, 0
	.set _Z33warp_exclusive_scan_reduce_kernelIfLj32ELj4EENSt9enable_ifIXsr10test_utilsE35device_test_enabled_for_warp_size_vIXT1_EEEvE4typeEPT_S4_S4_S3_.has_dyn_sized_stack, 0
	.set _Z33warp_exclusive_scan_reduce_kernelIfLj32ELj4EENSt9enable_ifIXsr10test_utilsE35device_test_enabled_for_warp_size_vIXT1_EEEvE4typeEPT_S4_S4_S3_.has_recursion, 0
	.set _Z33warp_exclusive_scan_reduce_kernelIfLj32ELj4EENSt9enable_ifIXsr10test_utilsE35device_test_enabled_for_warp_size_vIXT1_EEEvE4typeEPT_S4_S4_S3_.has_indirect_call, 0
	.section	.AMDGPU.csdata,"",@progbits
; Kernel info:
; codeLenInByte = 288
; TotalNumSgprs: 13
; NumVgprs: 11
; ScratchSize: 0
; MemoryBound: 0
; FloatMode: 240
; IeeeMode: 1
; LDSByteSize: 0 bytes/workgroup (compile time only)
; SGPRBlocks: 1
; VGPRBlocks: 2
; NumSGPRsForWavesPerEU: 13
; NumVGPRsForWavesPerEU: 11
; Occupancy: 10
; WaveLimiterHint : 0
; COMPUTE_PGM_RSRC2:SCRATCH_EN: 0
; COMPUTE_PGM_RSRC2:USER_SGPR: 6
; COMPUTE_PGM_RSRC2:TRAP_HANDLER: 0
; COMPUTE_PGM_RSRC2:TGID_X_EN: 1
; COMPUTE_PGM_RSRC2:TGID_Y_EN: 0
; COMPUTE_PGM_RSRC2:TGID_Z_EN: 0
; COMPUTE_PGM_RSRC2:TIDIG_COMP_CNT: 0
	.section	.text._Z33warp_exclusive_scan_reduce_kernelIfLj64ELj4EENSt9enable_ifIXsr10test_utilsE35device_test_enabled_for_warp_size_vIXT1_EEEvE4typeEPT_S4_S4_S3_,"axG",@progbits,_Z33warp_exclusive_scan_reduce_kernelIfLj64ELj4EENSt9enable_ifIXsr10test_utilsE35device_test_enabled_for_warp_size_vIXT1_EEEvE4typeEPT_S4_S4_S3_,comdat
	.protected	_Z33warp_exclusive_scan_reduce_kernelIfLj64ELj4EENSt9enable_ifIXsr10test_utilsE35device_test_enabled_for_warp_size_vIXT1_EEEvE4typeEPT_S4_S4_S3_ ; -- Begin function _Z33warp_exclusive_scan_reduce_kernelIfLj64ELj4EENSt9enable_ifIXsr10test_utilsE35device_test_enabled_for_warp_size_vIXT1_EEEvE4typeEPT_S4_S4_S3_
	.globl	_Z33warp_exclusive_scan_reduce_kernelIfLj64ELj4EENSt9enable_ifIXsr10test_utilsE35device_test_enabled_for_warp_size_vIXT1_EEEvE4typeEPT_S4_S4_S3_
	.p2align	8
	.type	_Z33warp_exclusive_scan_reduce_kernelIfLj64ELj4EENSt9enable_ifIXsr10test_utilsE35device_test_enabled_for_warp_size_vIXT1_EEEvE4typeEPT_S4_S4_S3_,@function
_Z33warp_exclusive_scan_reduce_kernelIfLj64ELj4EENSt9enable_ifIXsr10test_utilsE35device_test_enabled_for_warp_size_vIXT1_EEEvE4typeEPT_S4_S4_S3_: ; @_Z33warp_exclusive_scan_reduce_kernelIfLj64ELj4EENSt9enable_ifIXsr10test_utilsE35device_test_enabled_for_warp_size_vIXT1_EEEvE4typeEPT_S4_S4_S3_
; %bb.0:
	s_load_dword s7, s[4:5], 0x2c
	s_load_dwordx4 s[0:3], s[4:5], 0x0
	s_load_dword s8, s[4:5], 0x18
	v_mov_b32_e32 v2, 0
	v_and_b32_e32 v6, 3, v0
	s_waitcnt lgkmcnt(0)
	s_and_b32 s7, s7, 0xffff
	s_mul_i32 s6, s6, s7
	v_add_u32_e32 v1, s6, v0
	v_lshlrev_b64 v[2:3], 2, v[1:2]
	v_mov_b32_e32 v5, s1
	v_add_co_u32_e32 v4, vcc, s0, v2
	v_addc_co_u32_e32 v5, vcc, v5, v3, vcc
	global_load_dword v4, v[4:5], off
	v_mbcnt_lo_u32_b32 v5, -1, 0
	v_mbcnt_hi_u32_b32 v5, -1, v5
	v_and_b32_e32 v7, 0x7c, v5
	v_add_u32_e32 v9, -1, v5
	v_and_b32_e32 v0, 3, v5
	v_cmp_lt_i32_e32 vcc, v9, v7
	v_lshl_or_b32 v8, v5, 2, 12
	v_cndmask_b32_e32 v5, v9, v5, vcc
	v_cmp_eq_u32_e32 vcc, 0, v0
	v_cmp_lt_u32_e64 s[0:1], 1, v0
	v_lshlrev_b32_e32 v5, 2, v5
	v_mov_b32_e32 v7, s8
	v_mov_b32_e32 v9, s3
	s_waitcnt vmcnt(0)
	v_mov_b32_dpp v10, v4 row_shr:1 row_mask:0xf bank_mask:0xf
	v_add_f32_e32 v10, v4, v10
	v_cndmask_b32_e32 v4, v10, v4, vcc
	s_nop 1
	v_mov_b32_dpp v10, v4 row_shr:2 row_mask:0xf bank_mask:0xf
	v_add_f32_e32 v10, v4, v10
	v_cndmask_b32_e64 v4, v4, v10, s[0:1]
	ds_bpermute_b32 v0, v8, v4
	v_add_f32_e32 v4, s8, v4
	ds_bpermute_b32 v4, v5, v4
	v_add_co_u32_e64 v2, s[0:1], s2, v2
	v_addc_co_u32_e64 v3, s[0:1], v9, v3, s[0:1]
	s_waitcnt lgkmcnt(0)
	v_cndmask_b32_e32 v4, v4, v7, vcc
	v_cmp_eq_u32_e32 vcc, 0, v6
	global_store_dword v[2:3], v4, off
	s_and_saveexec_b64 s[0:1], vcc
	s_cbranch_execz .LBB212_2
; %bb.1:
	s_load_dwordx2 s[0:1], s[4:5], 0x10
	v_and_b32_e32 v1, -4, v1
	s_waitcnt lgkmcnt(0)
	global_store_dword v1, v0, s[0:1]
.LBB212_2:
	s_endpgm
	.section	.rodata,"a",@progbits
	.p2align	6, 0x0
	.amdhsa_kernel _Z33warp_exclusive_scan_reduce_kernelIfLj64ELj4EENSt9enable_ifIXsr10test_utilsE35device_test_enabled_for_warp_size_vIXT1_EEEvE4typeEPT_S4_S4_S3_
		.amdhsa_group_segment_fixed_size 0
		.amdhsa_private_segment_fixed_size 0
		.amdhsa_kernarg_size 288
		.amdhsa_user_sgpr_count 6
		.amdhsa_user_sgpr_private_segment_buffer 1
		.amdhsa_user_sgpr_dispatch_ptr 0
		.amdhsa_user_sgpr_queue_ptr 0
		.amdhsa_user_sgpr_kernarg_segment_ptr 1
		.amdhsa_user_sgpr_dispatch_id 0
		.amdhsa_user_sgpr_flat_scratch_init 0
		.amdhsa_user_sgpr_private_segment_size 0
		.amdhsa_uses_dynamic_stack 0
		.amdhsa_system_sgpr_private_segment_wavefront_offset 0
		.amdhsa_system_sgpr_workgroup_id_x 1
		.amdhsa_system_sgpr_workgroup_id_y 0
		.amdhsa_system_sgpr_workgroup_id_z 0
		.amdhsa_system_sgpr_workgroup_info 0
		.amdhsa_system_vgpr_workitem_id 0
		.amdhsa_next_free_vgpr 11
		.amdhsa_next_free_sgpr 9
		.amdhsa_reserve_vcc 1
		.amdhsa_reserve_flat_scratch 0
		.amdhsa_float_round_mode_32 0
		.amdhsa_float_round_mode_16_64 0
		.amdhsa_float_denorm_mode_32 3
		.amdhsa_float_denorm_mode_16_64 3
		.amdhsa_dx10_clamp 1
		.amdhsa_ieee_mode 1
		.amdhsa_fp16_overflow 0
		.amdhsa_exception_fp_ieee_invalid_op 0
		.amdhsa_exception_fp_denorm_src 0
		.amdhsa_exception_fp_ieee_div_zero 0
		.amdhsa_exception_fp_ieee_overflow 0
		.amdhsa_exception_fp_ieee_underflow 0
		.amdhsa_exception_fp_ieee_inexact 0
		.amdhsa_exception_int_div_zero 0
	.end_amdhsa_kernel
	.section	.text._Z33warp_exclusive_scan_reduce_kernelIfLj64ELj4EENSt9enable_ifIXsr10test_utilsE35device_test_enabled_for_warp_size_vIXT1_EEEvE4typeEPT_S4_S4_S3_,"axG",@progbits,_Z33warp_exclusive_scan_reduce_kernelIfLj64ELj4EENSt9enable_ifIXsr10test_utilsE35device_test_enabled_for_warp_size_vIXT1_EEEvE4typeEPT_S4_S4_S3_,comdat
.Lfunc_end212:
	.size	_Z33warp_exclusive_scan_reduce_kernelIfLj64ELj4EENSt9enable_ifIXsr10test_utilsE35device_test_enabled_for_warp_size_vIXT1_EEEvE4typeEPT_S4_S4_S3_, .Lfunc_end212-_Z33warp_exclusive_scan_reduce_kernelIfLj64ELj4EENSt9enable_ifIXsr10test_utilsE35device_test_enabled_for_warp_size_vIXT1_EEEvE4typeEPT_S4_S4_S3_
                                        ; -- End function
	.set _Z33warp_exclusive_scan_reduce_kernelIfLj64ELj4EENSt9enable_ifIXsr10test_utilsE35device_test_enabled_for_warp_size_vIXT1_EEEvE4typeEPT_S4_S4_S3_.num_vgpr, 11
	.set _Z33warp_exclusive_scan_reduce_kernelIfLj64ELj4EENSt9enable_ifIXsr10test_utilsE35device_test_enabled_for_warp_size_vIXT1_EEEvE4typeEPT_S4_S4_S3_.num_agpr, 0
	.set _Z33warp_exclusive_scan_reduce_kernelIfLj64ELj4EENSt9enable_ifIXsr10test_utilsE35device_test_enabled_for_warp_size_vIXT1_EEEvE4typeEPT_S4_S4_S3_.numbered_sgpr, 9
	.set _Z33warp_exclusive_scan_reduce_kernelIfLj64ELj4EENSt9enable_ifIXsr10test_utilsE35device_test_enabled_for_warp_size_vIXT1_EEEvE4typeEPT_S4_S4_S3_.num_named_barrier, 0
	.set _Z33warp_exclusive_scan_reduce_kernelIfLj64ELj4EENSt9enable_ifIXsr10test_utilsE35device_test_enabled_for_warp_size_vIXT1_EEEvE4typeEPT_S4_S4_S3_.private_seg_size, 0
	.set _Z33warp_exclusive_scan_reduce_kernelIfLj64ELj4EENSt9enable_ifIXsr10test_utilsE35device_test_enabled_for_warp_size_vIXT1_EEEvE4typeEPT_S4_S4_S3_.uses_vcc, 1
	.set _Z33warp_exclusive_scan_reduce_kernelIfLj64ELj4EENSt9enable_ifIXsr10test_utilsE35device_test_enabled_for_warp_size_vIXT1_EEEvE4typeEPT_S4_S4_S3_.uses_flat_scratch, 0
	.set _Z33warp_exclusive_scan_reduce_kernelIfLj64ELj4EENSt9enable_ifIXsr10test_utilsE35device_test_enabled_for_warp_size_vIXT1_EEEvE4typeEPT_S4_S4_S3_.has_dyn_sized_stack, 0
	.set _Z33warp_exclusive_scan_reduce_kernelIfLj64ELj4EENSt9enable_ifIXsr10test_utilsE35device_test_enabled_for_warp_size_vIXT1_EEEvE4typeEPT_S4_S4_S3_.has_recursion, 0
	.set _Z33warp_exclusive_scan_reduce_kernelIfLj64ELj4EENSt9enable_ifIXsr10test_utilsE35device_test_enabled_for_warp_size_vIXT1_EEEvE4typeEPT_S4_S4_S3_.has_indirect_call, 0
	.section	.AMDGPU.csdata,"",@progbits
; Kernel info:
; codeLenInByte = 288
; TotalNumSgprs: 13
; NumVgprs: 11
; ScratchSize: 0
; MemoryBound: 0
; FloatMode: 240
; IeeeMode: 1
; LDSByteSize: 0 bytes/workgroup (compile time only)
; SGPRBlocks: 1
; VGPRBlocks: 2
; NumSGPRsForWavesPerEU: 13
; NumVGPRsForWavesPerEU: 11
; Occupancy: 10
; WaveLimiterHint : 0
; COMPUTE_PGM_RSRC2:SCRATCH_EN: 0
; COMPUTE_PGM_RSRC2:USER_SGPR: 6
; COMPUTE_PGM_RSRC2:TRAP_HANDLER: 0
; COMPUTE_PGM_RSRC2:TGID_X_EN: 1
; COMPUTE_PGM_RSRC2:TGID_Y_EN: 0
; COMPUTE_PGM_RSRC2:TGID_Z_EN: 0
; COMPUTE_PGM_RSRC2:TIDIG_COMP_CNT: 0
	.section	.text._Z33warp_exclusive_scan_reduce_kernelIfLj32ELj2EENSt9enable_ifIXsr10test_utilsE35device_test_enabled_for_warp_size_vIXT1_EEEvE4typeEPT_S4_S4_S3_,"axG",@progbits,_Z33warp_exclusive_scan_reduce_kernelIfLj32ELj2EENSt9enable_ifIXsr10test_utilsE35device_test_enabled_for_warp_size_vIXT1_EEEvE4typeEPT_S4_S4_S3_,comdat
	.protected	_Z33warp_exclusive_scan_reduce_kernelIfLj32ELj2EENSt9enable_ifIXsr10test_utilsE35device_test_enabled_for_warp_size_vIXT1_EEEvE4typeEPT_S4_S4_S3_ ; -- Begin function _Z33warp_exclusive_scan_reduce_kernelIfLj32ELj2EENSt9enable_ifIXsr10test_utilsE35device_test_enabled_for_warp_size_vIXT1_EEEvE4typeEPT_S4_S4_S3_
	.globl	_Z33warp_exclusive_scan_reduce_kernelIfLj32ELj2EENSt9enable_ifIXsr10test_utilsE35device_test_enabled_for_warp_size_vIXT1_EEEvE4typeEPT_S4_S4_S3_
	.p2align	8
	.type	_Z33warp_exclusive_scan_reduce_kernelIfLj32ELj2EENSt9enable_ifIXsr10test_utilsE35device_test_enabled_for_warp_size_vIXT1_EEEvE4typeEPT_S4_S4_S3_,@function
_Z33warp_exclusive_scan_reduce_kernelIfLj32ELj2EENSt9enable_ifIXsr10test_utilsE35device_test_enabled_for_warp_size_vIXT1_EEEvE4typeEPT_S4_S4_S3_: ; @_Z33warp_exclusive_scan_reduce_kernelIfLj32ELj2EENSt9enable_ifIXsr10test_utilsE35device_test_enabled_for_warp_size_vIXT1_EEEvE4typeEPT_S4_S4_S3_
; %bb.0:
	s_load_dword s7, s[4:5], 0x2c
	s_load_dwordx4 s[0:3], s[4:5], 0x0
	s_load_dword s8, s[4:5], 0x18
	v_mov_b32_e32 v2, 0
	v_and_b32_e32 v7, 1, v0
	s_waitcnt lgkmcnt(0)
	s_and_b32 s7, s7, 0xffff
	s_mul_i32 s6, s6, s7
	v_add_u32_e32 v1, s6, v0
	v_lshlrev_b64 v[3:4], 2, v[1:2]
	v_mov_b32_e32 v6, s1
	v_add_co_u32_e32 v5, vcc, s0, v3
	v_addc_co_u32_e32 v6, vcc, v6, v4, vcc
	global_load_dword v5, v[5:6], off
	v_mbcnt_lo_u32_b32 v6, -1, 0
	v_mbcnt_hi_u32_b32 v6, -1, v6
	v_and_b32_e32 v8, 0x7e, v6
	v_add_u32_e32 v10, -1, v6
	v_and_b32_e32 v0, 1, v6
	v_cmp_lt_i32_e32 vcc, v10, v8
	v_lshl_or_b32 v9, v6, 2, 4
	v_cndmask_b32_e32 v6, v10, v6, vcc
	v_cmp_eq_u32_e32 vcc, 0, v0
	v_lshlrev_b32_e32 v6, 2, v6
	v_mov_b32_e32 v8, s8
	v_mov_b32_e32 v10, s3
	v_add_co_u32_e64 v3, s[0:1], s2, v3
	v_addc_co_u32_e64 v4, s[0:1], v10, v4, s[0:1]
	s_waitcnt vmcnt(0)
	v_mov_b32_dpp v11, v5 row_shr:1 row_mask:0xf bank_mask:0xf
	v_add_f32_e32 v11, v5, v11
	v_cndmask_b32_e32 v5, v11, v5, vcc
	ds_bpermute_b32 v0, v9, v5
	v_add_f32_e32 v5, s8, v5
	ds_bpermute_b32 v5, v6, v5
	s_waitcnt lgkmcnt(0)
	v_cndmask_b32_e32 v5, v5, v8, vcc
	v_cmp_eq_u32_e32 vcc, 0, v7
	global_store_dword v[3:4], v5, off
	s_and_saveexec_b64 s[0:1], vcc
	s_cbranch_execz .LBB213_2
; %bb.1:
	s_load_dwordx2 s[0:1], s[4:5], 0x10
	v_lshrrev_b32_e32 v1, 1, v1
	v_lshlrev_b64 v[1:2], 2, v[1:2]
	s_waitcnt lgkmcnt(0)
	v_mov_b32_e32 v3, s1
	v_add_co_u32_e32 v1, vcc, s0, v1
	v_addc_co_u32_e32 v2, vcc, v3, v2, vcc
	global_store_dword v[1:2], v0, off
.LBB213_2:
	s_endpgm
	.section	.rodata,"a",@progbits
	.p2align	6, 0x0
	.amdhsa_kernel _Z33warp_exclusive_scan_reduce_kernelIfLj32ELj2EENSt9enable_ifIXsr10test_utilsE35device_test_enabled_for_warp_size_vIXT1_EEEvE4typeEPT_S4_S4_S3_
		.amdhsa_group_segment_fixed_size 0
		.amdhsa_private_segment_fixed_size 0
		.amdhsa_kernarg_size 288
		.amdhsa_user_sgpr_count 6
		.amdhsa_user_sgpr_private_segment_buffer 1
		.amdhsa_user_sgpr_dispatch_ptr 0
		.amdhsa_user_sgpr_queue_ptr 0
		.amdhsa_user_sgpr_kernarg_segment_ptr 1
		.amdhsa_user_sgpr_dispatch_id 0
		.amdhsa_user_sgpr_flat_scratch_init 0
		.amdhsa_user_sgpr_private_segment_size 0
		.amdhsa_uses_dynamic_stack 0
		.amdhsa_system_sgpr_private_segment_wavefront_offset 0
		.amdhsa_system_sgpr_workgroup_id_x 1
		.amdhsa_system_sgpr_workgroup_id_y 0
		.amdhsa_system_sgpr_workgroup_id_z 0
		.amdhsa_system_sgpr_workgroup_info 0
		.amdhsa_system_vgpr_workitem_id 0
		.amdhsa_next_free_vgpr 12
		.amdhsa_next_free_sgpr 9
		.amdhsa_reserve_vcc 1
		.amdhsa_reserve_flat_scratch 0
		.amdhsa_float_round_mode_32 0
		.amdhsa_float_round_mode_16_64 0
		.amdhsa_float_denorm_mode_32 3
		.amdhsa_float_denorm_mode_16_64 3
		.amdhsa_dx10_clamp 1
		.amdhsa_ieee_mode 1
		.amdhsa_fp16_overflow 0
		.amdhsa_exception_fp_ieee_invalid_op 0
		.amdhsa_exception_fp_denorm_src 0
		.amdhsa_exception_fp_ieee_div_zero 0
		.amdhsa_exception_fp_ieee_overflow 0
		.amdhsa_exception_fp_ieee_underflow 0
		.amdhsa_exception_fp_ieee_inexact 0
		.amdhsa_exception_int_div_zero 0
	.end_amdhsa_kernel
	.section	.text._Z33warp_exclusive_scan_reduce_kernelIfLj32ELj2EENSt9enable_ifIXsr10test_utilsE35device_test_enabled_for_warp_size_vIXT1_EEEvE4typeEPT_S4_S4_S3_,"axG",@progbits,_Z33warp_exclusive_scan_reduce_kernelIfLj32ELj2EENSt9enable_ifIXsr10test_utilsE35device_test_enabled_for_warp_size_vIXT1_EEEvE4typeEPT_S4_S4_S3_,comdat
.Lfunc_end213:
	.size	_Z33warp_exclusive_scan_reduce_kernelIfLj32ELj2EENSt9enable_ifIXsr10test_utilsE35device_test_enabled_for_warp_size_vIXT1_EEEvE4typeEPT_S4_S4_S3_, .Lfunc_end213-_Z33warp_exclusive_scan_reduce_kernelIfLj32ELj2EENSt9enable_ifIXsr10test_utilsE35device_test_enabled_for_warp_size_vIXT1_EEEvE4typeEPT_S4_S4_S3_
                                        ; -- End function
	.set _Z33warp_exclusive_scan_reduce_kernelIfLj32ELj2EENSt9enable_ifIXsr10test_utilsE35device_test_enabled_for_warp_size_vIXT1_EEEvE4typeEPT_S4_S4_S3_.num_vgpr, 12
	.set _Z33warp_exclusive_scan_reduce_kernelIfLj32ELj2EENSt9enable_ifIXsr10test_utilsE35device_test_enabled_for_warp_size_vIXT1_EEEvE4typeEPT_S4_S4_S3_.num_agpr, 0
	.set _Z33warp_exclusive_scan_reduce_kernelIfLj32ELj2EENSt9enable_ifIXsr10test_utilsE35device_test_enabled_for_warp_size_vIXT1_EEEvE4typeEPT_S4_S4_S3_.numbered_sgpr, 9
	.set _Z33warp_exclusive_scan_reduce_kernelIfLj32ELj2EENSt9enable_ifIXsr10test_utilsE35device_test_enabled_for_warp_size_vIXT1_EEEvE4typeEPT_S4_S4_S3_.num_named_barrier, 0
	.set _Z33warp_exclusive_scan_reduce_kernelIfLj32ELj2EENSt9enable_ifIXsr10test_utilsE35device_test_enabled_for_warp_size_vIXT1_EEEvE4typeEPT_S4_S4_S3_.private_seg_size, 0
	.set _Z33warp_exclusive_scan_reduce_kernelIfLj32ELj2EENSt9enable_ifIXsr10test_utilsE35device_test_enabled_for_warp_size_vIXT1_EEEvE4typeEPT_S4_S4_S3_.uses_vcc, 1
	.set _Z33warp_exclusive_scan_reduce_kernelIfLj32ELj2EENSt9enable_ifIXsr10test_utilsE35device_test_enabled_for_warp_size_vIXT1_EEEvE4typeEPT_S4_S4_S3_.uses_flat_scratch, 0
	.set _Z33warp_exclusive_scan_reduce_kernelIfLj32ELj2EENSt9enable_ifIXsr10test_utilsE35device_test_enabled_for_warp_size_vIXT1_EEEvE4typeEPT_S4_S4_S3_.has_dyn_sized_stack, 0
	.set _Z33warp_exclusive_scan_reduce_kernelIfLj32ELj2EENSt9enable_ifIXsr10test_utilsE35device_test_enabled_for_warp_size_vIXT1_EEEvE4typeEPT_S4_S4_S3_.has_recursion, 0
	.set _Z33warp_exclusive_scan_reduce_kernelIfLj32ELj2EENSt9enable_ifIXsr10test_utilsE35device_test_enabled_for_warp_size_vIXT1_EEEvE4typeEPT_S4_S4_S3_.has_indirect_call, 0
	.section	.AMDGPU.csdata,"",@progbits
; Kernel info:
; codeLenInByte = 276
; TotalNumSgprs: 13
; NumVgprs: 12
; ScratchSize: 0
; MemoryBound: 0
; FloatMode: 240
; IeeeMode: 1
; LDSByteSize: 0 bytes/workgroup (compile time only)
; SGPRBlocks: 1
; VGPRBlocks: 2
; NumSGPRsForWavesPerEU: 13
; NumVGPRsForWavesPerEU: 12
; Occupancy: 10
; WaveLimiterHint : 0
; COMPUTE_PGM_RSRC2:SCRATCH_EN: 0
; COMPUTE_PGM_RSRC2:USER_SGPR: 6
; COMPUTE_PGM_RSRC2:TRAP_HANDLER: 0
; COMPUTE_PGM_RSRC2:TGID_X_EN: 1
; COMPUTE_PGM_RSRC2:TGID_Y_EN: 0
; COMPUTE_PGM_RSRC2:TGID_Z_EN: 0
; COMPUTE_PGM_RSRC2:TIDIG_COMP_CNT: 0
	.section	.text._Z33warp_exclusive_scan_reduce_kernelIfLj64ELj2EENSt9enable_ifIXsr10test_utilsE35device_test_enabled_for_warp_size_vIXT1_EEEvE4typeEPT_S4_S4_S3_,"axG",@progbits,_Z33warp_exclusive_scan_reduce_kernelIfLj64ELj2EENSt9enable_ifIXsr10test_utilsE35device_test_enabled_for_warp_size_vIXT1_EEEvE4typeEPT_S4_S4_S3_,comdat
	.protected	_Z33warp_exclusive_scan_reduce_kernelIfLj64ELj2EENSt9enable_ifIXsr10test_utilsE35device_test_enabled_for_warp_size_vIXT1_EEEvE4typeEPT_S4_S4_S3_ ; -- Begin function _Z33warp_exclusive_scan_reduce_kernelIfLj64ELj2EENSt9enable_ifIXsr10test_utilsE35device_test_enabled_for_warp_size_vIXT1_EEEvE4typeEPT_S4_S4_S3_
	.globl	_Z33warp_exclusive_scan_reduce_kernelIfLj64ELj2EENSt9enable_ifIXsr10test_utilsE35device_test_enabled_for_warp_size_vIXT1_EEEvE4typeEPT_S4_S4_S3_
	.p2align	8
	.type	_Z33warp_exclusive_scan_reduce_kernelIfLj64ELj2EENSt9enable_ifIXsr10test_utilsE35device_test_enabled_for_warp_size_vIXT1_EEEvE4typeEPT_S4_S4_S3_,@function
_Z33warp_exclusive_scan_reduce_kernelIfLj64ELj2EENSt9enable_ifIXsr10test_utilsE35device_test_enabled_for_warp_size_vIXT1_EEEvE4typeEPT_S4_S4_S3_: ; @_Z33warp_exclusive_scan_reduce_kernelIfLj64ELj2EENSt9enable_ifIXsr10test_utilsE35device_test_enabled_for_warp_size_vIXT1_EEEvE4typeEPT_S4_S4_S3_
; %bb.0:
	s_load_dword s7, s[4:5], 0x2c
	s_load_dwordx4 s[0:3], s[4:5], 0x0
	s_load_dword s8, s[4:5], 0x18
	v_mov_b32_e32 v2, 0
	v_and_b32_e32 v7, 1, v0
	s_waitcnt lgkmcnt(0)
	s_and_b32 s7, s7, 0xffff
	s_mul_i32 s6, s6, s7
	v_add_u32_e32 v1, s6, v0
	v_lshlrev_b64 v[3:4], 2, v[1:2]
	v_mov_b32_e32 v6, s1
	v_add_co_u32_e32 v5, vcc, s0, v3
	v_addc_co_u32_e32 v6, vcc, v6, v4, vcc
	global_load_dword v5, v[5:6], off
	v_mbcnt_lo_u32_b32 v6, -1, 0
	v_mbcnt_hi_u32_b32 v6, -1, v6
	v_and_b32_e32 v8, 0x7e, v6
	v_add_u32_e32 v10, -1, v6
	v_and_b32_e32 v0, 1, v6
	v_cmp_lt_i32_e32 vcc, v10, v8
	v_lshl_or_b32 v9, v6, 2, 4
	v_cndmask_b32_e32 v6, v10, v6, vcc
	v_cmp_eq_u32_e32 vcc, 0, v0
	v_lshlrev_b32_e32 v6, 2, v6
	v_mov_b32_e32 v8, s8
	v_mov_b32_e32 v10, s3
	v_add_co_u32_e64 v3, s[0:1], s2, v3
	v_addc_co_u32_e64 v4, s[0:1], v10, v4, s[0:1]
	s_waitcnt vmcnt(0)
	v_mov_b32_dpp v11, v5 row_shr:1 row_mask:0xf bank_mask:0xf
	v_add_f32_e32 v11, v5, v11
	v_cndmask_b32_e32 v5, v11, v5, vcc
	ds_bpermute_b32 v0, v9, v5
	v_add_f32_e32 v5, s8, v5
	ds_bpermute_b32 v5, v6, v5
	s_waitcnt lgkmcnt(0)
	v_cndmask_b32_e32 v5, v5, v8, vcc
	v_cmp_eq_u32_e32 vcc, 0, v7
	global_store_dword v[3:4], v5, off
	s_and_saveexec_b64 s[0:1], vcc
	s_cbranch_execz .LBB214_2
; %bb.1:
	s_load_dwordx2 s[0:1], s[4:5], 0x10
	v_lshrrev_b32_e32 v1, 1, v1
	v_lshlrev_b64 v[1:2], 2, v[1:2]
	s_waitcnt lgkmcnt(0)
	v_mov_b32_e32 v3, s1
	v_add_co_u32_e32 v1, vcc, s0, v1
	v_addc_co_u32_e32 v2, vcc, v3, v2, vcc
	global_store_dword v[1:2], v0, off
.LBB214_2:
	s_endpgm
	.section	.rodata,"a",@progbits
	.p2align	6, 0x0
	.amdhsa_kernel _Z33warp_exclusive_scan_reduce_kernelIfLj64ELj2EENSt9enable_ifIXsr10test_utilsE35device_test_enabled_for_warp_size_vIXT1_EEEvE4typeEPT_S4_S4_S3_
		.amdhsa_group_segment_fixed_size 0
		.amdhsa_private_segment_fixed_size 0
		.amdhsa_kernarg_size 288
		.amdhsa_user_sgpr_count 6
		.amdhsa_user_sgpr_private_segment_buffer 1
		.amdhsa_user_sgpr_dispatch_ptr 0
		.amdhsa_user_sgpr_queue_ptr 0
		.amdhsa_user_sgpr_kernarg_segment_ptr 1
		.amdhsa_user_sgpr_dispatch_id 0
		.amdhsa_user_sgpr_flat_scratch_init 0
		.amdhsa_user_sgpr_private_segment_size 0
		.amdhsa_uses_dynamic_stack 0
		.amdhsa_system_sgpr_private_segment_wavefront_offset 0
		.amdhsa_system_sgpr_workgroup_id_x 1
		.amdhsa_system_sgpr_workgroup_id_y 0
		.amdhsa_system_sgpr_workgroup_id_z 0
		.amdhsa_system_sgpr_workgroup_info 0
		.amdhsa_system_vgpr_workitem_id 0
		.amdhsa_next_free_vgpr 12
		.amdhsa_next_free_sgpr 9
		.amdhsa_reserve_vcc 1
		.amdhsa_reserve_flat_scratch 0
		.amdhsa_float_round_mode_32 0
		.amdhsa_float_round_mode_16_64 0
		.amdhsa_float_denorm_mode_32 3
		.amdhsa_float_denorm_mode_16_64 3
		.amdhsa_dx10_clamp 1
		.amdhsa_ieee_mode 1
		.amdhsa_fp16_overflow 0
		.amdhsa_exception_fp_ieee_invalid_op 0
		.amdhsa_exception_fp_denorm_src 0
		.amdhsa_exception_fp_ieee_div_zero 0
		.amdhsa_exception_fp_ieee_overflow 0
		.amdhsa_exception_fp_ieee_underflow 0
		.amdhsa_exception_fp_ieee_inexact 0
		.amdhsa_exception_int_div_zero 0
	.end_amdhsa_kernel
	.section	.text._Z33warp_exclusive_scan_reduce_kernelIfLj64ELj2EENSt9enable_ifIXsr10test_utilsE35device_test_enabled_for_warp_size_vIXT1_EEEvE4typeEPT_S4_S4_S3_,"axG",@progbits,_Z33warp_exclusive_scan_reduce_kernelIfLj64ELj2EENSt9enable_ifIXsr10test_utilsE35device_test_enabled_for_warp_size_vIXT1_EEEvE4typeEPT_S4_S4_S3_,comdat
.Lfunc_end214:
	.size	_Z33warp_exclusive_scan_reduce_kernelIfLj64ELj2EENSt9enable_ifIXsr10test_utilsE35device_test_enabled_for_warp_size_vIXT1_EEEvE4typeEPT_S4_S4_S3_, .Lfunc_end214-_Z33warp_exclusive_scan_reduce_kernelIfLj64ELj2EENSt9enable_ifIXsr10test_utilsE35device_test_enabled_for_warp_size_vIXT1_EEEvE4typeEPT_S4_S4_S3_
                                        ; -- End function
	.set _Z33warp_exclusive_scan_reduce_kernelIfLj64ELj2EENSt9enable_ifIXsr10test_utilsE35device_test_enabled_for_warp_size_vIXT1_EEEvE4typeEPT_S4_S4_S3_.num_vgpr, 12
	.set _Z33warp_exclusive_scan_reduce_kernelIfLj64ELj2EENSt9enable_ifIXsr10test_utilsE35device_test_enabled_for_warp_size_vIXT1_EEEvE4typeEPT_S4_S4_S3_.num_agpr, 0
	.set _Z33warp_exclusive_scan_reduce_kernelIfLj64ELj2EENSt9enable_ifIXsr10test_utilsE35device_test_enabled_for_warp_size_vIXT1_EEEvE4typeEPT_S4_S4_S3_.numbered_sgpr, 9
	.set _Z33warp_exclusive_scan_reduce_kernelIfLj64ELj2EENSt9enable_ifIXsr10test_utilsE35device_test_enabled_for_warp_size_vIXT1_EEEvE4typeEPT_S4_S4_S3_.num_named_barrier, 0
	.set _Z33warp_exclusive_scan_reduce_kernelIfLj64ELj2EENSt9enable_ifIXsr10test_utilsE35device_test_enabled_for_warp_size_vIXT1_EEEvE4typeEPT_S4_S4_S3_.private_seg_size, 0
	.set _Z33warp_exclusive_scan_reduce_kernelIfLj64ELj2EENSt9enable_ifIXsr10test_utilsE35device_test_enabled_for_warp_size_vIXT1_EEEvE4typeEPT_S4_S4_S3_.uses_vcc, 1
	.set _Z33warp_exclusive_scan_reduce_kernelIfLj64ELj2EENSt9enable_ifIXsr10test_utilsE35device_test_enabled_for_warp_size_vIXT1_EEEvE4typeEPT_S4_S4_S3_.uses_flat_scratch, 0
	.set _Z33warp_exclusive_scan_reduce_kernelIfLj64ELj2EENSt9enable_ifIXsr10test_utilsE35device_test_enabled_for_warp_size_vIXT1_EEEvE4typeEPT_S4_S4_S3_.has_dyn_sized_stack, 0
	.set _Z33warp_exclusive_scan_reduce_kernelIfLj64ELj2EENSt9enable_ifIXsr10test_utilsE35device_test_enabled_for_warp_size_vIXT1_EEEvE4typeEPT_S4_S4_S3_.has_recursion, 0
	.set _Z33warp_exclusive_scan_reduce_kernelIfLj64ELj2EENSt9enable_ifIXsr10test_utilsE35device_test_enabled_for_warp_size_vIXT1_EEEvE4typeEPT_S4_S4_S3_.has_indirect_call, 0
	.section	.AMDGPU.csdata,"",@progbits
; Kernel info:
; codeLenInByte = 276
; TotalNumSgprs: 13
; NumVgprs: 12
; ScratchSize: 0
; MemoryBound: 0
; FloatMode: 240
; IeeeMode: 1
; LDSByteSize: 0 bytes/workgroup (compile time only)
; SGPRBlocks: 1
; VGPRBlocks: 2
; NumSGPRsForWavesPerEU: 13
; NumVGPRsForWavesPerEU: 12
; Occupancy: 10
; WaveLimiterHint : 0
; COMPUTE_PGM_RSRC2:SCRATCH_EN: 0
; COMPUTE_PGM_RSRC2:USER_SGPR: 6
; COMPUTE_PGM_RSRC2:TRAP_HANDLER: 0
; COMPUTE_PGM_RSRC2:TGID_X_EN: 1
; COMPUTE_PGM_RSRC2:TGID_Y_EN: 0
; COMPUTE_PGM_RSRC2:TGID_Z_EN: 0
; COMPUTE_PGM_RSRC2:TIDIG_COMP_CNT: 0
	.section	.text._Z33warp_exclusive_scan_reduce_kernelIiLj256ELj64EENSt9enable_ifIXsr10test_utilsE35device_test_enabled_for_warp_size_vIXT1_EEEvE4typeEPT_S4_S4_S3_,"axG",@progbits,_Z33warp_exclusive_scan_reduce_kernelIiLj256ELj64EENSt9enable_ifIXsr10test_utilsE35device_test_enabled_for_warp_size_vIXT1_EEEvE4typeEPT_S4_S4_S3_,comdat
	.protected	_Z33warp_exclusive_scan_reduce_kernelIiLj256ELj64EENSt9enable_ifIXsr10test_utilsE35device_test_enabled_for_warp_size_vIXT1_EEEvE4typeEPT_S4_S4_S3_ ; -- Begin function _Z33warp_exclusive_scan_reduce_kernelIiLj256ELj64EENSt9enable_ifIXsr10test_utilsE35device_test_enabled_for_warp_size_vIXT1_EEEvE4typeEPT_S4_S4_S3_
	.globl	_Z33warp_exclusive_scan_reduce_kernelIiLj256ELj64EENSt9enable_ifIXsr10test_utilsE35device_test_enabled_for_warp_size_vIXT1_EEEvE4typeEPT_S4_S4_S3_
	.p2align	8
	.type	_Z33warp_exclusive_scan_reduce_kernelIiLj256ELj64EENSt9enable_ifIXsr10test_utilsE35device_test_enabled_for_warp_size_vIXT1_EEEvE4typeEPT_S4_S4_S3_,@function
_Z33warp_exclusive_scan_reduce_kernelIiLj256ELj64EENSt9enable_ifIXsr10test_utilsE35device_test_enabled_for_warp_size_vIXT1_EEEvE4typeEPT_S4_S4_S3_: ; @_Z33warp_exclusive_scan_reduce_kernelIiLj256ELj64EENSt9enable_ifIXsr10test_utilsE35device_test_enabled_for_warp_size_vIXT1_EEEvE4typeEPT_S4_S4_S3_
; %bb.0:
	s_load_dword s7, s[4:5], 0x2c
	s_load_dwordx4 s[0:3], s[4:5], 0x0
	s_load_dword s8, s[4:5], 0x18
	v_mov_b32_e32 v2, 0
	v_and_b32_e32 v7, 63, v0
	s_waitcnt lgkmcnt(0)
	s_and_b32 s7, s7, 0xffff
	s_mul_i32 s6, s6, s7
	v_add_u32_e32 v1, s6, v0
	v_lshlrev_b64 v[2:3], 2, v[1:2]
	v_mov_b32_e32 v5, s1
	v_add_co_u32_e32 v4, vcc, s0, v2
	v_addc_co_u32_e32 v5, vcc, v5, v3, vcc
	global_load_dword v4, v[4:5], off
	v_mbcnt_lo_u32_b32 v5, -1, 0
	v_mbcnt_hi_u32_b32 v5, -1, v5
	v_and_b32_e32 v9, 64, v5
	v_subrev_co_u32_e32 v11, vcc, 1, v5
	v_and_b32_e32 v0, 15, v5
	v_cmp_lt_i32_e64 s[0:1], v11, v9
	v_cndmask_b32_e64 v9, v11, v5, s[0:1]
	v_cmp_ne_u32_e64 s[0:1], 0, v0
	v_bfe_i32 v8, v5, 4, 1
	v_bfrev_b32_e32 v6, 0.5
	v_lshl_or_b32 v6, v5, 2, v6
	v_lshlrev_b32_e32 v9, 2, v9
	v_mov_b32_e32 v10, s8
	v_mov_b32_e32 v12, s3
	s_waitcnt vmcnt(0)
	v_mov_b32_dpp v11, v4 row_shr:1 row_mask:0xf bank_mask:0xf
	v_cndmask_b32_e64 v11, 0, v11, s[0:1]
	v_add_u32_e32 v4, v11, v4
	v_cmp_lt_u32_e64 s[0:1], 1, v0
	s_nop 0
	v_mov_b32_dpp v11, v4 row_shr:2 row_mask:0xf bank_mask:0xf
	v_cndmask_b32_e64 v11, 0, v11, s[0:1]
	v_add_u32_e32 v4, v4, v11
	v_cmp_lt_u32_e64 s[0:1], 3, v0
	s_nop 0
	v_mov_b32_dpp v11, v4 row_shr:4 row_mask:0xf bank_mask:0xf
	v_cndmask_b32_e64 v11, 0, v11, s[0:1]
	v_add_u32_e32 v4, v4, v11
	v_cmp_lt_u32_e64 s[0:1], 7, v0
	s_nop 0
	v_mov_b32_dpp v11, v4 row_shr:8 row_mask:0xf bank_mask:0xf
	v_cndmask_b32_e64 v0, 0, v11, s[0:1]
	v_add_u32_e32 v0, v4, v0
	v_cmp_lt_u32_e64 s[0:1], 31, v5
	s_nop 0
	v_mov_b32_dpp v4, v0 row_bcast:15 row_mask:0xf bank_mask:0xf
	v_and_b32_e32 v4, v8, v4
	v_add_u32_e32 v0, v0, v4
	s_nop 1
	v_mov_b32_dpp v4, v0 row_bcast:31 row_mask:0xf bank_mask:0xf
	v_cndmask_b32_e64 v4, 0, v4, s[0:1]
	v_add_u32_e32 v4, v0, v4
	ds_bpermute_b32 v0, v6, v4
	v_add_u32_e32 v4, s8, v4
	ds_bpermute_b32 v4, v9, v4
	v_add_co_u32_e64 v2, s[0:1], s2, v2
	v_addc_co_u32_e64 v3, s[0:1], v12, v3, s[0:1]
	s_waitcnt lgkmcnt(0)
	v_cndmask_b32_e32 v4, v4, v10, vcc
	v_cmp_eq_u32_e32 vcc, 0, v7
	global_store_dword v[2:3], v4, off
	s_and_saveexec_b64 s[0:1], vcc
	s_cbranch_execz .LBB215_2
; %bb.1:
	s_load_dwordx2 s[0:1], s[4:5], 0x10
	v_lshrrev_b32_e32 v1, 4, v1
	v_and_b32_e32 v1, 0xffffffc, v1
	s_waitcnt lgkmcnt(0)
	global_store_dword v1, v0, s[0:1]
.LBB215_2:
	s_endpgm
	.section	.rodata,"a",@progbits
	.p2align	6, 0x0
	.amdhsa_kernel _Z33warp_exclusive_scan_reduce_kernelIiLj256ELj64EENSt9enable_ifIXsr10test_utilsE35device_test_enabled_for_warp_size_vIXT1_EEEvE4typeEPT_S4_S4_S3_
		.amdhsa_group_segment_fixed_size 0
		.amdhsa_private_segment_fixed_size 0
		.amdhsa_kernarg_size 288
		.amdhsa_user_sgpr_count 6
		.amdhsa_user_sgpr_private_segment_buffer 1
		.amdhsa_user_sgpr_dispatch_ptr 0
		.amdhsa_user_sgpr_queue_ptr 0
		.amdhsa_user_sgpr_kernarg_segment_ptr 1
		.amdhsa_user_sgpr_dispatch_id 0
		.amdhsa_user_sgpr_flat_scratch_init 0
		.amdhsa_user_sgpr_private_segment_size 0
		.amdhsa_uses_dynamic_stack 0
		.amdhsa_system_sgpr_private_segment_wavefront_offset 0
		.amdhsa_system_sgpr_workgroup_id_x 1
		.amdhsa_system_sgpr_workgroup_id_y 0
		.amdhsa_system_sgpr_workgroup_id_z 0
		.amdhsa_system_sgpr_workgroup_info 0
		.amdhsa_system_vgpr_workitem_id 0
		.amdhsa_next_free_vgpr 13
		.amdhsa_next_free_sgpr 9
		.amdhsa_reserve_vcc 1
		.amdhsa_reserve_flat_scratch 0
		.amdhsa_float_round_mode_32 0
		.amdhsa_float_round_mode_16_64 0
		.amdhsa_float_denorm_mode_32 3
		.amdhsa_float_denorm_mode_16_64 3
		.amdhsa_dx10_clamp 1
		.amdhsa_ieee_mode 1
		.amdhsa_fp16_overflow 0
		.amdhsa_exception_fp_ieee_invalid_op 0
		.amdhsa_exception_fp_denorm_src 0
		.amdhsa_exception_fp_ieee_div_zero 0
		.amdhsa_exception_fp_ieee_overflow 0
		.amdhsa_exception_fp_ieee_underflow 0
		.amdhsa_exception_fp_ieee_inexact 0
		.amdhsa_exception_int_div_zero 0
	.end_amdhsa_kernel
	.section	.text._Z33warp_exclusive_scan_reduce_kernelIiLj256ELj64EENSt9enable_ifIXsr10test_utilsE35device_test_enabled_for_warp_size_vIXT1_EEEvE4typeEPT_S4_S4_S3_,"axG",@progbits,_Z33warp_exclusive_scan_reduce_kernelIiLj256ELj64EENSt9enable_ifIXsr10test_utilsE35device_test_enabled_for_warp_size_vIXT1_EEEvE4typeEPT_S4_S4_S3_,comdat
.Lfunc_end215:
	.size	_Z33warp_exclusive_scan_reduce_kernelIiLj256ELj64EENSt9enable_ifIXsr10test_utilsE35device_test_enabled_for_warp_size_vIXT1_EEEvE4typeEPT_S4_S4_S3_, .Lfunc_end215-_Z33warp_exclusive_scan_reduce_kernelIiLj256ELj64EENSt9enable_ifIXsr10test_utilsE35device_test_enabled_for_warp_size_vIXT1_EEEvE4typeEPT_S4_S4_S3_
                                        ; -- End function
	.set _Z33warp_exclusive_scan_reduce_kernelIiLj256ELj64EENSt9enable_ifIXsr10test_utilsE35device_test_enabled_for_warp_size_vIXT1_EEEvE4typeEPT_S4_S4_S3_.num_vgpr, 13
	.set _Z33warp_exclusive_scan_reduce_kernelIiLj256ELj64EENSt9enable_ifIXsr10test_utilsE35device_test_enabled_for_warp_size_vIXT1_EEEvE4typeEPT_S4_S4_S3_.num_agpr, 0
	.set _Z33warp_exclusive_scan_reduce_kernelIiLj256ELj64EENSt9enable_ifIXsr10test_utilsE35device_test_enabled_for_warp_size_vIXT1_EEEvE4typeEPT_S4_S4_S3_.numbered_sgpr, 9
	.set _Z33warp_exclusive_scan_reduce_kernelIiLj256ELj64EENSt9enable_ifIXsr10test_utilsE35device_test_enabled_for_warp_size_vIXT1_EEEvE4typeEPT_S4_S4_S3_.num_named_barrier, 0
	.set _Z33warp_exclusive_scan_reduce_kernelIiLj256ELj64EENSt9enable_ifIXsr10test_utilsE35device_test_enabled_for_warp_size_vIXT1_EEEvE4typeEPT_S4_S4_S3_.private_seg_size, 0
	.set _Z33warp_exclusive_scan_reduce_kernelIiLj256ELj64EENSt9enable_ifIXsr10test_utilsE35device_test_enabled_for_warp_size_vIXT1_EEEvE4typeEPT_S4_S4_S3_.uses_vcc, 1
	.set _Z33warp_exclusive_scan_reduce_kernelIiLj256ELj64EENSt9enable_ifIXsr10test_utilsE35device_test_enabled_for_warp_size_vIXT1_EEEvE4typeEPT_S4_S4_S3_.uses_flat_scratch, 0
	.set _Z33warp_exclusive_scan_reduce_kernelIiLj256ELj64EENSt9enable_ifIXsr10test_utilsE35device_test_enabled_for_warp_size_vIXT1_EEEvE4typeEPT_S4_S4_S3_.has_dyn_sized_stack, 0
	.set _Z33warp_exclusive_scan_reduce_kernelIiLj256ELj64EENSt9enable_ifIXsr10test_utilsE35device_test_enabled_for_warp_size_vIXT1_EEEvE4typeEPT_S4_S4_S3_.has_recursion, 0
	.set _Z33warp_exclusive_scan_reduce_kernelIiLj256ELj64EENSt9enable_ifIXsr10test_utilsE35device_test_enabled_for_warp_size_vIXT1_EEEvE4typeEPT_S4_S4_S3_.has_indirect_call, 0
	.section	.AMDGPU.csdata,"",@progbits
; Kernel info:
; codeLenInByte = 436
; TotalNumSgprs: 13
; NumVgprs: 13
; ScratchSize: 0
; MemoryBound: 0
; FloatMode: 240
; IeeeMode: 1
; LDSByteSize: 0 bytes/workgroup (compile time only)
; SGPRBlocks: 1
; VGPRBlocks: 3
; NumSGPRsForWavesPerEU: 13
; NumVGPRsForWavesPerEU: 13
; Occupancy: 10
; WaveLimiterHint : 0
; COMPUTE_PGM_RSRC2:SCRATCH_EN: 0
; COMPUTE_PGM_RSRC2:USER_SGPR: 6
; COMPUTE_PGM_RSRC2:TRAP_HANDLER: 0
; COMPUTE_PGM_RSRC2:TGID_X_EN: 1
; COMPUTE_PGM_RSRC2:TGID_Y_EN: 0
; COMPUTE_PGM_RSRC2:TGID_Z_EN: 0
; COMPUTE_PGM_RSRC2:TIDIG_COMP_CNT: 0
	.section	.text._Z33warp_exclusive_scan_reduce_kernelIiLj128ELj32EENSt9enable_ifIXsr10test_utilsE35device_test_enabled_for_warp_size_vIXT1_EEEvE4typeEPT_S4_S4_S3_,"axG",@progbits,_Z33warp_exclusive_scan_reduce_kernelIiLj128ELj32EENSt9enable_ifIXsr10test_utilsE35device_test_enabled_for_warp_size_vIXT1_EEEvE4typeEPT_S4_S4_S3_,comdat
	.protected	_Z33warp_exclusive_scan_reduce_kernelIiLj128ELj32EENSt9enable_ifIXsr10test_utilsE35device_test_enabled_for_warp_size_vIXT1_EEEvE4typeEPT_S4_S4_S3_ ; -- Begin function _Z33warp_exclusive_scan_reduce_kernelIiLj128ELj32EENSt9enable_ifIXsr10test_utilsE35device_test_enabled_for_warp_size_vIXT1_EEEvE4typeEPT_S4_S4_S3_
	.globl	_Z33warp_exclusive_scan_reduce_kernelIiLj128ELj32EENSt9enable_ifIXsr10test_utilsE35device_test_enabled_for_warp_size_vIXT1_EEEvE4typeEPT_S4_S4_S3_
	.p2align	8
	.type	_Z33warp_exclusive_scan_reduce_kernelIiLj128ELj32EENSt9enable_ifIXsr10test_utilsE35device_test_enabled_for_warp_size_vIXT1_EEEvE4typeEPT_S4_S4_S3_,@function
_Z33warp_exclusive_scan_reduce_kernelIiLj128ELj32EENSt9enable_ifIXsr10test_utilsE35device_test_enabled_for_warp_size_vIXT1_EEEvE4typeEPT_S4_S4_S3_: ; @_Z33warp_exclusive_scan_reduce_kernelIiLj128ELj32EENSt9enable_ifIXsr10test_utilsE35device_test_enabled_for_warp_size_vIXT1_EEEvE4typeEPT_S4_S4_S3_
; %bb.0:
	s_load_dword s7, s[4:5], 0x2c
	s_load_dwordx4 s[0:3], s[4:5], 0x0
	s_load_dword s8, s[4:5], 0x18
	v_mov_b32_e32 v2, 0
	v_mov_b32_e32 v6, 0x7c
	s_waitcnt lgkmcnt(0)
	s_and_b32 s7, s7, 0xffff
	s_mul_i32 s6, s6, s7
	v_add_u32_e32 v1, s6, v0
	v_lshlrev_b64 v[2:3], 2, v[1:2]
	v_mov_b32_e32 v5, s1
	v_add_co_u32_e32 v4, vcc, s0, v2
	v_addc_co_u32_e32 v5, vcc, v5, v3, vcc
	global_load_dword v4, v[4:5], off
	v_mbcnt_lo_u32_b32 v5, -1, 0
	v_mbcnt_hi_u32_b32 v5, -1, v5
	v_and_b32_e32 v9, 0x60, v5
	v_add_u32_e32 v10, -1, v5
	v_and_b32_e32 v7, 31, v0
	v_and_b32_e32 v0, 15, v5
	v_cmp_lt_i32_e32 vcc, v10, v9
	v_bfe_i32 v8, v5, 4, 1
	v_lshl_or_b32 v6, v5, 2, v6
	v_and_b32_e32 v11, 31, v5
	v_cndmask_b32_e32 v5, v10, v5, vcc
	v_cmp_ne_u32_e32 vcc, 0, v0
	v_lshlrev_b32_e32 v5, 2, v5
	v_mov_b32_e32 v10, s3
	v_mov_b32_e32 v9, s8
	s_waitcnt vmcnt(0)
	v_mov_b32_dpp v12, v4 row_shr:1 row_mask:0xf bank_mask:0xf
	v_cndmask_b32_e32 v12, 0, v12, vcc
	v_add_u32_e32 v4, v12, v4
	v_cmp_lt_u32_e32 vcc, 1, v0
	s_nop 0
	v_mov_b32_dpp v12, v4 row_shr:2 row_mask:0xf bank_mask:0xf
	v_cndmask_b32_e32 v12, 0, v12, vcc
	v_add_u32_e32 v4, v4, v12
	v_cmp_lt_u32_e32 vcc, 3, v0
	s_nop 0
	;; [unrolled: 5-line block ×3, first 2 shown]
	v_mov_b32_dpp v12, v4 row_shr:8 row_mask:0xf bank_mask:0xf
	v_cndmask_b32_e32 v0, 0, v12, vcc
	v_add_u32_e32 v0, v4, v0
	v_add_co_u32_e32 v2, vcc, s2, v2
	s_nop 0
	v_mov_b32_dpp v4, v0 row_bcast:15 row_mask:0xf bank_mask:0xf
	v_and_b32_e32 v4, v8, v4
	v_add_u32_e32 v0, v0, v4
	v_add_u32_e32 v4, s8, v0
	ds_bpermute_b32 v4, v5, v4
	ds_bpermute_b32 v0, v6, v0
	v_addc_co_u32_e32 v3, vcc, v10, v3, vcc
	v_cmp_eq_u32_e32 vcc, 0, v11
	s_waitcnt lgkmcnt(1)
	v_cndmask_b32_e32 v4, v4, v9, vcc
	v_cmp_eq_u32_e32 vcc, 0, v7
	global_store_dword v[2:3], v4, off
	s_and_saveexec_b64 s[0:1], vcc
	s_cbranch_execz .LBB216_2
; %bb.1:
	s_load_dwordx2 s[0:1], s[4:5], 0x10
	v_lshrrev_b32_e32 v1, 3, v1
	v_and_b32_e32 v1, 0x1ffffffc, v1
	s_waitcnt lgkmcnt(0)
	global_store_dword v1, v0, s[0:1]
.LBB216_2:
	s_endpgm
	.section	.rodata,"a",@progbits
	.p2align	6, 0x0
	.amdhsa_kernel _Z33warp_exclusive_scan_reduce_kernelIiLj128ELj32EENSt9enable_ifIXsr10test_utilsE35device_test_enabled_for_warp_size_vIXT1_EEEvE4typeEPT_S4_S4_S3_
		.amdhsa_group_segment_fixed_size 0
		.amdhsa_private_segment_fixed_size 0
		.amdhsa_kernarg_size 288
		.amdhsa_user_sgpr_count 6
		.amdhsa_user_sgpr_private_segment_buffer 1
		.amdhsa_user_sgpr_dispatch_ptr 0
		.amdhsa_user_sgpr_queue_ptr 0
		.amdhsa_user_sgpr_kernarg_segment_ptr 1
		.amdhsa_user_sgpr_dispatch_id 0
		.amdhsa_user_sgpr_flat_scratch_init 0
		.amdhsa_user_sgpr_private_segment_size 0
		.amdhsa_uses_dynamic_stack 0
		.amdhsa_system_sgpr_private_segment_wavefront_offset 0
		.amdhsa_system_sgpr_workgroup_id_x 1
		.amdhsa_system_sgpr_workgroup_id_y 0
		.amdhsa_system_sgpr_workgroup_id_z 0
		.amdhsa_system_sgpr_workgroup_info 0
		.amdhsa_system_vgpr_workitem_id 0
		.amdhsa_next_free_vgpr 13
		.amdhsa_next_free_sgpr 9
		.amdhsa_reserve_vcc 1
		.amdhsa_reserve_flat_scratch 0
		.amdhsa_float_round_mode_32 0
		.amdhsa_float_round_mode_16_64 0
		.amdhsa_float_denorm_mode_32 3
		.amdhsa_float_denorm_mode_16_64 3
		.amdhsa_dx10_clamp 1
		.amdhsa_ieee_mode 1
		.amdhsa_fp16_overflow 0
		.amdhsa_exception_fp_ieee_invalid_op 0
		.amdhsa_exception_fp_denorm_src 0
		.amdhsa_exception_fp_ieee_div_zero 0
		.amdhsa_exception_fp_ieee_overflow 0
		.amdhsa_exception_fp_ieee_underflow 0
		.amdhsa_exception_fp_ieee_inexact 0
		.amdhsa_exception_int_div_zero 0
	.end_amdhsa_kernel
	.section	.text._Z33warp_exclusive_scan_reduce_kernelIiLj128ELj32EENSt9enable_ifIXsr10test_utilsE35device_test_enabled_for_warp_size_vIXT1_EEEvE4typeEPT_S4_S4_S3_,"axG",@progbits,_Z33warp_exclusive_scan_reduce_kernelIiLj128ELj32EENSt9enable_ifIXsr10test_utilsE35device_test_enabled_for_warp_size_vIXT1_EEEvE4typeEPT_S4_S4_S3_,comdat
.Lfunc_end216:
	.size	_Z33warp_exclusive_scan_reduce_kernelIiLj128ELj32EENSt9enable_ifIXsr10test_utilsE35device_test_enabled_for_warp_size_vIXT1_EEEvE4typeEPT_S4_S4_S3_, .Lfunc_end216-_Z33warp_exclusive_scan_reduce_kernelIiLj128ELj32EENSt9enable_ifIXsr10test_utilsE35device_test_enabled_for_warp_size_vIXT1_EEEvE4typeEPT_S4_S4_S3_
                                        ; -- End function
	.set _Z33warp_exclusive_scan_reduce_kernelIiLj128ELj32EENSt9enable_ifIXsr10test_utilsE35device_test_enabled_for_warp_size_vIXT1_EEEvE4typeEPT_S4_S4_S3_.num_vgpr, 13
	.set _Z33warp_exclusive_scan_reduce_kernelIiLj128ELj32EENSt9enable_ifIXsr10test_utilsE35device_test_enabled_for_warp_size_vIXT1_EEEvE4typeEPT_S4_S4_S3_.num_agpr, 0
	.set _Z33warp_exclusive_scan_reduce_kernelIiLj128ELj32EENSt9enable_ifIXsr10test_utilsE35device_test_enabled_for_warp_size_vIXT1_EEEvE4typeEPT_S4_S4_S3_.numbered_sgpr, 9
	.set _Z33warp_exclusive_scan_reduce_kernelIiLj128ELj32EENSt9enable_ifIXsr10test_utilsE35device_test_enabled_for_warp_size_vIXT1_EEEvE4typeEPT_S4_S4_S3_.num_named_barrier, 0
	.set _Z33warp_exclusive_scan_reduce_kernelIiLj128ELj32EENSt9enable_ifIXsr10test_utilsE35device_test_enabled_for_warp_size_vIXT1_EEEvE4typeEPT_S4_S4_S3_.private_seg_size, 0
	.set _Z33warp_exclusive_scan_reduce_kernelIiLj128ELj32EENSt9enable_ifIXsr10test_utilsE35device_test_enabled_for_warp_size_vIXT1_EEEvE4typeEPT_S4_S4_S3_.uses_vcc, 1
	.set _Z33warp_exclusive_scan_reduce_kernelIiLj128ELj32EENSt9enable_ifIXsr10test_utilsE35device_test_enabled_for_warp_size_vIXT1_EEEvE4typeEPT_S4_S4_S3_.uses_flat_scratch, 0
	.set _Z33warp_exclusive_scan_reduce_kernelIiLj128ELj32EENSt9enable_ifIXsr10test_utilsE35device_test_enabled_for_warp_size_vIXT1_EEEvE4typeEPT_S4_S4_S3_.has_dyn_sized_stack, 0
	.set _Z33warp_exclusive_scan_reduce_kernelIiLj128ELj32EENSt9enable_ifIXsr10test_utilsE35device_test_enabled_for_warp_size_vIXT1_EEEvE4typeEPT_S4_S4_S3_.has_recursion, 0
	.set _Z33warp_exclusive_scan_reduce_kernelIiLj128ELj32EENSt9enable_ifIXsr10test_utilsE35device_test_enabled_for_warp_size_vIXT1_EEEvE4typeEPT_S4_S4_S3_.has_indirect_call, 0
	.section	.AMDGPU.csdata,"",@progbits
; Kernel info:
; codeLenInByte = 372
; TotalNumSgprs: 13
; NumVgprs: 13
; ScratchSize: 0
; MemoryBound: 0
; FloatMode: 240
; IeeeMode: 1
; LDSByteSize: 0 bytes/workgroup (compile time only)
; SGPRBlocks: 1
; VGPRBlocks: 3
; NumSGPRsForWavesPerEU: 13
; NumVGPRsForWavesPerEU: 13
; Occupancy: 10
; WaveLimiterHint : 0
; COMPUTE_PGM_RSRC2:SCRATCH_EN: 0
; COMPUTE_PGM_RSRC2:USER_SGPR: 6
; COMPUTE_PGM_RSRC2:TRAP_HANDLER: 0
; COMPUTE_PGM_RSRC2:TGID_X_EN: 1
; COMPUTE_PGM_RSRC2:TGID_Y_EN: 0
; COMPUTE_PGM_RSRC2:TGID_Z_EN: 0
; COMPUTE_PGM_RSRC2:TIDIG_COMP_CNT: 0
	.section	.text._Z33warp_exclusive_scan_reduce_kernelIiLj64ELj16EENSt9enable_ifIXsr10test_utilsE35device_test_enabled_for_warp_size_vIXT1_EEEvE4typeEPT_S4_S4_S3_,"axG",@progbits,_Z33warp_exclusive_scan_reduce_kernelIiLj64ELj16EENSt9enable_ifIXsr10test_utilsE35device_test_enabled_for_warp_size_vIXT1_EEEvE4typeEPT_S4_S4_S3_,comdat
	.protected	_Z33warp_exclusive_scan_reduce_kernelIiLj64ELj16EENSt9enable_ifIXsr10test_utilsE35device_test_enabled_for_warp_size_vIXT1_EEEvE4typeEPT_S4_S4_S3_ ; -- Begin function _Z33warp_exclusive_scan_reduce_kernelIiLj64ELj16EENSt9enable_ifIXsr10test_utilsE35device_test_enabled_for_warp_size_vIXT1_EEEvE4typeEPT_S4_S4_S3_
	.globl	_Z33warp_exclusive_scan_reduce_kernelIiLj64ELj16EENSt9enable_ifIXsr10test_utilsE35device_test_enabled_for_warp_size_vIXT1_EEEvE4typeEPT_S4_S4_S3_
	.p2align	8
	.type	_Z33warp_exclusive_scan_reduce_kernelIiLj64ELj16EENSt9enable_ifIXsr10test_utilsE35device_test_enabled_for_warp_size_vIXT1_EEEvE4typeEPT_S4_S4_S3_,@function
_Z33warp_exclusive_scan_reduce_kernelIiLj64ELj16EENSt9enable_ifIXsr10test_utilsE35device_test_enabled_for_warp_size_vIXT1_EEEvE4typeEPT_S4_S4_S3_: ; @_Z33warp_exclusive_scan_reduce_kernelIiLj64ELj16EENSt9enable_ifIXsr10test_utilsE35device_test_enabled_for_warp_size_vIXT1_EEEvE4typeEPT_S4_S4_S3_
; %bb.0:
	s_load_dword s7, s[4:5], 0x2c
	s_load_dwordx4 s[0:3], s[4:5], 0x0
	s_load_dword s8, s[4:5], 0x18
	v_mov_b32_e32 v2, 0
	v_and_b32_e32 v6, 15, v0
	s_waitcnt lgkmcnt(0)
	s_and_b32 s7, s7, 0xffff
	s_mul_i32 s6, s6, s7
	v_add_u32_e32 v1, s6, v0
	v_lshlrev_b64 v[2:3], 2, v[1:2]
	v_mov_b32_e32 v5, s1
	v_add_co_u32_e32 v4, vcc, s0, v2
	v_addc_co_u32_e32 v5, vcc, v5, v3, vcc
	global_load_dword v4, v[4:5], off
	v_mbcnt_lo_u32_b32 v5, -1, 0
	v_mbcnt_hi_u32_b32 v5, -1, v5
	v_and_b32_e32 v7, 0x70, v5
	v_add_u32_e32 v9, -1, v5
	v_and_b32_e32 v0, 15, v5
	v_cmp_lt_i32_e32 vcc, v9, v7
	v_lshl_or_b32 v8, v5, 2, 60
	v_cndmask_b32_e32 v5, v9, v5, vcc
	v_cmp_eq_u32_e32 vcc, 0, v0
	v_cmp_lt_u32_e64 s[0:1], 1, v0
	v_lshlrev_b32_e32 v5, 2, v5
	v_mov_b32_e32 v7, s8
	v_mov_b32_e32 v9, s3
	s_waitcnt vmcnt(0)
	v_mov_b32_dpp v10, v4 row_shr:1 row_mask:0xf bank_mask:0xf
	v_cndmask_b32_e64 v10, v10, 0, vcc
	v_add_u32_e32 v4, v10, v4
	s_nop 1
	v_mov_b32_dpp v10, v4 row_shr:2 row_mask:0xf bank_mask:0xf
	v_cndmask_b32_e64 v10, 0, v10, s[0:1]
	v_add_u32_e32 v4, v4, v10
	v_cmp_lt_u32_e64 s[0:1], 3, v0
	s_nop 0
	v_mov_b32_dpp v10, v4 row_shr:4 row_mask:0xf bank_mask:0xf
	v_cndmask_b32_e64 v10, 0, v10, s[0:1]
	v_add_u32_e32 v4, v4, v10
	v_cmp_lt_u32_e64 s[0:1], 7, v0
	s_nop 0
	v_mov_b32_dpp v10, v4 row_shr:8 row_mask:0xf bank_mask:0xf
	v_cndmask_b32_e64 v0, 0, v10, s[0:1]
	v_add_u32_e32 v4, v4, v0
	ds_bpermute_b32 v0, v8, v4
	v_add_u32_e32 v4, s8, v4
	ds_bpermute_b32 v4, v5, v4
	v_add_co_u32_e64 v2, s[0:1], s2, v2
	v_addc_co_u32_e64 v3, s[0:1], v9, v3, s[0:1]
	s_waitcnt lgkmcnt(0)
	v_cndmask_b32_e32 v4, v4, v7, vcc
	v_cmp_eq_u32_e32 vcc, 0, v6
	global_store_dword v[2:3], v4, off
	s_and_saveexec_b64 s[0:1], vcc
	s_cbranch_execz .LBB217_2
; %bb.1:
	s_load_dwordx2 s[0:1], s[4:5], 0x10
	v_lshrrev_b32_e32 v1, 2, v1
	v_and_b32_e32 v1, 0x3ffffffc, v1
	s_waitcnt lgkmcnt(0)
	global_store_dword v1, v0, s[0:1]
.LBB217_2:
	s_endpgm
	.section	.rodata,"a",@progbits
	.p2align	6, 0x0
	.amdhsa_kernel _Z33warp_exclusive_scan_reduce_kernelIiLj64ELj16EENSt9enable_ifIXsr10test_utilsE35device_test_enabled_for_warp_size_vIXT1_EEEvE4typeEPT_S4_S4_S3_
		.amdhsa_group_segment_fixed_size 0
		.amdhsa_private_segment_fixed_size 0
		.amdhsa_kernarg_size 288
		.amdhsa_user_sgpr_count 6
		.amdhsa_user_sgpr_private_segment_buffer 1
		.amdhsa_user_sgpr_dispatch_ptr 0
		.amdhsa_user_sgpr_queue_ptr 0
		.amdhsa_user_sgpr_kernarg_segment_ptr 1
		.amdhsa_user_sgpr_dispatch_id 0
		.amdhsa_user_sgpr_flat_scratch_init 0
		.amdhsa_user_sgpr_private_segment_size 0
		.amdhsa_uses_dynamic_stack 0
		.amdhsa_system_sgpr_private_segment_wavefront_offset 0
		.amdhsa_system_sgpr_workgroup_id_x 1
		.amdhsa_system_sgpr_workgroup_id_y 0
		.amdhsa_system_sgpr_workgroup_id_z 0
		.amdhsa_system_sgpr_workgroup_info 0
		.amdhsa_system_vgpr_workitem_id 0
		.amdhsa_next_free_vgpr 11
		.amdhsa_next_free_sgpr 9
		.amdhsa_reserve_vcc 1
		.amdhsa_reserve_flat_scratch 0
		.amdhsa_float_round_mode_32 0
		.amdhsa_float_round_mode_16_64 0
		.amdhsa_float_denorm_mode_32 3
		.amdhsa_float_denorm_mode_16_64 3
		.amdhsa_dx10_clamp 1
		.amdhsa_ieee_mode 1
		.amdhsa_fp16_overflow 0
		.amdhsa_exception_fp_ieee_invalid_op 0
		.amdhsa_exception_fp_denorm_src 0
		.amdhsa_exception_fp_ieee_div_zero 0
		.amdhsa_exception_fp_ieee_overflow 0
		.amdhsa_exception_fp_ieee_underflow 0
		.amdhsa_exception_fp_ieee_inexact 0
		.amdhsa_exception_int_div_zero 0
	.end_amdhsa_kernel
	.section	.text._Z33warp_exclusive_scan_reduce_kernelIiLj64ELj16EENSt9enable_ifIXsr10test_utilsE35device_test_enabled_for_warp_size_vIXT1_EEEvE4typeEPT_S4_S4_S3_,"axG",@progbits,_Z33warp_exclusive_scan_reduce_kernelIiLj64ELj16EENSt9enable_ifIXsr10test_utilsE35device_test_enabled_for_warp_size_vIXT1_EEEvE4typeEPT_S4_S4_S3_,comdat
.Lfunc_end217:
	.size	_Z33warp_exclusive_scan_reduce_kernelIiLj64ELj16EENSt9enable_ifIXsr10test_utilsE35device_test_enabled_for_warp_size_vIXT1_EEEvE4typeEPT_S4_S4_S3_, .Lfunc_end217-_Z33warp_exclusive_scan_reduce_kernelIiLj64ELj16EENSt9enable_ifIXsr10test_utilsE35device_test_enabled_for_warp_size_vIXT1_EEEvE4typeEPT_S4_S4_S3_
                                        ; -- End function
	.set _Z33warp_exclusive_scan_reduce_kernelIiLj64ELj16EENSt9enable_ifIXsr10test_utilsE35device_test_enabled_for_warp_size_vIXT1_EEEvE4typeEPT_S4_S4_S3_.num_vgpr, 11
	.set _Z33warp_exclusive_scan_reduce_kernelIiLj64ELj16EENSt9enable_ifIXsr10test_utilsE35device_test_enabled_for_warp_size_vIXT1_EEEvE4typeEPT_S4_S4_S3_.num_agpr, 0
	.set _Z33warp_exclusive_scan_reduce_kernelIiLj64ELj16EENSt9enable_ifIXsr10test_utilsE35device_test_enabled_for_warp_size_vIXT1_EEEvE4typeEPT_S4_S4_S3_.numbered_sgpr, 9
	.set _Z33warp_exclusive_scan_reduce_kernelIiLj64ELj16EENSt9enable_ifIXsr10test_utilsE35device_test_enabled_for_warp_size_vIXT1_EEEvE4typeEPT_S4_S4_S3_.num_named_barrier, 0
	.set _Z33warp_exclusive_scan_reduce_kernelIiLj64ELj16EENSt9enable_ifIXsr10test_utilsE35device_test_enabled_for_warp_size_vIXT1_EEEvE4typeEPT_S4_S4_S3_.private_seg_size, 0
	.set _Z33warp_exclusive_scan_reduce_kernelIiLj64ELj16EENSt9enable_ifIXsr10test_utilsE35device_test_enabled_for_warp_size_vIXT1_EEEvE4typeEPT_S4_S4_S3_.uses_vcc, 1
	.set _Z33warp_exclusive_scan_reduce_kernelIiLj64ELj16EENSt9enable_ifIXsr10test_utilsE35device_test_enabled_for_warp_size_vIXT1_EEEvE4typeEPT_S4_S4_S3_.uses_flat_scratch, 0
	.set _Z33warp_exclusive_scan_reduce_kernelIiLj64ELj16EENSt9enable_ifIXsr10test_utilsE35device_test_enabled_for_warp_size_vIXT1_EEEvE4typeEPT_S4_S4_S3_.has_dyn_sized_stack, 0
	.set _Z33warp_exclusive_scan_reduce_kernelIiLj64ELj16EENSt9enable_ifIXsr10test_utilsE35device_test_enabled_for_warp_size_vIXT1_EEEvE4typeEPT_S4_S4_S3_.has_recursion, 0
	.set _Z33warp_exclusive_scan_reduce_kernelIiLj64ELj16EENSt9enable_ifIXsr10test_utilsE35device_test_enabled_for_warp_size_vIXT1_EEEvE4typeEPT_S4_S4_S3_.has_indirect_call, 0
	.section	.AMDGPU.csdata,"",@progbits
; Kernel info:
; codeLenInByte = 364
; TotalNumSgprs: 13
; NumVgprs: 11
; ScratchSize: 0
; MemoryBound: 0
; FloatMode: 240
; IeeeMode: 1
; LDSByteSize: 0 bytes/workgroup (compile time only)
; SGPRBlocks: 1
; VGPRBlocks: 2
; NumSGPRsForWavesPerEU: 13
; NumVGPRsForWavesPerEU: 11
; Occupancy: 10
; WaveLimiterHint : 0
; COMPUTE_PGM_RSRC2:SCRATCH_EN: 0
; COMPUTE_PGM_RSRC2:USER_SGPR: 6
; COMPUTE_PGM_RSRC2:TRAP_HANDLER: 0
; COMPUTE_PGM_RSRC2:TGID_X_EN: 1
; COMPUTE_PGM_RSRC2:TGID_Y_EN: 0
; COMPUTE_PGM_RSRC2:TGID_Z_EN: 0
; COMPUTE_PGM_RSRC2:TIDIG_COMP_CNT: 0
	.section	.text._Z33warp_exclusive_scan_reduce_kernelIiLj32ELj8EENSt9enable_ifIXsr10test_utilsE35device_test_enabled_for_warp_size_vIXT1_EEEvE4typeEPT_S4_S4_S3_,"axG",@progbits,_Z33warp_exclusive_scan_reduce_kernelIiLj32ELj8EENSt9enable_ifIXsr10test_utilsE35device_test_enabled_for_warp_size_vIXT1_EEEvE4typeEPT_S4_S4_S3_,comdat
	.protected	_Z33warp_exclusive_scan_reduce_kernelIiLj32ELj8EENSt9enable_ifIXsr10test_utilsE35device_test_enabled_for_warp_size_vIXT1_EEEvE4typeEPT_S4_S4_S3_ ; -- Begin function _Z33warp_exclusive_scan_reduce_kernelIiLj32ELj8EENSt9enable_ifIXsr10test_utilsE35device_test_enabled_for_warp_size_vIXT1_EEEvE4typeEPT_S4_S4_S3_
	.globl	_Z33warp_exclusive_scan_reduce_kernelIiLj32ELj8EENSt9enable_ifIXsr10test_utilsE35device_test_enabled_for_warp_size_vIXT1_EEEvE4typeEPT_S4_S4_S3_
	.p2align	8
	.type	_Z33warp_exclusive_scan_reduce_kernelIiLj32ELj8EENSt9enable_ifIXsr10test_utilsE35device_test_enabled_for_warp_size_vIXT1_EEEvE4typeEPT_S4_S4_S3_,@function
_Z33warp_exclusive_scan_reduce_kernelIiLj32ELj8EENSt9enable_ifIXsr10test_utilsE35device_test_enabled_for_warp_size_vIXT1_EEEvE4typeEPT_S4_S4_S3_: ; @_Z33warp_exclusive_scan_reduce_kernelIiLj32ELj8EENSt9enable_ifIXsr10test_utilsE35device_test_enabled_for_warp_size_vIXT1_EEEvE4typeEPT_S4_S4_S3_
; %bb.0:
	s_load_dword s7, s[4:5], 0x2c
	s_load_dwordx4 s[0:3], s[4:5], 0x0
	s_load_dword s8, s[4:5], 0x18
	v_mov_b32_e32 v2, 0
	v_and_b32_e32 v6, 7, v0
	s_waitcnt lgkmcnt(0)
	s_and_b32 s7, s7, 0xffff
	s_mul_i32 s6, s6, s7
	v_add_u32_e32 v1, s6, v0
	v_lshlrev_b64 v[2:3], 2, v[1:2]
	v_mov_b32_e32 v5, s1
	v_add_co_u32_e32 v4, vcc, s0, v2
	v_addc_co_u32_e32 v5, vcc, v5, v3, vcc
	global_load_dword v4, v[4:5], off
	v_mbcnt_lo_u32_b32 v5, -1, 0
	v_mbcnt_hi_u32_b32 v5, -1, v5
	v_and_b32_e32 v7, 0x78, v5
	v_add_u32_e32 v9, -1, v5
	v_and_b32_e32 v0, 7, v5
	v_cmp_lt_i32_e32 vcc, v9, v7
	v_lshl_or_b32 v8, v5, 2, 28
	v_cndmask_b32_e32 v5, v9, v5, vcc
	v_cmp_eq_u32_e32 vcc, 0, v0
	v_cmp_lt_u32_e64 s[0:1], 1, v0
	v_lshlrev_b32_e32 v5, 2, v5
	v_mov_b32_e32 v7, s8
	v_mov_b32_e32 v9, s3
	s_waitcnt vmcnt(0)
	v_mov_b32_dpp v10, v4 row_shr:1 row_mask:0xf bank_mask:0xf
	v_cndmask_b32_e64 v10, v10, 0, vcc
	v_add_u32_e32 v4, v10, v4
	s_nop 1
	v_mov_b32_dpp v10, v4 row_shr:2 row_mask:0xf bank_mask:0xf
	v_cndmask_b32_e64 v10, 0, v10, s[0:1]
	v_add_u32_e32 v4, v4, v10
	v_cmp_lt_u32_e64 s[0:1], 3, v0
	s_nop 0
	v_mov_b32_dpp v10, v4 row_shr:4 row_mask:0xf bank_mask:0xf
	v_cndmask_b32_e64 v0, 0, v10, s[0:1]
	v_add_u32_e32 v4, v4, v0
	ds_bpermute_b32 v0, v8, v4
	v_add_u32_e32 v4, s8, v4
	ds_bpermute_b32 v4, v5, v4
	v_add_co_u32_e64 v2, s[0:1], s2, v2
	v_addc_co_u32_e64 v3, s[0:1], v9, v3, s[0:1]
	s_waitcnt lgkmcnt(0)
	v_cndmask_b32_e32 v4, v4, v7, vcc
	v_cmp_eq_u32_e32 vcc, 0, v6
	global_store_dword v[2:3], v4, off
	s_and_saveexec_b64 s[0:1], vcc
	s_cbranch_execz .LBB218_2
; %bb.1:
	s_load_dwordx2 s[0:1], s[4:5], 0x10
	v_lshrrev_b32_e32 v1, 1, v1
	v_and_b32_e32 v1, 0x7ffffffc, v1
	s_waitcnt lgkmcnt(0)
	global_store_dword v1, v0, s[0:1]
.LBB218_2:
	s_endpgm
	.section	.rodata,"a",@progbits
	.p2align	6, 0x0
	.amdhsa_kernel _Z33warp_exclusive_scan_reduce_kernelIiLj32ELj8EENSt9enable_ifIXsr10test_utilsE35device_test_enabled_for_warp_size_vIXT1_EEEvE4typeEPT_S4_S4_S3_
		.amdhsa_group_segment_fixed_size 0
		.amdhsa_private_segment_fixed_size 0
		.amdhsa_kernarg_size 288
		.amdhsa_user_sgpr_count 6
		.amdhsa_user_sgpr_private_segment_buffer 1
		.amdhsa_user_sgpr_dispatch_ptr 0
		.amdhsa_user_sgpr_queue_ptr 0
		.amdhsa_user_sgpr_kernarg_segment_ptr 1
		.amdhsa_user_sgpr_dispatch_id 0
		.amdhsa_user_sgpr_flat_scratch_init 0
		.amdhsa_user_sgpr_private_segment_size 0
		.amdhsa_uses_dynamic_stack 0
		.amdhsa_system_sgpr_private_segment_wavefront_offset 0
		.amdhsa_system_sgpr_workgroup_id_x 1
		.amdhsa_system_sgpr_workgroup_id_y 0
		.amdhsa_system_sgpr_workgroup_id_z 0
		.amdhsa_system_sgpr_workgroup_info 0
		.amdhsa_system_vgpr_workitem_id 0
		.amdhsa_next_free_vgpr 11
		.amdhsa_next_free_sgpr 9
		.amdhsa_reserve_vcc 1
		.amdhsa_reserve_flat_scratch 0
		.amdhsa_float_round_mode_32 0
		.amdhsa_float_round_mode_16_64 0
		.amdhsa_float_denorm_mode_32 3
		.amdhsa_float_denorm_mode_16_64 3
		.amdhsa_dx10_clamp 1
		.amdhsa_ieee_mode 1
		.amdhsa_fp16_overflow 0
		.amdhsa_exception_fp_ieee_invalid_op 0
		.amdhsa_exception_fp_denorm_src 0
		.amdhsa_exception_fp_ieee_div_zero 0
		.amdhsa_exception_fp_ieee_overflow 0
		.amdhsa_exception_fp_ieee_underflow 0
		.amdhsa_exception_fp_ieee_inexact 0
		.amdhsa_exception_int_div_zero 0
	.end_amdhsa_kernel
	.section	.text._Z33warp_exclusive_scan_reduce_kernelIiLj32ELj8EENSt9enable_ifIXsr10test_utilsE35device_test_enabled_for_warp_size_vIXT1_EEEvE4typeEPT_S4_S4_S3_,"axG",@progbits,_Z33warp_exclusive_scan_reduce_kernelIiLj32ELj8EENSt9enable_ifIXsr10test_utilsE35device_test_enabled_for_warp_size_vIXT1_EEEvE4typeEPT_S4_S4_S3_,comdat
.Lfunc_end218:
	.size	_Z33warp_exclusive_scan_reduce_kernelIiLj32ELj8EENSt9enable_ifIXsr10test_utilsE35device_test_enabled_for_warp_size_vIXT1_EEEvE4typeEPT_S4_S4_S3_, .Lfunc_end218-_Z33warp_exclusive_scan_reduce_kernelIiLj32ELj8EENSt9enable_ifIXsr10test_utilsE35device_test_enabled_for_warp_size_vIXT1_EEEvE4typeEPT_S4_S4_S3_
                                        ; -- End function
	.set _Z33warp_exclusive_scan_reduce_kernelIiLj32ELj8EENSt9enable_ifIXsr10test_utilsE35device_test_enabled_for_warp_size_vIXT1_EEEvE4typeEPT_S4_S4_S3_.num_vgpr, 11
	.set _Z33warp_exclusive_scan_reduce_kernelIiLj32ELj8EENSt9enable_ifIXsr10test_utilsE35device_test_enabled_for_warp_size_vIXT1_EEEvE4typeEPT_S4_S4_S3_.num_agpr, 0
	.set _Z33warp_exclusive_scan_reduce_kernelIiLj32ELj8EENSt9enable_ifIXsr10test_utilsE35device_test_enabled_for_warp_size_vIXT1_EEEvE4typeEPT_S4_S4_S3_.numbered_sgpr, 9
	.set _Z33warp_exclusive_scan_reduce_kernelIiLj32ELj8EENSt9enable_ifIXsr10test_utilsE35device_test_enabled_for_warp_size_vIXT1_EEEvE4typeEPT_S4_S4_S3_.num_named_barrier, 0
	.set _Z33warp_exclusive_scan_reduce_kernelIiLj32ELj8EENSt9enable_ifIXsr10test_utilsE35device_test_enabled_for_warp_size_vIXT1_EEEvE4typeEPT_S4_S4_S3_.private_seg_size, 0
	.set _Z33warp_exclusive_scan_reduce_kernelIiLj32ELj8EENSt9enable_ifIXsr10test_utilsE35device_test_enabled_for_warp_size_vIXT1_EEEvE4typeEPT_S4_S4_S3_.uses_vcc, 1
	.set _Z33warp_exclusive_scan_reduce_kernelIiLj32ELj8EENSt9enable_ifIXsr10test_utilsE35device_test_enabled_for_warp_size_vIXT1_EEEvE4typeEPT_S4_S4_S3_.uses_flat_scratch, 0
	.set _Z33warp_exclusive_scan_reduce_kernelIiLj32ELj8EENSt9enable_ifIXsr10test_utilsE35device_test_enabled_for_warp_size_vIXT1_EEEvE4typeEPT_S4_S4_S3_.has_dyn_sized_stack, 0
	.set _Z33warp_exclusive_scan_reduce_kernelIiLj32ELj8EENSt9enable_ifIXsr10test_utilsE35device_test_enabled_for_warp_size_vIXT1_EEEvE4typeEPT_S4_S4_S3_.has_recursion, 0
	.set _Z33warp_exclusive_scan_reduce_kernelIiLj32ELj8EENSt9enable_ifIXsr10test_utilsE35device_test_enabled_for_warp_size_vIXT1_EEEvE4typeEPT_S4_S4_S3_.has_indirect_call, 0
	.section	.AMDGPU.csdata,"",@progbits
; Kernel info:
; codeLenInByte = 332
; TotalNumSgprs: 13
; NumVgprs: 11
; ScratchSize: 0
; MemoryBound: 0
; FloatMode: 240
; IeeeMode: 1
; LDSByteSize: 0 bytes/workgroup (compile time only)
; SGPRBlocks: 1
; VGPRBlocks: 2
; NumSGPRsForWavesPerEU: 13
; NumVGPRsForWavesPerEU: 11
; Occupancy: 10
; WaveLimiterHint : 0
; COMPUTE_PGM_RSRC2:SCRATCH_EN: 0
; COMPUTE_PGM_RSRC2:USER_SGPR: 6
; COMPUTE_PGM_RSRC2:TRAP_HANDLER: 0
; COMPUTE_PGM_RSRC2:TGID_X_EN: 1
; COMPUTE_PGM_RSRC2:TGID_Y_EN: 0
; COMPUTE_PGM_RSRC2:TGID_Z_EN: 0
; COMPUTE_PGM_RSRC2:TIDIG_COMP_CNT: 0
	.section	.text._Z33warp_exclusive_scan_reduce_kernelIiLj64ELj8EENSt9enable_ifIXsr10test_utilsE35device_test_enabled_for_warp_size_vIXT1_EEEvE4typeEPT_S4_S4_S3_,"axG",@progbits,_Z33warp_exclusive_scan_reduce_kernelIiLj64ELj8EENSt9enable_ifIXsr10test_utilsE35device_test_enabled_for_warp_size_vIXT1_EEEvE4typeEPT_S4_S4_S3_,comdat
	.protected	_Z33warp_exclusive_scan_reduce_kernelIiLj64ELj8EENSt9enable_ifIXsr10test_utilsE35device_test_enabled_for_warp_size_vIXT1_EEEvE4typeEPT_S4_S4_S3_ ; -- Begin function _Z33warp_exclusive_scan_reduce_kernelIiLj64ELj8EENSt9enable_ifIXsr10test_utilsE35device_test_enabled_for_warp_size_vIXT1_EEEvE4typeEPT_S4_S4_S3_
	.globl	_Z33warp_exclusive_scan_reduce_kernelIiLj64ELj8EENSt9enable_ifIXsr10test_utilsE35device_test_enabled_for_warp_size_vIXT1_EEEvE4typeEPT_S4_S4_S3_
	.p2align	8
	.type	_Z33warp_exclusive_scan_reduce_kernelIiLj64ELj8EENSt9enable_ifIXsr10test_utilsE35device_test_enabled_for_warp_size_vIXT1_EEEvE4typeEPT_S4_S4_S3_,@function
_Z33warp_exclusive_scan_reduce_kernelIiLj64ELj8EENSt9enable_ifIXsr10test_utilsE35device_test_enabled_for_warp_size_vIXT1_EEEvE4typeEPT_S4_S4_S3_: ; @_Z33warp_exclusive_scan_reduce_kernelIiLj64ELj8EENSt9enable_ifIXsr10test_utilsE35device_test_enabled_for_warp_size_vIXT1_EEEvE4typeEPT_S4_S4_S3_
; %bb.0:
	s_load_dword s7, s[4:5], 0x2c
	s_load_dwordx4 s[0:3], s[4:5], 0x0
	s_load_dword s8, s[4:5], 0x18
	v_mov_b32_e32 v2, 0
	v_and_b32_e32 v6, 7, v0
	s_waitcnt lgkmcnt(0)
	s_and_b32 s7, s7, 0xffff
	s_mul_i32 s6, s6, s7
	v_add_u32_e32 v1, s6, v0
	v_lshlrev_b64 v[2:3], 2, v[1:2]
	v_mov_b32_e32 v5, s1
	v_add_co_u32_e32 v4, vcc, s0, v2
	v_addc_co_u32_e32 v5, vcc, v5, v3, vcc
	global_load_dword v4, v[4:5], off
	v_mbcnt_lo_u32_b32 v5, -1, 0
	v_mbcnt_hi_u32_b32 v5, -1, v5
	v_and_b32_e32 v7, 0x78, v5
	v_add_u32_e32 v9, -1, v5
	v_and_b32_e32 v0, 7, v5
	v_cmp_lt_i32_e32 vcc, v9, v7
	v_lshl_or_b32 v8, v5, 2, 28
	v_cndmask_b32_e32 v5, v9, v5, vcc
	v_cmp_eq_u32_e32 vcc, 0, v0
	v_cmp_lt_u32_e64 s[0:1], 1, v0
	v_lshlrev_b32_e32 v5, 2, v5
	v_mov_b32_e32 v7, s8
	v_mov_b32_e32 v9, s3
	s_waitcnt vmcnt(0)
	v_mov_b32_dpp v10, v4 row_shr:1 row_mask:0xf bank_mask:0xf
	v_cndmask_b32_e64 v10, v10, 0, vcc
	v_add_u32_e32 v4, v10, v4
	s_nop 1
	v_mov_b32_dpp v10, v4 row_shr:2 row_mask:0xf bank_mask:0xf
	v_cndmask_b32_e64 v10, 0, v10, s[0:1]
	v_add_u32_e32 v4, v4, v10
	v_cmp_lt_u32_e64 s[0:1], 3, v0
	s_nop 0
	v_mov_b32_dpp v10, v4 row_shr:4 row_mask:0xf bank_mask:0xf
	v_cndmask_b32_e64 v0, 0, v10, s[0:1]
	v_add_u32_e32 v4, v4, v0
	ds_bpermute_b32 v0, v8, v4
	v_add_u32_e32 v4, s8, v4
	ds_bpermute_b32 v4, v5, v4
	v_add_co_u32_e64 v2, s[0:1], s2, v2
	v_addc_co_u32_e64 v3, s[0:1], v9, v3, s[0:1]
	s_waitcnt lgkmcnt(0)
	v_cndmask_b32_e32 v4, v4, v7, vcc
	v_cmp_eq_u32_e32 vcc, 0, v6
	global_store_dword v[2:3], v4, off
	s_and_saveexec_b64 s[0:1], vcc
	s_cbranch_execz .LBB219_2
; %bb.1:
	s_load_dwordx2 s[0:1], s[4:5], 0x10
	v_lshrrev_b32_e32 v1, 1, v1
	v_and_b32_e32 v1, 0x7ffffffc, v1
	s_waitcnt lgkmcnt(0)
	global_store_dword v1, v0, s[0:1]
.LBB219_2:
	s_endpgm
	.section	.rodata,"a",@progbits
	.p2align	6, 0x0
	.amdhsa_kernel _Z33warp_exclusive_scan_reduce_kernelIiLj64ELj8EENSt9enable_ifIXsr10test_utilsE35device_test_enabled_for_warp_size_vIXT1_EEEvE4typeEPT_S4_S4_S3_
		.amdhsa_group_segment_fixed_size 0
		.amdhsa_private_segment_fixed_size 0
		.amdhsa_kernarg_size 288
		.amdhsa_user_sgpr_count 6
		.amdhsa_user_sgpr_private_segment_buffer 1
		.amdhsa_user_sgpr_dispatch_ptr 0
		.amdhsa_user_sgpr_queue_ptr 0
		.amdhsa_user_sgpr_kernarg_segment_ptr 1
		.amdhsa_user_sgpr_dispatch_id 0
		.amdhsa_user_sgpr_flat_scratch_init 0
		.amdhsa_user_sgpr_private_segment_size 0
		.amdhsa_uses_dynamic_stack 0
		.amdhsa_system_sgpr_private_segment_wavefront_offset 0
		.amdhsa_system_sgpr_workgroup_id_x 1
		.amdhsa_system_sgpr_workgroup_id_y 0
		.amdhsa_system_sgpr_workgroup_id_z 0
		.amdhsa_system_sgpr_workgroup_info 0
		.amdhsa_system_vgpr_workitem_id 0
		.amdhsa_next_free_vgpr 11
		.amdhsa_next_free_sgpr 9
		.amdhsa_reserve_vcc 1
		.amdhsa_reserve_flat_scratch 0
		.amdhsa_float_round_mode_32 0
		.amdhsa_float_round_mode_16_64 0
		.amdhsa_float_denorm_mode_32 3
		.amdhsa_float_denorm_mode_16_64 3
		.amdhsa_dx10_clamp 1
		.amdhsa_ieee_mode 1
		.amdhsa_fp16_overflow 0
		.amdhsa_exception_fp_ieee_invalid_op 0
		.amdhsa_exception_fp_denorm_src 0
		.amdhsa_exception_fp_ieee_div_zero 0
		.amdhsa_exception_fp_ieee_overflow 0
		.amdhsa_exception_fp_ieee_underflow 0
		.amdhsa_exception_fp_ieee_inexact 0
		.amdhsa_exception_int_div_zero 0
	.end_amdhsa_kernel
	.section	.text._Z33warp_exclusive_scan_reduce_kernelIiLj64ELj8EENSt9enable_ifIXsr10test_utilsE35device_test_enabled_for_warp_size_vIXT1_EEEvE4typeEPT_S4_S4_S3_,"axG",@progbits,_Z33warp_exclusive_scan_reduce_kernelIiLj64ELj8EENSt9enable_ifIXsr10test_utilsE35device_test_enabled_for_warp_size_vIXT1_EEEvE4typeEPT_S4_S4_S3_,comdat
.Lfunc_end219:
	.size	_Z33warp_exclusive_scan_reduce_kernelIiLj64ELj8EENSt9enable_ifIXsr10test_utilsE35device_test_enabled_for_warp_size_vIXT1_EEEvE4typeEPT_S4_S4_S3_, .Lfunc_end219-_Z33warp_exclusive_scan_reduce_kernelIiLj64ELj8EENSt9enable_ifIXsr10test_utilsE35device_test_enabled_for_warp_size_vIXT1_EEEvE4typeEPT_S4_S4_S3_
                                        ; -- End function
	.set _Z33warp_exclusive_scan_reduce_kernelIiLj64ELj8EENSt9enable_ifIXsr10test_utilsE35device_test_enabled_for_warp_size_vIXT1_EEEvE4typeEPT_S4_S4_S3_.num_vgpr, 11
	.set _Z33warp_exclusive_scan_reduce_kernelIiLj64ELj8EENSt9enable_ifIXsr10test_utilsE35device_test_enabled_for_warp_size_vIXT1_EEEvE4typeEPT_S4_S4_S3_.num_agpr, 0
	.set _Z33warp_exclusive_scan_reduce_kernelIiLj64ELj8EENSt9enable_ifIXsr10test_utilsE35device_test_enabled_for_warp_size_vIXT1_EEEvE4typeEPT_S4_S4_S3_.numbered_sgpr, 9
	.set _Z33warp_exclusive_scan_reduce_kernelIiLj64ELj8EENSt9enable_ifIXsr10test_utilsE35device_test_enabled_for_warp_size_vIXT1_EEEvE4typeEPT_S4_S4_S3_.num_named_barrier, 0
	.set _Z33warp_exclusive_scan_reduce_kernelIiLj64ELj8EENSt9enable_ifIXsr10test_utilsE35device_test_enabled_for_warp_size_vIXT1_EEEvE4typeEPT_S4_S4_S3_.private_seg_size, 0
	.set _Z33warp_exclusive_scan_reduce_kernelIiLj64ELj8EENSt9enable_ifIXsr10test_utilsE35device_test_enabled_for_warp_size_vIXT1_EEEvE4typeEPT_S4_S4_S3_.uses_vcc, 1
	.set _Z33warp_exclusive_scan_reduce_kernelIiLj64ELj8EENSt9enable_ifIXsr10test_utilsE35device_test_enabled_for_warp_size_vIXT1_EEEvE4typeEPT_S4_S4_S3_.uses_flat_scratch, 0
	.set _Z33warp_exclusive_scan_reduce_kernelIiLj64ELj8EENSt9enable_ifIXsr10test_utilsE35device_test_enabled_for_warp_size_vIXT1_EEEvE4typeEPT_S4_S4_S3_.has_dyn_sized_stack, 0
	.set _Z33warp_exclusive_scan_reduce_kernelIiLj64ELj8EENSt9enable_ifIXsr10test_utilsE35device_test_enabled_for_warp_size_vIXT1_EEEvE4typeEPT_S4_S4_S3_.has_recursion, 0
	.set _Z33warp_exclusive_scan_reduce_kernelIiLj64ELj8EENSt9enable_ifIXsr10test_utilsE35device_test_enabled_for_warp_size_vIXT1_EEEvE4typeEPT_S4_S4_S3_.has_indirect_call, 0
	.section	.AMDGPU.csdata,"",@progbits
; Kernel info:
; codeLenInByte = 332
; TotalNumSgprs: 13
; NumVgprs: 11
; ScratchSize: 0
; MemoryBound: 0
; FloatMode: 240
; IeeeMode: 1
; LDSByteSize: 0 bytes/workgroup (compile time only)
; SGPRBlocks: 1
; VGPRBlocks: 2
; NumSGPRsForWavesPerEU: 13
; NumVGPRsForWavesPerEU: 11
; Occupancy: 10
; WaveLimiterHint : 0
; COMPUTE_PGM_RSRC2:SCRATCH_EN: 0
; COMPUTE_PGM_RSRC2:USER_SGPR: 6
; COMPUTE_PGM_RSRC2:TRAP_HANDLER: 0
; COMPUTE_PGM_RSRC2:TGID_X_EN: 1
; COMPUTE_PGM_RSRC2:TGID_Y_EN: 0
; COMPUTE_PGM_RSRC2:TGID_Z_EN: 0
; COMPUTE_PGM_RSRC2:TIDIG_COMP_CNT: 0
	.section	.text._Z33warp_exclusive_scan_reduce_kernelIiLj32ELj4EENSt9enable_ifIXsr10test_utilsE35device_test_enabled_for_warp_size_vIXT1_EEEvE4typeEPT_S4_S4_S3_,"axG",@progbits,_Z33warp_exclusive_scan_reduce_kernelIiLj32ELj4EENSt9enable_ifIXsr10test_utilsE35device_test_enabled_for_warp_size_vIXT1_EEEvE4typeEPT_S4_S4_S3_,comdat
	.protected	_Z33warp_exclusive_scan_reduce_kernelIiLj32ELj4EENSt9enable_ifIXsr10test_utilsE35device_test_enabled_for_warp_size_vIXT1_EEEvE4typeEPT_S4_S4_S3_ ; -- Begin function _Z33warp_exclusive_scan_reduce_kernelIiLj32ELj4EENSt9enable_ifIXsr10test_utilsE35device_test_enabled_for_warp_size_vIXT1_EEEvE4typeEPT_S4_S4_S3_
	.globl	_Z33warp_exclusive_scan_reduce_kernelIiLj32ELj4EENSt9enable_ifIXsr10test_utilsE35device_test_enabled_for_warp_size_vIXT1_EEEvE4typeEPT_S4_S4_S3_
	.p2align	8
	.type	_Z33warp_exclusive_scan_reduce_kernelIiLj32ELj4EENSt9enable_ifIXsr10test_utilsE35device_test_enabled_for_warp_size_vIXT1_EEEvE4typeEPT_S4_S4_S3_,@function
_Z33warp_exclusive_scan_reduce_kernelIiLj32ELj4EENSt9enable_ifIXsr10test_utilsE35device_test_enabled_for_warp_size_vIXT1_EEEvE4typeEPT_S4_S4_S3_: ; @_Z33warp_exclusive_scan_reduce_kernelIiLj32ELj4EENSt9enable_ifIXsr10test_utilsE35device_test_enabled_for_warp_size_vIXT1_EEEvE4typeEPT_S4_S4_S3_
; %bb.0:
	s_load_dword s7, s[4:5], 0x2c
	s_load_dwordx4 s[0:3], s[4:5], 0x0
	s_load_dword s8, s[4:5], 0x18
	v_mov_b32_e32 v2, 0
	v_and_b32_e32 v6, 3, v0
	s_waitcnt lgkmcnt(0)
	s_and_b32 s7, s7, 0xffff
	s_mul_i32 s6, s6, s7
	v_add_u32_e32 v1, s6, v0
	v_lshlrev_b64 v[2:3], 2, v[1:2]
	v_mov_b32_e32 v5, s1
	v_add_co_u32_e32 v4, vcc, s0, v2
	v_addc_co_u32_e32 v5, vcc, v5, v3, vcc
	global_load_dword v4, v[4:5], off
	v_mbcnt_lo_u32_b32 v5, -1, 0
	v_mbcnt_hi_u32_b32 v5, -1, v5
	v_and_b32_e32 v7, 0x7c, v5
	v_add_u32_e32 v9, -1, v5
	v_and_b32_e32 v0, 3, v5
	v_cmp_lt_i32_e32 vcc, v9, v7
	v_lshl_or_b32 v8, v5, 2, 12
	v_cndmask_b32_e32 v5, v9, v5, vcc
	v_cmp_eq_u32_e32 vcc, 0, v0
	v_cmp_lt_u32_e64 s[0:1], 1, v0
	v_lshlrev_b32_e32 v5, 2, v5
	v_mov_b32_e32 v7, s8
	v_mov_b32_e32 v9, s3
	s_waitcnt vmcnt(0)
	v_mov_b32_dpp v10, v4 row_shr:1 row_mask:0xf bank_mask:0xf
	v_cndmask_b32_e64 v10, v10, 0, vcc
	v_add_u32_e32 v4, v10, v4
	s_nop 1
	v_mov_b32_dpp v10, v4 row_shr:2 row_mask:0xf bank_mask:0xf
	v_cndmask_b32_e64 v0, 0, v10, s[0:1]
	v_add_u32_e32 v4, v4, v0
	ds_bpermute_b32 v0, v8, v4
	v_add_u32_e32 v4, s8, v4
	ds_bpermute_b32 v4, v5, v4
	v_add_co_u32_e64 v2, s[0:1], s2, v2
	v_addc_co_u32_e64 v3, s[0:1], v9, v3, s[0:1]
	s_waitcnt lgkmcnt(0)
	v_cndmask_b32_e32 v4, v4, v7, vcc
	v_cmp_eq_u32_e32 vcc, 0, v6
	global_store_dword v[2:3], v4, off
	s_and_saveexec_b64 s[0:1], vcc
	s_cbranch_execz .LBB220_2
; %bb.1:
	s_load_dwordx2 s[0:1], s[4:5], 0x10
	v_and_b32_e32 v1, -4, v1
	s_waitcnt lgkmcnt(0)
	global_store_dword v1, v0, s[0:1]
.LBB220_2:
	s_endpgm
	.section	.rodata,"a",@progbits
	.p2align	6, 0x0
	.amdhsa_kernel _Z33warp_exclusive_scan_reduce_kernelIiLj32ELj4EENSt9enable_ifIXsr10test_utilsE35device_test_enabled_for_warp_size_vIXT1_EEEvE4typeEPT_S4_S4_S3_
		.amdhsa_group_segment_fixed_size 0
		.amdhsa_private_segment_fixed_size 0
		.amdhsa_kernarg_size 288
		.amdhsa_user_sgpr_count 6
		.amdhsa_user_sgpr_private_segment_buffer 1
		.amdhsa_user_sgpr_dispatch_ptr 0
		.amdhsa_user_sgpr_queue_ptr 0
		.amdhsa_user_sgpr_kernarg_segment_ptr 1
		.amdhsa_user_sgpr_dispatch_id 0
		.amdhsa_user_sgpr_flat_scratch_init 0
		.amdhsa_user_sgpr_private_segment_size 0
		.amdhsa_uses_dynamic_stack 0
		.amdhsa_system_sgpr_private_segment_wavefront_offset 0
		.amdhsa_system_sgpr_workgroup_id_x 1
		.amdhsa_system_sgpr_workgroup_id_y 0
		.amdhsa_system_sgpr_workgroup_id_z 0
		.amdhsa_system_sgpr_workgroup_info 0
		.amdhsa_system_vgpr_workitem_id 0
		.amdhsa_next_free_vgpr 11
		.amdhsa_next_free_sgpr 9
		.amdhsa_reserve_vcc 1
		.amdhsa_reserve_flat_scratch 0
		.amdhsa_float_round_mode_32 0
		.amdhsa_float_round_mode_16_64 0
		.amdhsa_float_denorm_mode_32 3
		.amdhsa_float_denorm_mode_16_64 3
		.amdhsa_dx10_clamp 1
		.amdhsa_ieee_mode 1
		.amdhsa_fp16_overflow 0
		.amdhsa_exception_fp_ieee_invalid_op 0
		.amdhsa_exception_fp_denorm_src 0
		.amdhsa_exception_fp_ieee_div_zero 0
		.amdhsa_exception_fp_ieee_overflow 0
		.amdhsa_exception_fp_ieee_underflow 0
		.amdhsa_exception_fp_ieee_inexact 0
		.amdhsa_exception_int_div_zero 0
	.end_amdhsa_kernel
	.section	.text._Z33warp_exclusive_scan_reduce_kernelIiLj32ELj4EENSt9enable_ifIXsr10test_utilsE35device_test_enabled_for_warp_size_vIXT1_EEEvE4typeEPT_S4_S4_S3_,"axG",@progbits,_Z33warp_exclusive_scan_reduce_kernelIiLj32ELj4EENSt9enable_ifIXsr10test_utilsE35device_test_enabled_for_warp_size_vIXT1_EEEvE4typeEPT_S4_S4_S3_,comdat
.Lfunc_end220:
	.size	_Z33warp_exclusive_scan_reduce_kernelIiLj32ELj4EENSt9enable_ifIXsr10test_utilsE35device_test_enabled_for_warp_size_vIXT1_EEEvE4typeEPT_S4_S4_S3_, .Lfunc_end220-_Z33warp_exclusive_scan_reduce_kernelIiLj32ELj4EENSt9enable_ifIXsr10test_utilsE35device_test_enabled_for_warp_size_vIXT1_EEEvE4typeEPT_S4_S4_S3_
                                        ; -- End function
	.set _Z33warp_exclusive_scan_reduce_kernelIiLj32ELj4EENSt9enable_ifIXsr10test_utilsE35device_test_enabled_for_warp_size_vIXT1_EEEvE4typeEPT_S4_S4_S3_.num_vgpr, 11
	.set _Z33warp_exclusive_scan_reduce_kernelIiLj32ELj4EENSt9enable_ifIXsr10test_utilsE35device_test_enabled_for_warp_size_vIXT1_EEEvE4typeEPT_S4_S4_S3_.num_agpr, 0
	.set _Z33warp_exclusive_scan_reduce_kernelIiLj32ELj4EENSt9enable_ifIXsr10test_utilsE35device_test_enabled_for_warp_size_vIXT1_EEEvE4typeEPT_S4_S4_S3_.numbered_sgpr, 9
	.set _Z33warp_exclusive_scan_reduce_kernelIiLj32ELj4EENSt9enable_ifIXsr10test_utilsE35device_test_enabled_for_warp_size_vIXT1_EEEvE4typeEPT_S4_S4_S3_.num_named_barrier, 0
	.set _Z33warp_exclusive_scan_reduce_kernelIiLj32ELj4EENSt9enable_ifIXsr10test_utilsE35device_test_enabled_for_warp_size_vIXT1_EEEvE4typeEPT_S4_S4_S3_.private_seg_size, 0
	.set _Z33warp_exclusive_scan_reduce_kernelIiLj32ELj4EENSt9enable_ifIXsr10test_utilsE35device_test_enabled_for_warp_size_vIXT1_EEEvE4typeEPT_S4_S4_S3_.uses_vcc, 1
	.set _Z33warp_exclusive_scan_reduce_kernelIiLj32ELj4EENSt9enable_ifIXsr10test_utilsE35device_test_enabled_for_warp_size_vIXT1_EEEvE4typeEPT_S4_S4_S3_.uses_flat_scratch, 0
	.set _Z33warp_exclusive_scan_reduce_kernelIiLj32ELj4EENSt9enable_ifIXsr10test_utilsE35device_test_enabled_for_warp_size_vIXT1_EEEvE4typeEPT_S4_S4_S3_.has_dyn_sized_stack, 0
	.set _Z33warp_exclusive_scan_reduce_kernelIiLj32ELj4EENSt9enable_ifIXsr10test_utilsE35device_test_enabled_for_warp_size_vIXT1_EEEvE4typeEPT_S4_S4_S3_.has_recursion, 0
	.set _Z33warp_exclusive_scan_reduce_kernelIiLj32ELj4EENSt9enable_ifIXsr10test_utilsE35device_test_enabled_for_warp_size_vIXT1_EEEvE4typeEPT_S4_S4_S3_.has_indirect_call, 0
	.section	.AMDGPU.csdata,"",@progbits
; Kernel info:
; codeLenInByte = 292
; TotalNumSgprs: 13
; NumVgprs: 11
; ScratchSize: 0
; MemoryBound: 0
; FloatMode: 240
; IeeeMode: 1
; LDSByteSize: 0 bytes/workgroup (compile time only)
; SGPRBlocks: 1
; VGPRBlocks: 2
; NumSGPRsForWavesPerEU: 13
; NumVGPRsForWavesPerEU: 11
; Occupancy: 10
; WaveLimiterHint : 0
; COMPUTE_PGM_RSRC2:SCRATCH_EN: 0
; COMPUTE_PGM_RSRC2:USER_SGPR: 6
; COMPUTE_PGM_RSRC2:TRAP_HANDLER: 0
; COMPUTE_PGM_RSRC2:TGID_X_EN: 1
; COMPUTE_PGM_RSRC2:TGID_Y_EN: 0
; COMPUTE_PGM_RSRC2:TGID_Z_EN: 0
; COMPUTE_PGM_RSRC2:TIDIG_COMP_CNT: 0
	.section	.text._Z33warp_exclusive_scan_reduce_kernelIiLj64ELj4EENSt9enable_ifIXsr10test_utilsE35device_test_enabled_for_warp_size_vIXT1_EEEvE4typeEPT_S4_S4_S3_,"axG",@progbits,_Z33warp_exclusive_scan_reduce_kernelIiLj64ELj4EENSt9enable_ifIXsr10test_utilsE35device_test_enabled_for_warp_size_vIXT1_EEEvE4typeEPT_S4_S4_S3_,comdat
	.protected	_Z33warp_exclusive_scan_reduce_kernelIiLj64ELj4EENSt9enable_ifIXsr10test_utilsE35device_test_enabled_for_warp_size_vIXT1_EEEvE4typeEPT_S4_S4_S3_ ; -- Begin function _Z33warp_exclusive_scan_reduce_kernelIiLj64ELj4EENSt9enable_ifIXsr10test_utilsE35device_test_enabled_for_warp_size_vIXT1_EEEvE4typeEPT_S4_S4_S3_
	.globl	_Z33warp_exclusive_scan_reduce_kernelIiLj64ELj4EENSt9enable_ifIXsr10test_utilsE35device_test_enabled_for_warp_size_vIXT1_EEEvE4typeEPT_S4_S4_S3_
	.p2align	8
	.type	_Z33warp_exclusive_scan_reduce_kernelIiLj64ELj4EENSt9enable_ifIXsr10test_utilsE35device_test_enabled_for_warp_size_vIXT1_EEEvE4typeEPT_S4_S4_S3_,@function
_Z33warp_exclusive_scan_reduce_kernelIiLj64ELj4EENSt9enable_ifIXsr10test_utilsE35device_test_enabled_for_warp_size_vIXT1_EEEvE4typeEPT_S4_S4_S3_: ; @_Z33warp_exclusive_scan_reduce_kernelIiLj64ELj4EENSt9enable_ifIXsr10test_utilsE35device_test_enabled_for_warp_size_vIXT1_EEEvE4typeEPT_S4_S4_S3_
; %bb.0:
	s_load_dword s7, s[4:5], 0x2c
	s_load_dwordx4 s[0:3], s[4:5], 0x0
	s_load_dword s8, s[4:5], 0x18
	v_mov_b32_e32 v2, 0
	v_and_b32_e32 v6, 3, v0
	s_waitcnt lgkmcnt(0)
	s_and_b32 s7, s7, 0xffff
	s_mul_i32 s6, s6, s7
	v_add_u32_e32 v1, s6, v0
	v_lshlrev_b64 v[2:3], 2, v[1:2]
	v_mov_b32_e32 v5, s1
	v_add_co_u32_e32 v4, vcc, s0, v2
	v_addc_co_u32_e32 v5, vcc, v5, v3, vcc
	global_load_dword v4, v[4:5], off
	v_mbcnt_lo_u32_b32 v5, -1, 0
	v_mbcnt_hi_u32_b32 v5, -1, v5
	v_and_b32_e32 v7, 0x7c, v5
	v_add_u32_e32 v9, -1, v5
	v_and_b32_e32 v0, 3, v5
	v_cmp_lt_i32_e32 vcc, v9, v7
	v_lshl_or_b32 v8, v5, 2, 12
	v_cndmask_b32_e32 v5, v9, v5, vcc
	v_cmp_eq_u32_e32 vcc, 0, v0
	v_cmp_lt_u32_e64 s[0:1], 1, v0
	v_lshlrev_b32_e32 v5, 2, v5
	v_mov_b32_e32 v7, s8
	v_mov_b32_e32 v9, s3
	s_waitcnt vmcnt(0)
	v_mov_b32_dpp v10, v4 row_shr:1 row_mask:0xf bank_mask:0xf
	v_cndmask_b32_e64 v10, v10, 0, vcc
	v_add_u32_e32 v4, v10, v4
	s_nop 1
	v_mov_b32_dpp v10, v4 row_shr:2 row_mask:0xf bank_mask:0xf
	v_cndmask_b32_e64 v0, 0, v10, s[0:1]
	v_add_u32_e32 v4, v4, v0
	ds_bpermute_b32 v0, v8, v4
	v_add_u32_e32 v4, s8, v4
	ds_bpermute_b32 v4, v5, v4
	v_add_co_u32_e64 v2, s[0:1], s2, v2
	v_addc_co_u32_e64 v3, s[0:1], v9, v3, s[0:1]
	s_waitcnt lgkmcnt(0)
	v_cndmask_b32_e32 v4, v4, v7, vcc
	v_cmp_eq_u32_e32 vcc, 0, v6
	global_store_dword v[2:3], v4, off
	s_and_saveexec_b64 s[0:1], vcc
	s_cbranch_execz .LBB221_2
; %bb.1:
	s_load_dwordx2 s[0:1], s[4:5], 0x10
	v_and_b32_e32 v1, -4, v1
	s_waitcnt lgkmcnt(0)
	global_store_dword v1, v0, s[0:1]
.LBB221_2:
	s_endpgm
	.section	.rodata,"a",@progbits
	.p2align	6, 0x0
	.amdhsa_kernel _Z33warp_exclusive_scan_reduce_kernelIiLj64ELj4EENSt9enable_ifIXsr10test_utilsE35device_test_enabled_for_warp_size_vIXT1_EEEvE4typeEPT_S4_S4_S3_
		.amdhsa_group_segment_fixed_size 0
		.amdhsa_private_segment_fixed_size 0
		.amdhsa_kernarg_size 288
		.amdhsa_user_sgpr_count 6
		.amdhsa_user_sgpr_private_segment_buffer 1
		.amdhsa_user_sgpr_dispatch_ptr 0
		.amdhsa_user_sgpr_queue_ptr 0
		.amdhsa_user_sgpr_kernarg_segment_ptr 1
		.amdhsa_user_sgpr_dispatch_id 0
		.amdhsa_user_sgpr_flat_scratch_init 0
		.amdhsa_user_sgpr_private_segment_size 0
		.amdhsa_uses_dynamic_stack 0
		.amdhsa_system_sgpr_private_segment_wavefront_offset 0
		.amdhsa_system_sgpr_workgroup_id_x 1
		.amdhsa_system_sgpr_workgroup_id_y 0
		.amdhsa_system_sgpr_workgroup_id_z 0
		.amdhsa_system_sgpr_workgroup_info 0
		.amdhsa_system_vgpr_workitem_id 0
		.amdhsa_next_free_vgpr 11
		.amdhsa_next_free_sgpr 9
		.amdhsa_reserve_vcc 1
		.amdhsa_reserve_flat_scratch 0
		.amdhsa_float_round_mode_32 0
		.amdhsa_float_round_mode_16_64 0
		.amdhsa_float_denorm_mode_32 3
		.amdhsa_float_denorm_mode_16_64 3
		.amdhsa_dx10_clamp 1
		.amdhsa_ieee_mode 1
		.amdhsa_fp16_overflow 0
		.amdhsa_exception_fp_ieee_invalid_op 0
		.amdhsa_exception_fp_denorm_src 0
		.amdhsa_exception_fp_ieee_div_zero 0
		.amdhsa_exception_fp_ieee_overflow 0
		.amdhsa_exception_fp_ieee_underflow 0
		.amdhsa_exception_fp_ieee_inexact 0
		.amdhsa_exception_int_div_zero 0
	.end_amdhsa_kernel
	.section	.text._Z33warp_exclusive_scan_reduce_kernelIiLj64ELj4EENSt9enable_ifIXsr10test_utilsE35device_test_enabled_for_warp_size_vIXT1_EEEvE4typeEPT_S4_S4_S3_,"axG",@progbits,_Z33warp_exclusive_scan_reduce_kernelIiLj64ELj4EENSt9enable_ifIXsr10test_utilsE35device_test_enabled_for_warp_size_vIXT1_EEEvE4typeEPT_S4_S4_S3_,comdat
.Lfunc_end221:
	.size	_Z33warp_exclusive_scan_reduce_kernelIiLj64ELj4EENSt9enable_ifIXsr10test_utilsE35device_test_enabled_for_warp_size_vIXT1_EEEvE4typeEPT_S4_S4_S3_, .Lfunc_end221-_Z33warp_exclusive_scan_reduce_kernelIiLj64ELj4EENSt9enable_ifIXsr10test_utilsE35device_test_enabled_for_warp_size_vIXT1_EEEvE4typeEPT_S4_S4_S3_
                                        ; -- End function
	.set _Z33warp_exclusive_scan_reduce_kernelIiLj64ELj4EENSt9enable_ifIXsr10test_utilsE35device_test_enabled_for_warp_size_vIXT1_EEEvE4typeEPT_S4_S4_S3_.num_vgpr, 11
	.set _Z33warp_exclusive_scan_reduce_kernelIiLj64ELj4EENSt9enable_ifIXsr10test_utilsE35device_test_enabled_for_warp_size_vIXT1_EEEvE4typeEPT_S4_S4_S3_.num_agpr, 0
	.set _Z33warp_exclusive_scan_reduce_kernelIiLj64ELj4EENSt9enable_ifIXsr10test_utilsE35device_test_enabled_for_warp_size_vIXT1_EEEvE4typeEPT_S4_S4_S3_.numbered_sgpr, 9
	.set _Z33warp_exclusive_scan_reduce_kernelIiLj64ELj4EENSt9enable_ifIXsr10test_utilsE35device_test_enabled_for_warp_size_vIXT1_EEEvE4typeEPT_S4_S4_S3_.num_named_barrier, 0
	.set _Z33warp_exclusive_scan_reduce_kernelIiLj64ELj4EENSt9enable_ifIXsr10test_utilsE35device_test_enabled_for_warp_size_vIXT1_EEEvE4typeEPT_S4_S4_S3_.private_seg_size, 0
	.set _Z33warp_exclusive_scan_reduce_kernelIiLj64ELj4EENSt9enable_ifIXsr10test_utilsE35device_test_enabled_for_warp_size_vIXT1_EEEvE4typeEPT_S4_S4_S3_.uses_vcc, 1
	.set _Z33warp_exclusive_scan_reduce_kernelIiLj64ELj4EENSt9enable_ifIXsr10test_utilsE35device_test_enabled_for_warp_size_vIXT1_EEEvE4typeEPT_S4_S4_S3_.uses_flat_scratch, 0
	.set _Z33warp_exclusive_scan_reduce_kernelIiLj64ELj4EENSt9enable_ifIXsr10test_utilsE35device_test_enabled_for_warp_size_vIXT1_EEEvE4typeEPT_S4_S4_S3_.has_dyn_sized_stack, 0
	.set _Z33warp_exclusive_scan_reduce_kernelIiLj64ELj4EENSt9enable_ifIXsr10test_utilsE35device_test_enabled_for_warp_size_vIXT1_EEEvE4typeEPT_S4_S4_S3_.has_recursion, 0
	.set _Z33warp_exclusive_scan_reduce_kernelIiLj64ELj4EENSt9enable_ifIXsr10test_utilsE35device_test_enabled_for_warp_size_vIXT1_EEEvE4typeEPT_S4_S4_S3_.has_indirect_call, 0
	.section	.AMDGPU.csdata,"",@progbits
; Kernel info:
; codeLenInByte = 292
; TotalNumSgprs: 13
; NumVgprs: 11
; ScratchSize: 0
; MemoryBound: 0
; FloatMode: 240
; IeeeMode: 1
; LDSByteSize: 0 bytes/workgroup (compile time only)
; SGPRBlocks: 1
; VGPRBlocks: 2
; NumSGPRsForWavesPerEU: 13
; NumVGPRsForWavesPerEU: 11
; Occupancy: 10
; WaveLimiterHint : 0
; COMPUTE_PGM_RSRC2:SCRATCH_EN: 0
; COMPUTE_PGM_RSRC2:USER_SGPR: 6
; COMPUTE_PGM_RSRC2:TRAP_HANDLER: 0
; COMPUTE_PGM_RSRC2:TGID_X_EN: 1
; COMPUTE_PGM_RSRC2:TGID_Y_EN: 0
; COMPUTE_PGM_RSRC2:TGID_Z_EN: 0
; COMPUTE_PGM_RSRC2:TIDIG_COMP_CNT: 0
	.section	.text._Z33warp_exclusive_scan_reduce_kernelIiLj32ELj2EENSt9enable_ifIXsr10test_utilsE35device_test_enabled_for_warp_size_vIXT1_EEEvE4typeEPT_S4_S4_S3_,"axG",@progbits,_Z33warp_exclusive_scan_reduce_kernelIiLj32ELj2EENSt9enable_ifIXsr10test_utilsE35device_test_enabled_for_warp_size_vIXT1_EEEvE4typeEPT_S4_S4_S3_,comdat
	.protected	_Z33warp_exclusive_scan_reduce_kernelIiLj32ELj2EENSt9enable_ifIXsr10test_utilsE35device_test_enabled_for_warp_size_vIXT1_EEEvE4typeEPT_S4_S4_S3_ ; -- Begin function _Z33warp_exclusive_scan_reduce_kernelIiLj32ELj2EENSt9enable_ifIXsr10test_utilsE35device_test_enabled_for_warp_size_vIXT1_EEEvE4typeEPT_S4_S4_S3_
	.globl	_Z33warp_exclusive_scan_reduce_kernelIiLj32ELj2EENSt9enable_ifIXsr10test_utilsE35device_test_enabled_for_warp_size_vIXT1_EEEvE4typeEPT_S4_S4_S3_
	.p2align	8
	.type	_Z33warp_exclusive_scan_reduce_kernelIiLj32ELj2EENSt9enable_ifIXsr10test_utilsE35device_test_enabled_for_warp_size_vIXT1_EEEvE4typeEPT_S4_S4_S3_,@function
_Z33warp_exclusive_scan_reduce_kernelIiLj32ELj2EENSt9enable_ifIXsr10test_utilsE35device_test_enabled_for_warp_size_vIXT1_EEEvE4typeEPT_S4_S4_S3_: ; @_Z33warp_exclusive_scan_reduce_kernelIiLj32ELj2EENSt9enable_ifIXsr10test_utilsE35device_test_enabled_for_warp_size_vIXT1_EEEvE4typeEPT_S4_S4_S3_
; %bb.0:
	s_load_dword s7, s[4:5], 0x2c
	s_load_dwordx4 s[0:3], s[4:5], 0x0
	s_load_dword s8, s[4:5], 0x18
	v_mov_b32_e32 v2, 0
	v_and_b32_e32 v7, 1, v0
	s_waitcnt lgkmcnt(0)
	s_and_b32 s7, s7, 0xffff
	s_mul_i32 s6, s6, s7
	v_add_u32_e32 v1, s6, v0
	v_lshlrev_b64 v[3:4], 2, v[1:2]
	v_mov_b32_e32 v6, s1
	v_add_co_u32_e32 v5, vcc, s0, v3
	v_addc_co_u32_e32 v6, vcc, v6, v4, vcc
	global_load_dword v5, v[5:6], off
	v_mbcnt_lo_u32_b32 v6, -1, 0
	v_mbcnt_hi_u32_b32 v6, -1, v6
	v_bfe_i32 v0, v6, 0, 1
	v_and_b32_e32 v9, 0x7e, v6
	v_add_u32_e32 v11, -1, v6
	v_cmp_lt_i32_e32 vcc, v11, v9
	v_and_b32_e32 v8, 1, v6
	v_lshl_or_b32 v10, v6, 2, 4
	v_cndmask_b32_e32 v6, v11, v6, vcc
	v_lshlrev_b32_e32 v6, 2, v6
	v_mov_b32_e32 v11, s3
	v_add_co_u32_e32 v3, vcc, s2, v3
	v_addc_co_u32_e32 v4, vcc, v11, v4, vcc
	v_mov_b32_e32 v9, s8
	v_cmp_eq_u32_e32 vcc, 0, v8
	s_waitcnt vmcnt(0)
	v_mov_b32_dpp v12, v5 row_shr:1 row_mask:0xf bank_mask:0xf
	v_and_b32_e32 v0, v0, v12
	v_add_u32_e32 v0, v0, v5
	v_add_u32_e32 v5, s8, v0
	ds_bpermute_b32 v5, v6, v5
	ds_bpermute_b32 v0, v10, v0
	s_waitcnt lgkmcnt(1)
	v_cndmask_b32_e32 v5, v5, v9, vcc
	v_cmp_eq_u32_e32 vcc, 0, v7
	global_store_dword v[3:4], v5, off
	s_and_saveexec_b64 s[0:1], vcc
	s_cbranch_execz .LBB222_2
; %bb.1:
	s_load_dwordx2 s[0:1], s[4:5], 0x10
	v_lshrrev_b32_e32 v1, 1, v1
	v_lshlrev_b64 v[1:2], 2, v[1:2]
	s_waitcnt lgkmcnt(0)
	v_mov_b32_e32 v3, s1
	v_add_co_u32_e32 v1, vcc, s0, v1
	v_addc_co_u32_e32 v2, vcc, v3, v2, vcc
	global_store_dword v[1:2], v0, off
.LBB222_2:
	s_endpgm
	.section	.rodata,"a",@progbits
	.p2align	6, 0x0
	.amdhsa_kernel _Z33warp_exclusive_scan_reduce_kernelIiLj32ELj2EENSt9enable_ifIXsr10test_utilsE35device_test_enabled_for_warp_size_vIXT1_EEEvE4typeEPT_S4_S4_S3_
		.amdhsa_group_segment_fixed_size 0
		.amdhsa_private_segment_fixed_size 0
		.amdhsa_kernarg_size 288
		.amdhsa_user_sgpr_count 6
		.amdhsa_user_sgpr_private_segment_buffer 1
		.amdhsa_user_sgpr_dispatch_ptr 0
		.amdhsa_user_sgpr_queue_ptr 0
		.amdhsa_user_sgpr_kernarg_segment_ptr 1
		.amdhsa_user_sgpr_dispatch_id 0
		.amdhsa_user_sgpr_flat_scratch_init 0
		.amdhsa_user_sgpr_private_segment_size 0
		.amdhsa_uses_dynamic_stack 0
		.amdhsa_system_sgpr_private_segment_wavefront_offset 0
		.amdhsa_system_sgpr_workgroup_id_x 1
		.amdhsa_system_sgpr_workgroup_id_y 0
		.amdhsa_system_sgpr_workgroup_id_z 0
		.amdhsa_system_sgpr_workgroup_info 0
		.amdhsa_system_vgpr_workitem_id 0
		.amdhsa_next_free_vgpr 13
		.amdhsa_next_free_sgpr 9
		.amdhsa_reserve_vcc 1
		.amdhsa_reserve_flat_scratch 0
		.amdhsa_float_round_mode_32 0
		.amdhsa_float_round_mode_16_64 0
		.amdhsa_float_denorm_mode_32 3
		.amdhsa_float_denorm_mode_16_64 3
		.amdhsa_dx10_clamp 1
		.amdhsa_ieee_mode 1
		.amdhsa_fp16_overflow 0
		.amdhsa_exception_fp_ieee_invalid_op 0
		.amdhsa_exception_fp_denorm_src 0
		.amdhsa_exception_fp_ieee_div_zero 0
		.amdhsa_exception_fp_ieee_overflow 0
		.amdhsa_exception_fp_ieee_underflow 0
		.amdhsa_exception_fp_ieee_inexact 0
		.amdhsa_exception_int_div_zero 0
	.end_amdhsa_kernel
	.section	.text._Z33warp_exclusive_scan_reduce_kernelIiLj32ELj2EENSt9enable_ifIXsr10test_utilsE35device_test_enabled_for_warp_size_vIXT1_EEEvE4typeEPT_S4_S4_S3_,"axG",@progbits,_Z33warp_exclusive_scan_reduce_kernelIiLj32ELj2EENSt9enable_ifIXsr10test_utilsE35device_test_enabled_for_warp_size_vIXT1_EEEvE4typeEPT_S4_S4_S3_,comdat
.Lfunc_end222:
	.size	_Z33warp_exclusive_scan_reduce_kernelIiLj32ELj2EENSt9enable_ifIXsr10test_utilsE35device_test_enabled_for_warp_size_vIXT1_EEEvE4typeEPT_S4_S4_S3_, .Lfunc_end222-_Z33warp_exclusive_scan_reduce_kernelIiLj32ELj2EENSt9enable_ifIXsr10test_utilsE35device_test_enabled_for_warp_size_vIXT1_EEEvE4typeEPT_S4_S4_S3_
                                        ; -- End function
	.set _Z33warp_exclusive_scan_reduce_kernelIiLj32ELj2EENSt9enable_ifIXsr10test_utilsE35device_test_enabled_for_warp_size_vIXT1_EEEvE4typeEPT_S4_S4_S3_.num_vgpr, 13
	.set _Z33warp_exclusive_scan_reduce_kernelIiLj32ELj2EENSt9enable_ifIXsr10test_utilsE35device_test_enabled_for_warp_size_vIXT1_EEEvE4typeEPT_S4_S4_S3_.num_agpr, 0
	.set _Z33warp_exclusive_scan_reduce_kernelIiLj32ELj2EENSt9enable_ifIXsr10test_utilsE35device_test_enabled_for_warp_size_vIXT1_EEEvE4typeEPT_S4_S4_S3_.numbered_sgpr, 9
	.set _Z33warp_exclusive_scan_reduce_kernelIiLj32ELj2EENSt9enable_ifIXsr10test_utilsE35device_test_enabled_for_warp_size_vIXT1_EEEvE4typeEPT_S4_S4_S3_.num_named_barrier, 0
	.set _Z33warp_exclusive_scan_reduce_kernelIiLj32ELj2EENSt9enable_ifIXsr10test_utilsE35device_test_enabled_for_warp_size_vIXT1_EEEvE4typeEPT_S4_S4_S3_.private_seg_size, 0
	.set _Z33warp_exclusive_scan_reduce_kernelIiLj32ELj2EENSt9enable_ifIXsr10test_utilsE35device_test_enabled_for_warp_size_vIXT1_EEEvE4typeEPT_S4_S4_S3_.uses_vcc, 1
	.set _Z33warp_exclusive_scan_reduce_kernelIiLj32ELj2EENSt9enable_ifIXsr10test_utilsE35device_test_enabled_for_warp_size_vIXT1_EEEvE4typeEPT_S4_S4_S3_.uses_flat_scratch, 0
	.set _Z33warp_exclusive_scan_reduce_kernelIiLj32ELj2EENSt9enable_ifIXsr10test_utilsE35device_test_enabled_for_warp_size_vIXT1_EEEvE4typeEPT_S4_S4_S3_.has_dyn_sized_stack, 0
	.set _Z33warp_exclusive_scan_reduce_kernelIiLj32ELj2EENSt9enable_ifIXsr10test_utilsE35device_test_enabled_for_warp_size_vIXT1_EEEvE4typeEPT_S4_S4_S3_.has_recursion, 0
	.set _Z33warp_exclusive_scan_reduce_kernelIiLj32ELj2EENSt9enable_ifIXsr10test_utilsE35device_test_enabled_for_warp_size_vIXT1_EEEvE4typeEPT_S4_S4_S3_.has_indirect_call, 0
	.section	.AMDGPU.csdata,"",@progbits
; Kernel info:
; codeLenInByte = 276
; TotalNumSgprs: 13
; NumVgprs: 13
; ScratchSize: 0
; MemoryBound: 0
; FloatMode: 240
; IeeeMode: 1
; LDSByteSize: 0 bytes/workgroup (compile time only)
; SGPRBlocks: 1
; VGPRBlocks: 3
; NumSGPRsForWavesPerEU: 13
; NumVGPRsForWavesPerEU: 13
; Occupancy: 10
; WaveLimiterHint : 0
; COMPUTE_PGM_RSRC2:SCRATCH_EN: 0
; COMPUTE_PGM_RSRC2:USER_SGPR: 6
; COMPUTE_PGM_RSRC2:TRAP_HANDLER: 0
; COMPUTE_PGM_RSRC2:TGID_X_EN: 1
; COMPUTE_PGM_RSRC2:TGID_Y_EN: 0
; COMPUTE_PGM_RSRC2:TGID_Z_EN: 0
; COMPUTE_PGM_RSRC2:TIDIG_COMP_CNT: 0
	.section	.text._Z33warp_exclusive_scan_reduce_kernelIiLj64ELj2EENSt9enable_ifIXsr10test_utilsE35device_test_enabled_for_warp_size_vIXT1_EEEvE4typeEPT_S4_S4_S3_,"axG",@progbits,_Z33warp_exclusive_scan_reduce_kernelIiLj64ELj2EENSt9enable_ifIXsr10test_utilsE35device_test_enabled_for_warp_size_vIXT1_EEEvE4typeEPT_S4_S4_S3_,comdat
	.protected	_Z33warp_exclusive_scan_reduce_kernelIiLj64ELj2EENSt9enable_ifIXsr10test_utilsE35device_test_enabled_for_warp_size_vIXT1_EEEvE4typeEPT_S4_S4_S3_ ; -- Begin function _Z33warp_exclusive_scan_reduce_kernelIiLj64ELj2EENSt9enable_ifIXsr10test_utilsE35device_test_enabled_for_warp_size_vIXT1_EEEvE4typeEPT_S4_S4_S3_
	.globl	_Z33warp_exclusive_scan_reduce_kernelIiLj64ELj2EENSt9enable_ifIXsr10test_utilsE35device_test_enabled_for_warp_size_vIXT1_EEEvE4typeEPT_S4_S4_S3_
	.p2align	8
	.type	_Z33warp_exclusive_scan_reduce_kernelIiLj64ELj2EENSt9enable_ifIXsr10test_utilsE35device_test_enabled_for_warp_size_vIXT1_EEEvE4typeEPT_S4_S4_S3_,@function
_Z33warp_exclusive_scan_reduce_kernelIiLj64ELj2EENSt9enable_ifIXsr10test_utilsE35device_test_enabled_for_warp_size_vIXT1_EEEvE4typeEPT_S4_S4_S3_: ; @_Z33warp_exclusive_scan_reduce_kernelIiLj64ELj2EENSt9enable_ifIXsr10test_utilsE35device_test_enabled_for_warp_size_vIXT1_EEEvE4typeEPT_S4_S4_S3_
; %bb.0:
	s_load_dword s7, s[4:5], 0x2c
	s_load_dwordx4 s[0:3], s[4:5], 0x0
	s_load_dword s8, s[4:5], 0x18
	v_mov_b32_e32 v2, 0
	v_and_b32_e32 v7, 1, v0
	s_waitcnt lgkmcnt(0)
	s_and_b32 s7, s7, 0xffff
	s_mul_i32 s6, s6, s7
	v_add_u32_e32 v1, s6, v0
	v_lshlrev_b64 v[3:4], 2, v[1:2]
	v_mov_b32_e32 v6, s1
	v_add_co_u32_e32 v5, vcc, s0, v3
	v_addc_co_u32_e32 v6, vcc, v6, v4, vcc
	global_load_dword v5, v[5:6], off
	v_mbcnt_lo_u32_b32 v6, -1, 0
	v_mbcnt_hi_u32_b32 v6, -1, v6
	v_bfe_i32 v0, v6, 0, 1
	v_and_b32_e32 v9, 0x7e, v6
	v_add_u32_e32 v11, -1, v6
	v_cmp_lt_i32_e32 vcc, v11, v9
	v_and_b32_e32 v8, 1, v6
	v_lshl_or_b32 v10, v6, 2, 4
	v_cndmask_b32_e32 v6, v11, v6, vcc
	v_lshlrev_b32_e32 v6, 2, v6
	v_mov_b32_e32 v11, s3
	v_add_co_u32_e32 v3, vcc, s2, v3
	v_addc_co_u32_e32 v4, vcc, v11, v4, vcc
	v_mov_b32_e32 v9, s8
	v_cmp_eq_u32_e32 vcc, 0, v8
	s_waitcnt vmcnt(0)
	v_mov_b32_dpp v12, v5 row_shr:1 row_mask:0xf bank_mask:0xf
	v_and_b32_e32 v0, v0, v12
	v_add_u32_e32 v0, v0, v5
	v_add_u32_e32 v5, s8, v0
	ds_bpermute_b32 v5, v6, v5
	ds_bpermute_b32 v0, v10, v0
	s_waitcnt lgkmcnt(1)
	v_cndmask_b32_e32 v5, v5, v9, vcc
	v_cmp_eq_u32_e32 vcc, 0, v7
	global_store_dword v[3:4], v5, off
	s_and_saveexec_b64 s[0:1], vcc
	s_cbranch_execz .LBB223_2
; %bb.1:
	s_load_dwordx2 s[0:1], s[4:5], 0x10
	v_lshrrev_b32_e32 v1, 1, v1
	v_lshlrev_b64 v[1:2], 2, v[1:2]
	s_waitcnt lgkmcnt(0)
	v_mov_b32_e32 v3, s1
	v_add_co_u32_e32 v1, vcc, s0, v1
	v_addc_co_u32_e32 v2, vcc, v3, v2, vcc
	global_store_dword v[1:2], v0, off
.LBB223_2:
	s_endpgm
	.section	.rodata,"a",@progbits
	.p2align	6, 0x0
	.amdhsa_kernel _Z33warp_exclusive_scan_reduce_kernelIiLj64ELj2EENSt9enable_ifIXsr10test_utilsE35device_test_enabled_for_warp_size_vIXT1_EEEvE4typeEPT_S4_S4_S3_
		.amdhsa_group_segment_fixed_size 0
		.amdhsa_private_segment_fixed_size 0
		.amdhsa_kernarg_size 288
		.amdhsa_user_sgpr_count 6
		.amdhsa_user_sgpr_private_segment_buffer 1
		.amdhsa_user_sgpr_dispatch_ptr 0
		.amdhsa_user_sgpr_queue_ptr 0
		.amdhsa_user_sgpr_kernarg_segment_ptr 1
		.amdhsa_user_sgpr_dispatch_id 0
		.amdhsa_user_sgpr_flat_scratch_init 0
		.amdhsa_user_sgpr_private_segment_size 0
		.amdhsa_uses_dynamic_stack 0
		.amdhsa_system_sgpr_private_segment_wavefront_offset 0
		.amdhsa_system_sgpr_workgroup_id_x 1
		.amdhsa_system_sgpr_workgroup_id_y 0
		.amdhsa_system_sgpr_workgroup_id_z 0
		.amdhsa_system_sgpr_workgroup_info 0
		.amdhsa_system_vgpr_workitem_id 0
		.amdhsa_next_free_vgpr 13
		.amdhsa_next_free_sgpr 9
		.amdhsa_reserve_vcc 1
		.amdhsa_reserve_flat_scratch 0
		.amdhsa_float_round_mode_32 0
		.amdhsa_float_round_mode_16_64 0
		.amdhsa_float_denorm_mode_32 3
		.amdhsa_float_denorm_mode_16_64 3
		.amdhsa_dx10_clamp 1
		.amdhsa_ieee_mode 1
		.amdhsa_fp16_overflow 0
		.amdhsa_exception_fp_ieee_invalid_op 0
		.amdhsa_exception_fp_denorm_src 0
		.amdhsa_exception_fp_ieee_div_zero 0
		.amdhsa_exception_fp_ieee_overflow 0
		.amdhsa_exception_fp_ieee_underflow 0
		.amdhsa_exception_fp_ieee_inexact 0
		.amdhsa_exception_int_div_zero 0
	.end_amdhsa_kernel
	.section	.text._Z33warp_exclusive_scan_reduce_kernelIiLj64ELj2EENSt9enable_ifIXsr10test_utilsE35device_test_enabled_for_warp_size_vIXT1_EEEvE4typeEPT_S4_S4_S3_,"axG",@progbits,_Z33warp_exclusive_scan_reduce_kernelIiLj64ELj2EENSt9enable_ifIXsr10test_utilsE35device_test_enabled_for_warp_size_vIXT1_EEEvE4typeEPT_S4_S4_S3_,comdat
.Lfunc_end223:
	.size	_Z33warp_exclusive_scan_reduce_kernelIiLj64ELj2EENSt9enable_ifIXsr10test_utilsE35device_test_enabled_for_warp_size_vIXT1_EEEvE4typeEPT_S4_S4_S3_, .Lfunc_end223-_Z33warp_exclusive_scan_reduce_kernelIiLj64ELj2EENSt9enable_ifIXsr10test_utilsE35device_test_enabled_for_warp_size_vIXT1_EEEvE4typeEPT_S4_S4_S3_
                                        ; -- End function
	.set _Z33warp_exclusive_scan_reduce_kernelIiLj64ELj2EENSt9enable_ifIXsr10test_utilsE35device_test_enabled_for_warp_size_vIXT1_EEEvE4typeEPT_S4_S4_S3_.num_vgpr, 13
	.set _Z33warp_exclusive_scan_reduce_kernelIiLj64ELj2EENSt9enable_ifIXsr10test_utilsE35device_test_enabled_for_warp_size_vIXT1_EEEvE4typeEPT_S4_S4_S3_.num_agpr, 0
	.set _Z33warp_exclusive_scan_reduce_kernelIiLj64ELj2EENSt9enable_ifIXsr10test_utilsE35device_test_enabled_for_warp_size_vIXT1_EEEvE4typeEPT_S4_S4_S3_.numbered_sgpr, 9
	.set _Z33warp_exclusive_scan_reduce_kernelIiLj64ELj2EENSt9enable_ifIXsr10test_utilsE35device_test_enabled_for_warp_size_vIXT1_EEEvE4typeEPT_S4_S4_S3_.num_named_barrier, 0
	.set _Z33warp_exclusive_scan_reduce_kernelIiLj64ELj2EENSt9enable_ifIXsr10test_utilsE35device_test_enabled_for_warp_size_vIXT1_EEEvE4typeEPT_S4_S4_S3_.private_seg_size, 0
	.set _Z33warp_exclusive_scan_reduce_kernelIiLj64ELj2EENSt9enable_ifIXsr10test_utilsE35device_test_enabled_for_warp_size_vIXT1_EEEvE4typeEPT_S4_S4_S3_.uses_vcc, 1
	.set _Z33warp_exclusive_scan_reduce_kernelIiLj64ELj2EENSt9enable_ifIXsr10test_utilsE35device_test_enabled_for_warp_size_vIXT1_EEEvE4typeEPT_S4_S4_S3_.uses_flat_scratch, 0
	.set _Z33warp_exclusive_scan_reduce_kernelIiLj64ELj2EENSt9enable_ifIXsr10test_utilsE35device_test_enabled_for_warp_size_vIXT1_EEEvE4typeEPT_S4_S4_S3_.has_dyn_sized_stack, 0
	.set _Z33warp_exclusive_scan_reduce_kernelIiLj64ELj2EENSt9enable_ifIXsr10test_utilsE35device_test_enabled_for_warp_size_vIXT1_EEEvE4typeEPT_S4_S4_S3_.has_recursion, 0
	.set _Z33warp_exclusive_scan_reduce_kernelIiLj64ELj2EENSt9enable_ifIXsr10test_utilsE35device_test_enabled_for_warp_size_vIXT1_EEEvE4typeEPT_S4_S4_S3_.has_indirect_call, 0
	.section	.AMDGPU.csdata,"",@progbits
; Kernel info:
; codeLenInByte = 276
; TotalNumSgprs: 13
; NumVgprs: 13
; ScratchSize: 0
; MemoryBound: 0
; FloatMode: 240
; IeeeMode: 1
; LDSByteSize: 0 bytes/workgroup (compile time only)
; SGPRBlocks: 1
; VGPRBlocks: 3
; NumSGPRsForWavesPerEU: 13
; NumVGPRsForWavesPerEU: 13
; Occupancy: 10
; WaveLimiterHint : 0
; COMPUTE_PGM_RSRC2:SCRATCH_EN: 0
; COMPUTE_PGM_RSRC2:USER_SGPR: 6
; COMPUTE_PGM_RSRC2:TRAP_HANDLER: 0
; COMPUTE_PGM_RSRC2:TGID_X_EN: 1
; COMPUTE_PGM_RSRC2:TGID_Y_EN: 0
; COMPUTE_PGM_RSRC2:TGID_Z_EN: 0
; COMPUTE_PGM_RSRC2:TIDIG_COMP_CNT: 0
	.section	.text._Z16warp_scan_kernelIfLj1ELj61EENSt9enable_ifIXsr10test_utilsE35device_test_enabled_for_warp_size_vIXT1_EEEvE4typeEPT_S4_S4_S3_,"axG",@progbits,_Z16warp_scan_kernelIfLj1ELj61EENSt9enable_ifIXsr10test_utilsE35device_test_enabled_for_warp_size_vIXT1_EEEvE4typeEPT_S4_S4_S3_,comdat
	.protected	_Z16warp_scan_kernelIfLj1ELj61EENSt9enable_ifIXsr10test_utilsE35device_test_enabled_for_warp_size_vIXT1_EEEvE4typeEPT_S4_S4_S3_ ; -- Begin function _Z16warp_scan_kernelIfLj1ELj61EENSt9enable_ifIXsr10test_utilsE35device_test_enabled_for_warp_size_vIXT1_EEEvE4typeEPT_S4_S4_S3_
	.globl	_Z16warp_scan_kernelIfLj1ELj61EENSt9enable_ifIXsr10test_utilsE35device_test_enabled_for_warp_size_vIXT1_EEEvE4typeEPT_S4_S4_S3_
	.p2align	8
	.type	_Z16warp_scan_kernelIfLj1ELj61EENSt9enable_ifIXsr10test_utilsE35device_test_enabled_for_warp_size_vIXT1_EEEvE4typeEPT_S4_S4_S3_,@function
_Z16warp_scan_kernelIfLj1ELj61EENSt9enable_ifIXsr10test_utilsE35device_test_enabled_for_warp_size_vIXT1_EEEvE4typeEPT_S4_S4_S3_: ; @_Z16warp_scan_kernelIfLj1ELj61EENSt9enable_ifIXsr10test_utilsE35device_test_enabled_for_warp_size_vIXT1_EEEvE4typeEPT_S4_S4_S3_
; %bb.0:
	s_load_dword s8, s[4:5], 0x2c
	s_load_dwordx4 s[0:3], s[4:5], 0x0
	s_mov_b32 s7, 0
	v_mbcnt_lo_u32_b32 v0, -1, 0
	v_mbcnt_hi_u32_b32 v0, -1, v0
	s_waitcnt lgkmcnt(0)
	s_and_b32 s8, s8, 0xffff
	s_mul_i32 s6, s6, s8
	s_lshl_b64 s[6:7], s[6:7], 2
	s_mov_b32 s8, 0x4325c54
	s_add_u32 s0, s0, s6
	v_mul_hi_u32 v1, v0, s8
	s_addc_u32 s1, s1, s7
	s_load_dword s8, s[0:1], 0x0
	v_mul_u32_u24_e32 v1, 61, v1
	v_sub_u32_e32 v0, v0, v1
	v_lshlrev_b32_e32 v2, 2, v0
	s_waitcnt lgkmcnt(0)
	v_mov_b32_e32 v1, s8
	v_cmp_eq_u32_e64 s[0:1], 0, v0
	v_readfirstlane_b32 s12, v0
	ds_write_b32 v2, v1
	v_cmp_ne_u32_e32 vcc, 0, v0
	s_and_b64 s[0:1], s[0:1], exec
	v_add_u32_e32 v1, -4, v2
	; wave barrier
	s_cbranch_scc1 .LBB224_2
; %bb.1:
	ds_read_b32 v0, v1
	s_waitcnt lgkmcnt(0)
	v_add_f32_e32 v0, s8, v0
	s_branch .LBB224_3
.LBB224_2:
	v_mov_b32_e32 v0, s8
.LBB224_3:
	v_cndmask_b32_e64 v3, 0, 1, vcc
	v_cmp_ne_u32_e64 s[0:1], 1, v3
	s_andn2_b64 vcc, exec, vcc
	; wave barrier
	s_cbranch_vccnz .LBB224_5
; %bb.4:
	ds_write_b32 v2, v0
.LBB224_5:
	s_cmp_gt_u32 s12, 1
	s_cselect_b64 s[8:9], -1, 0
	s_cmp_lt_u32 s12, 2
	; wave barrier
	s_cbranch_scc1 .LBB224_7
; %bb.6:
	v_add_u32_e32 v3, -8, v2
	ds_read_b32 v3, v3
	s_waitcnt lgkmcnt(0)
	v_add_f32_e32 v0, v0, v3
.LBB224_7:
	s_andn2_b64 vcc, exec, s[8:9]
	; wave barrier
	s_cbranch_vccnz .LBB224_9
; %bb.8:
	ds_write_b32 v2, v0
.LBB224_9:
	s_cmp_gt_u32 s12, 3
	s_cselect_b64 s[8:9], -1, 0
	s_cmp_lt_u32 s12, 4
	; wave barrier
	s_cbranch_scc1 .LBB224_11
; %bb.10:
	v_add_u32_e32 v3, -16, v2
	ds_read_b32 v3, v3
	s_waitcnt lgkmcnt(0)
	v_add_f32_e32 v0, v0, v3
.LBB224_11:
	s_andn2_b64 vcc, exec, s[8:9]
	; wave barrier
	s_cbranch_vccnz .LBB224_13
; %bb.12:
	ds_write_b32 v2, v0
.LBB224_13:
	s_cmp_gt_u32 s12, 7
	s_cselect_b64 s[8:9], -1, 0
	s_cmp_lt_u32 s12, 8
	; wave barrier
	s_cbranch_scc1 .LBB224_15
; %bb.14:
	v_subrev_u32_e32 v3, 32, v2
	ds_read_b32 v3, v3
	s_waitcnt lgkmcnt(0)
	v_add_f32_e32 v0, v0, v3
.LBB224_15:
	s_andn2_b64 vcc, exec, s[8:9]
	; wave barrier
	s_cbranch_vccnz .LBB224_17
; %bb.16:
	ds_write_b32 v2, v0
.LBB224_17:
	s_cmp_gt_u32 s12, 15
	s_cselect_b64 s[8:9], -1, 0
	s_cmp_lt_u32 s12, 16
	; wave barrier
	s_cbranch_scc1 .LBB224_19
; %bb.18:
	v_subrev_u32_e32 v3, 64, v2
	ds_read_b32 v3, v3
	s_waitcnt lgkmcnt(0)
	v_add_f32_e32 v0, v0, v3
.LBB224_19:
	s_andn2_b64 vcc, exec, s[8:9]
	; wave barrier
	s_cbranch_vccnz .LBB224_21
; %bb.20:
	ds_write_b32 v2, v0
.LBB224_21:
	s_load_dwordx2 s[8:9], s[4:5], 0x10
	s_cmp_gt_u32 s12, 31
	s_cselect_b64 s[10:11], -1, 0
	s_cmp_lt_u32 s12, 32
	; wave barrier
	s_cbranch_scc1 .LBB224_23
; %bb.22:
	v_add_u32_e32 v3, 0xffffff80, v2
	ds_read_b32 v3, v3
	s_waitcnt lgkmcnt(0)
	v_add_f32_e32 v0, v0, v3
.LBB224_23:
	s_andn2_b64 vcc, exec, s[10:11]
	; wave barrier
	s_cbranch_vccnz .LBB224_25
; %bb.24:
	ds_write_b32 v2, v0
.LBB224_25:
	s_load_dword s4, s[4:5], 0x18
	s_and_b64 vcc, exec, s[0:1]
	; wave barrier
	s_cbranch_vccnz .LBB224_27
; %bb.26:
	ds_read_b32 v1, v1
	s_waitcnt lgkmcnt(0)
	v_add_f32_e32 v1, s4, v1
	s_branch .LBB224_28
.LBB224_27:
	s_waitcnt lgkmcnt(0)
	v_mov_b32_e32 v1, s4
.LBB224_28:
	s_add_u32 s0, s2, s6
	v_add_f32_e32 v0, s4, v0
	s_addc_u32 s1, s3, s7
	v_mov_b32_e32 v2, 0
	global_store_dword v2, v0, s[0:1]
	s_add_u32 s0, s8, s6
	s_addc_u32 s1, s9, s7
	global_store_dword v2, v1, s[0:1]
	s_endpgm
	.section	.rodata,"a",@progbits
	.p2align	6, 0x0
	.amdhsa_kernel _Z16warp_scan_kernelIfLj1ELj61EENSt9enable_ifIXsr10test_utilsE35device_test_enabled_for_warp_size_vIXT1_EEEvE4typeEPT_S4_S4_S3_
		.amdhsa_group_segment_fixed_size 244
		.amdhsa_private_segment_fixed_size 0
		.amdhsa_kernarg_size 288
		.amdhsa_user_sgpr_count 6
		.amdhsa_user_sgpr_private_segment_buffer 1
		.amdhsa_user_sgpr_dispatch_ptr 0
		.amdhsa_user_sgpr_queue_ptr 0
		.amdhsa_user_sgpr_kernarg_segment_ptr 1
		.amdhsa_user_sgpr_dispatch_id 0
		.amdhsa_user_sgpr_flat_scratch_init 0
		.amdhsa_user_sgpr_private_segment_size 0
		.amdhsa_uses_dynamic_stack 0
		.amdhsa_system_sgpr_private_segment_wavefront_offset 0
		.amdhsa_system_sgpr_workgroup_id_x 1
		.amdhsa_system_sgpr_workgroup_id_y 0
		.amdhsa_system_sgpr_workgroup_id_z 0
		.amdhsa_system_sgpr_workgroup_info 0
		.amdhsa_system_vgpr_workitem_id 0
		.amdhsa_next_free_vgpr 4
		.amdhsa_next_free_sgpr 13
		.amdhsa_reserve_vcc 1
		.amdhsa_reserve_flat_scratch 0
		.amdhsa_float_round_mode_32 0
		.amdhsa_float_round_mode_16_64 0
		.amdhsa_float_denorm_mode_32 3
		.amdhsa_float_denorm_mode_16_64 3
		.amdhsa_dx10_clamp 1
		.amdhsa_ieee_mode 1
		.amdhsa_fp16_overflow 0
		.amdhsa_exception_fp_ieee_invalid_op 0
		.amdhsa_exception_fp_denorm_src 0
		.amdhsa_exception_fp_ieee_div_zero 0
		.amdhsa_exception_fp_ieee_overflow 0
		.amdhsa_exception_fp_ieee_underflow 0
		.amdhsa_exception_fp_ieee_inexact 0
		.amdhsa_exception_int_div_zero 0
	.end_amdhsa_kernel
	.section	.text._Z16warp_scan_kernelIfLj1ELj61EENSt9enable_ifIXsr10test_utilsE35device_test_enabled_for_warp_size_vIXT1_EEEvE4typeEPT_S4_S4_S3_,"axG",@progbits,_Z16warp_scan_kernelIfLj1ELj61EENSt9enable_ifIXsr10test_utilsE35device_test_enabled_for_warp_size_vIXT1_EEEvE4typeEPT_S4_S4_S3_,comdat
.Lfunc_end224:
	.size	_Z16warp_scan_kernelIfLj1ELj61EENSt9enable_ifIXsr10test_utilsE35device_test_enabled_for_warp_size_vIXT1_EEEvE4typeEPT_S4_S4_S3_, .Lfunc_end224-_Z16warp_scan_kernelIfLj1ELj61EENSt9enable_ifIXsr10test_utilsE35device_test_enabled_for_warp_size_vIXT1_EEEvE4typeEPT_S4_S4_S3_
                                        ; -- End function
	.set _Z16warp_scan_kernelIfLj1ELj61EENSt9enable_ifIXsr10test_utilsE35device_test_enabled_for_warp_size_vIXT1_EEEvE4typeEPT_S4_S4_S3_.num_vgpr, 4
	.set _Z16warp_scan_kernelIfLj1ELj61EENSt9enable_ifIXsr10test_utilsE35device_test_enabled_for_warp_size_vIXT1_EEEvE4typeEPT_S4_S4_S3_.num_agpr, 0
	.set _Z16warp_scan_kernelIfLj1ELj61EENSt9enable_ifIXsr10test_utilsE35device_test_enabled_for_warp_size_vIXT1_EEEvE4typeEPT_S4_S4_S3_.numbered_sgpr, 13
	.set _Z16warp_scan_kernelIfLj1ELj61EENSt9enable_ifIXsr10test_utilsE35device_test_enabled_for_warp_size_vIXT1_EEEvE4typeEPT_S4_S4_S3_.num_named_barrier, 0
	.set _Z16warp_scan_kernelIfLj1ELj61EENSt9enable_ifIXsr10test_utilsE35device_test_enabled_for_warp_size_vIXT1_EEEvE4typeEPT_S4_S4_S3_.private_seg_size, 0
	.set _Z16warp_scan_kernelIfLj1ELj61EENSt9enable_ifIXsr10test_utilsE35device_test_enabled_for_warp_size_vIXT1_EEEvE4typeEPT_S4_S4_S3_.uses_vcc, 1
	.set _Z16warp_scan_kernelIfLj1ELj61EENSt9enable_ifIXsr10test_utilsE35device_test_enabled_for_warp_size_vIXT1_EEEvE4typeEPT_S4_S4_S3_.uses_flat_scratch, 0
	.set _Z16warp_scan_kernelIfLj1ELj61EENSt9enable_ifIXsr10test_utilsE35device_test_enabled_for_warp_size_vIXT1_EEEvE4typeEPT_S4_S4_S3_.has_dyn_sized_stack, 0
	.set _Z16warp_scan_kernelIfLj1ELj61EENSt9enable_ifIXsr10test_utilsE35device_test_enabled_for_warp_size_vIXT1_EEEvE4typeEPT_S4_S4_S3_.has_recursion, 0
	.set _Z16warp_scan_kernelIfLj1ELj61EENSt9enable_ifIXsr10test_utilsE35device_test_enabled_for_warp_size_vIXT1_EEEvE4typeEPT_S4_S4_S3_.has_indirect_call, 0
	.section	.AMDGPU.csdata,"",@progbits
; Kernel info:
; codeLenInByte = 560
; TotalNumSgprs: 17
; NumVgprs: 4
; ScratchSize: 0
; MemoryBound: 0
; FloatMode: 240
; IeeeMode: 1
; LDSByteSize: 244 bytes/workgroup (compile time only)
; SGPRBlocks: 2
; VGPRBlocks: 0
; NumSGPRsForWavesPerEU: 17
; NumVGPRsForWavesPerEU: 4
; Occupancy: 10
; WaveLimiterHint : 0
; COMPUTE_PGM_RSRC2:SCRATCH_EN: 0
; COMPUTE_PGM_RSRC2:USER_SGPR: 6
; COMPUTE_PGM_RSRC2:TRAP_HANDLER: 0
; COMPUTE_PGM_RSRC2:TGID_X_EN: 1
; COMPUTE_PGM_RSRC2:TGID_Y_EN: 0
; COMPUTE_PGM_RSRC2:TGID_Z_EN: 0
; COMPUTE_PGM_RSRC2:TIDIG_COMP_CNT: 0
	.section	.text._Z16warp_scan_kernelIfLj61ELj61EENSt9enable_ifIXsr10test_utilsE35device_test_enabled_for_warp_size_vIXT1_EEEvE4typeEPT_S4_S4_S3_,"axG",@progbits,_Z16warp_scan_kernelIfLj61ELj61EENSt9enable_ifIXsr10test_utilsE35device_test_enabled_for_warp_size_vIXT1_EEEvE4typeEPT_S4_S4_S3_,comdat
	.protected	_Z16warp_scan_kernelIfLj61ELj61EENSt9enable_ifIXsr10test_utilsE35device_test_enabled_for_warp_size_vIXT1_EEEvE4typeEPT_S4_S4_S3_ ; -- Begin function _Z16warp_scan_kernelIfLj61ELj61EENSt9enable_ifIXsr10test_utilsE35device_test_enabled_for_warp_size_vIXT1_EEEvE4typeEPT_S4_S4_S3_
	.globl	_Z16warp_scan_kernelIfLj61ELj61EENSt9enable_ifIXsr10test_utilsE35device_test_enabled_for_warp_size_vIXT1_EEEvE4typeEPT_S4_S4_S3_
	.p2align	8
	.type	_Z16warp_scan_kernelIfLj61ELj61EENSt9enable_ifIXsr10test_utilsE35device_test_enabled_for_warp_size_vIXT1_EEEvE4typeEPT_S4_S4_S3_,@function
_Z16warp_scan_kernelIfLj61ELj61EENSt9enable_ifIXsr10test_utilsE35device_test_enabled_for_warp_size_vIXT1_EEEvE4typeEPT_S4_S4_S3_: ; @_Z16warp_scan_kernelIfLj61ELj61EENSt9enable_ifIXsr10test_utilsE35device_test_enabled_for_warp_size_vIXT1_EEEvE4typeEPT_S4_S4_S3_
; %bb.0:
	s_load_dword s7, s[4:5], 0x2c
	s_load_dwordx4 s[0:3], s[4:5], 0x0
	v_mov_b32_e32 v2, 0
	s_waitcnt lgkmcnt(0)
	s_and_b32 s7, s7, 0xffff
	s_mul_i32 s6, s6, s7
	v_add_u32_e32 v1, s6, v0
	v_lshlrev_b64 v[1:2], 2, v[1:2]
	v_mov_b32_e32 v4, s1
	v_add_co_u32_e32 v3, vcc, s0, v1
	v_addc_co_u32_e32 v4, vcc, v4, v2, vcc
	global_load_dword v3, v[3:4], off
	v_mbcnt_lo_u32_b32 v4, -1, 0
	s_mov_b32 s0, 0x4325c54
	v_mbcnt_hi_u32_b32 v4, -1, v4
	v_mul_hi_u32 v5, v4, s0
	v_mul_u32_u24_e32 v0, 0x433, v0
	s_movk_i32 s0, 0xf4
	v_lshrrev_b32_e32 v0, 16, v0
	v_mul_u32_u24_e32 v5, 61, v5
	v_sub_u32_e32 v5, v4, v5
	v_lshlrev_b32_e32 v4, 2, v5
	v_mad_u32_u24 v4, v0, s0, v4
	v_cmp_ne_u32_e32 vcc, 0, v5
	v_add_u32_e32 v0, -4, v4
	s_waitcnt vmcnt(0)
	ds_write_b32 v4, v3
	; wave barrier
	s_and_saveexec_b64 s[0:1], vcc
	s_cbranch_execz .LBB225_2
; %bb.1:
	ds_read_b32 v6, v0
	s_waitcnt lgkmcnt(0)
	v_add_f32_e32 v3, v3, v6
.LBB225_2:
	s_or_b64 exec, exec, s[0:1]
	; wave barrier
	s_and_saveexec_b64 s[0:1], vcc
; %bb.3:
	ds_write_b32 v4, v3
; %bb.4:
	s_or_b64 exec, exec, s[0:1]
	v_cmp_lt_u32_e64 s[0:1], 1, v5
	; wave barrier
	s_and_saveexec_b64 s[6:7], s[0:1]
	s_cbranch_execz .LBB225_6
; %bb.5:
	v_add_u32_e32 v6, -8, v4
	ds_read_b32 v6, v6
	s_waitcnt lgkmcnt(0)
	v_add_f32_e32 v3, v3, v6
.LBB225_6:
	s_or_b64 exec, exec, s[6:7]
	; wave barrier
	s_and_saveexec_b64 s[6:7], s[0:1]
; %bb.7:
	ds_write_b32 v4, v3
; %bb.8:
	s_or_b64 exec, exec, s[6:7]
	v_cmp_lt_u32_e64 s[0:1], 3, v5
	; wave barrier
	s_and_saveexec_b64 s[6:7], s[0:1]
	s_cbranch_execz .LBB225_10
; %bb.9:
	v_add_u32_e32 v6, -16, v4
	ds_read_b32 v6, v6
	s_waitcnt lgkmcnt(0)
	v_add_f32_e32 v3, v3, v6
.LBB225_10:
	s_or_b64 exec, exec, s[6:7]
	; wave barrier
	s_and_saveexec_b64 s[6:7], s[0:1]
; %bb.11:
	ds_write_b32 v4, v3
; %bb.12:
	s_or_b64 exec, exec, s[6:7]
	v_cmp_lt_u32_e64 s[0:1], 7, v5
	; wave barrier
	s_and_saveexec_b64 s[6:7], s[0:1]
	s_cbranch_execz .LBB225_14
; %bb.13:
	v_subrev_u32_e32 v6, 32, v4
	ds_read_b32 v6, v6
	s_waitcnt lgkmcnt(0)
	v_add_f32_e32 v3, v3, v6
.LBB225_14:
	s_or_b64 exec, exec, s[6:7]
	; wave barrier
	s_and_saveexec_b64 s[6:7], s[0:1]
; %bb.15:
	ds_write_b32 v4, v3
; %bb.16:
	s_or_b64 exec, exec, s[6:7]
	v_cmp_lt_u32_e64 s[0:1], 15, v5
	; wave barrier
	s_and_saveexec_b64 s[6:7], s[0:1]
	s_cbranch_execz .LBB225_18
; %bb.17:
	v_subrev_u32_e32 v6, 64, v4
	ds_read_b32 v6, v6
	s_waitcnt lgkmcnt(0)
	v_add_f32_e32 v3, v3, v6
.LBB225_18:
	s_or_b64 exec, exec, s[6:7]
	; wave barrier
	s_and_saveexec_b64 s[6:7], s[0:1]
; %bb.19:
	ds_write_b32 v4, v3
; %bb.20:
	s_or_b64 exec, exec, s[6:7]
	s_load_dwordx2 s[6:7], s[4:5], 0x10
	v_cmp_lt_u32_e64 s[0:1], 31, v5
	; wave barrier
	s_and_saveexec_b64 s[8:9], s[0:1]
	s_cbranch_execz .LBB225_22
; %bb.21:
	v_add_u32_e32 v5, 0xffffff80, v4
	ds_read_b32 v5, v5
	s_waitcnt lgkmcnt(0)
	v_add_f32_e32 v3, v3, v5
.LBB225_22:
	s_or_b64 exec, exec, s[8:9]
	; wave barrier
	s_and_saveexec_b64 s[8:9], s[0:1]
; %bb.23:
	ds_write_b32 v4, v3
; %bb.24:
	s_or_b64 exec, exec, s[8:9]
	s_load_dword s4, s[4:5], 0x18
	; wave barrier
	s_waitcnt lgkmcnt(0)
	v_mov_b32_e32 v4, s4
	s_and_saveexec_b64 s[0:1], vcc
	s_cbranch_execz .LBB225_26
; %bb.25:
	ds_read_b32 v0, v0
	s_waitcnt lgkmcnt(0)
	v_add_f32_e32 v4, s4, v0
.LBB225_26:
	s_or_b64 exec, exec, s[0:1]
	v_add_f32_e32 v0, s4, v3
	v_mov_b32_e32 v3, s3
	v_add_co_u32_e32 v5, vcc, s2, v1
	v_addc_co_u32_e32 v6, vcc, v3, v2, vcc
	global_store_dword v[5:6], v0, off
	v_mov_b32_e32 v3, s7
	v_add_co_u32_e32 v0, vcc, s6, v1
	v_addc_co_u32_e32 v1, vcc, v3, v2, vcc
	global_store_dword v[0:1], v4, off
	s_endpgm
	.section	.rodata,"a",@progbits
	.p2align	6, 0x0
	.amdhsa_kernel _Z16warp_scan_kernelIfLj61ELj61EENSt9enable_ifIXsr10test_utilsE35device_test_enabled_for_warp_size_vIXT1_EEEvE4typeEPT_S4_S4_S3_
		.amdhsa_group_segment_fixed_size 244
		.amdhsa_private_segment_fixed_size 0
		.amdhsa_kernarg_size 288
		.amdhsa_user_sgpr_count 6
		.amdhsa_user_sgpr_private_segment_buffer 1
		.amdhsa_user_sgpr_dispatch_ptr 0
		.amdhsa_user_sgpr_queue_ptr 0
		.amdhsa_user_sgpr_kernarg_segment_ptr 1
		.amdhsa_user_sgpr_dispatch_id 0
		.amdhsa_user_sgpr_flat_scratch_init 0
		.amdhsa_user_sgpr_private_segment_size 0
		.amdhsa_uses_dynamic_stack 0
		.amdhsa_system_sgpr_private_segment_wavefront_offset 0
		.amdhsa_system_sgpr_workgroup_id_x 1
		.amdhsa_system_sgpr_workgroup_id_y 0
		.amdhsa_system_sgpr_workgroup_id_z 0
		.amdhsa_system_sgpr_workgroup_info 0
		.amdhsa_system_vgpr_workitem_id 0
		.amdhsa_next_free_vgpr 7
		.amdhsa_next_free_sgpr 10
		.amdhsa_reserve_vcc 1
		.amdhsa_reserve_flat_scratch 0
		.amdhsa_float_round_mode_32 0
		.amdhsa_float_round_mode_16_64 0
		.amdhsa_float_denorm_mode_32 3
		.amdhsa_float_denorm_mode_16_64 3
		.amdhsa_dx10_clamp 1
		.amdhsa_ieee_mode 1
		.amdhsa_fp16_overflow 0
		.amdhsa_exception_fp_ieee_invalid_op 0
		.amdhsa_exception_fp_denorm_src 0
		.amdhsa_exception_fp_ieee_div_zero 0
		.amdhsa_exception_fp_ieee_overflow 0
		.amdhsa_exception_fp_ieee_underflow 0
		.amdhsa_exception_fp_ieee_inexact 0
		.amdhsa_exception_int_div_zero 0
	.end_amdhsa_kernel
	.section	.text._Z16warp_scan_kernelIfLj61ELj61EENSt9enable_ifIXsr10test_utilsE35device_test_enabled_for_warp_size_vIXT1_EEEvE4typeEPT_S4_S4_S3_,"axG",@progbits,_Z16warp_scan_kernelIfLj61ELj61EENSt9enable_ifIXsr10test_utilsE35device_test_enabled_for_warp_size_vIXT1_EEEvE4typeEPT_S4_S4_S3_,comdat
.Lfunc_end225:
	.size	_Z16warp_scan_kernelIfLj61ELj61EENSt9enable_ifIXsr10test_utilsE35device_test_enabled_for_warp_size_vIXT1_EEEvE4typeEPT_S4_S4_S3_, .Lfunc_end225-_Z16warp_scan_kernelIfLj61ELj61EENSt9enable_ifIXsr10test_utilsE35device_test_enabled_for_warp_size_vIXT1_EEEvE4typeEPT_S4_S4_S3_
                                        ; -- End function
	.set _Z16warp_scan_kernelIfLj61ELj61EENSt9enable_ifIXsr10test_utilsE35device_test_enabled_for_warp_size_vIXT1_EEEvE4typeEPT_S4_S4_S3_.num_vgpr, 7
	.set _Z16warp_scan_kernelIfLj61ELj61EENSt9enable_ifIXsr10test_utilsE35device_test_enabled_for_warp_size_vIXT1_EEEvE4typeEPT_S4_S4_S3_.num_agpr, 0
	.set _Z16warp_scan_kernelIfLj61ELj61EENSt9enable_ifIXsr10test_utilsE35device_test_enabled_for_warp_size_vIXT1_EEEvE4typeEPT_S4_S4_S3_.numbered_sgpr, 10
	.set _Z16warp_scan_kernelIfLj61ELj61EENSt9enable_ifIXsr10test_utilsE35device_test_enabled_for_warp_size_vIXT1_EEEvE4typeEPT_S4_S4_S3_.num_named_barrier, 0
	.set _Z16warp_scan_kernelIfLj61ELj61EENSt9enable_ifIXsr10test_utilsE35device_test_enabled_for_warp_size_vIXT1_EEEvE4typeEPT_S4_S4_S3_.private_seg_size, 0
	.set _Z16warp_scan_kernelIfLj61ELj61EENSt9enable_ifIXsr10test_utilsE35device_test_enabled_for_warp_size_vIXT1_EEEvE4typeEPT_S4_S4_S3_.uses_vcc, 1
	.set _Z16warp_scan_kernelIfLj61ELj61EENSt9enable_ifIXsr10test_utilsE35device_test_enabled_for_warp_size_vIXT1_EEEvE4typeEPT_S4_S4_S3_.uses_flat_scratch, 0
	.set _Z16warp_scan_kernelIfLj61ELj61EENSt9enable_ifIXsr10test_utilsE35device_test_enabled_for_warp_size_vIXT1_EEEvE4typeEPT_S4_S4_S3_.has_dyn_sized_stack, 0
	.set _Z16warp_scan_kernelIfLj61ELj61EENSt9enable_ifIXsr10test_utilsE35device_test_enabled_for_warp_size_vIXT1_EEEvE4typeEPT_S4_S4_S3_.has_recursion, 0
	.set _Z16warp_scan_kernelIfLj61ELj61EENSt9enable_ifIXsr10test_utilsE35device_test_enabled_for_warp_size_vIXT1_EEEvE4typeEPT_S4_S4_S3_.has_indirect_call, 0
	.section	.AMDGPU.csdata,"",@progbits
; Kernel info:
; codeLenInByte = 584
; TotalNumSgprs: 14
; NumVgprs: 7
; ScratchSize: 0
; MemoryBound: 0
; FloatMode: 240
; IeeeMode: 1
; LDSByteSize: 244 bytes/workgroup (compile time only)
; SGPRBlocks: 1
; VGPRBlocks: 1
; NumSGPRsForWavesPerEU: 14
; NumVGPRsForWavesPerEU: 7
; Occupancy: 10
; WaveLimiterHint : 0
; COMPUTE_PGM_RSRC2:SCRATCH_EN: 0
; COMPUTE_PGM_RSRC2:USER_SGPR: 6
; COMPUTE_PGM_RSRC2:TRAP_HANDLER: 0
; COMPUTE_PGM_RSRC2:TGID_X_EN: 1
; COMPUTE_PGM_RSRC2:TGID_Y_EN: 0
; COMPUTE_PGM_RSRC2:TGID_Z_EN: 0
; COMPUTE_PGM_RSRC2:TIDIG_COMP_CNT: 0
	.section	.text._Z16warp_scan_kernelIfLj1ELj37EENSt9enable_ifIXsr10test_utilsE35device_test_enabled_for_warp_size_vIXT1_EEEvE4typeEPT_S4_S4_S3_,"axG",@progbits,_Z16warp_scan_kernelIfLj1ELj37EENSt9enable_ifIXsr10test_utilsE35device_test_enabled_for_warp_size_vIXT1_EEEvE4typeEPT_S4_S4_S3_,comdat
	.protected	_Z16warp_scan_kernelIfLj1ELj37EENSt9enable_ifIXsr10test_utilsE35device_test_enabled_for_warp_size_vIXT1_EEEvE4typeEPT_S4_S4_S3_ ; -- Begin function _Z16warp_scan_kernelIfLj1ELj37EENSt9enable_ifIXsr10test_utilsE35device_test_enabled_for_warp_size_vIXT1_EEEvE4typeEPT_S4_S4_S3_
	.globl	_Z16warp_scan_kernelIfLj1ELj37EENSt9enable_ifIXsr10test_utilsE35device_test_enabled_for_warp_size_vIXT1_EEEvE4typeEPT_S4_S4_S3_
	.p2align	8
	.type	_Z16warp_scan_kernelIfLj1ELj37EENSt9enable_ifIXsr10test_utilsE35device_test_enabled_for_warp_size_vIXT1_EEEvE4typeEPT_S4_S4_S3_,@function
_Z16warp_scan_kernelIfLj1ELj37EENSt9enable_ifIXsr10test_utilsE35device_test_enabled_for_warp_size_vIXT1_EEEvE4typeEPT_S4_S4_S3_: ; @_Z16warp_scan_kernelIfLj1ELj37EENSt9enable_ifIXsr10test_utilsE35device_test_enabled_for_warp_size_vIXT1_EEEvE4typeEPT_S4_S4_S3_
; %bb.0:
	s_load_dword s8, s[4:5], 0x2c
	s_load_dwordx4 s[0:3], s[4:5], 0x0
	s_mov_b32 s7, 0
	v_mbcnt_lo_u32_b32 v0, -1, 0
	v_mbcnt_hi_u32_b32 v0, -1, v0
	s_waitcnt lgkmcnt(0)
	s_and_b32 s8, s8, 0xffff
	s_mul_i32 s6, s6, s8
	s_lshl_b64 s[6:7], s[6:7], 2
	s_mov_b32 s8, 0x6eb3e46
	s_add_u32 s0, s0, s6
	v_mul_hi_u32 v1, v0, s8
	s_addc_u32 s1, s1, s7
	s_load_dword s8, s[0:1], 0x0
	v_mul_u32_u24_e32 v1, 37, v1
	v_sub_u32_e32 v0, v0, v1
	v_lshlrev_b32_e32 v2, 2, v0
	s_waitcnt lgkmcnt(0)
	v_mov_b32_e32 v1, s8
	v_cmp_eq_u32_e64 s[0:1], 0, v0
	v_readfirstlane_b32 s12, v0
	ds_write_b32 v2, v1
	v_cmp_ne_u32_e32 vcc, 0, v0
	s_and_b64 s[0:1], s[0:1], exec
	v_add_u32_e32 v1, -4, v2
	; wave barrier
	s_cbranch_scc1 .LBB226_2
; %bb.1:
	ds_read_b32 v0, v1
	s_waitcnt lgkmcnt(0)
	v_add_f32_e32 v0, s8, v0
	s_branch .LBB226_3
.LBB226_2:
	v_mov_b32_e32 v0, s8
.LBB226_3:
	v_cndmask_b32_e64 v3, 0, 1, vcc
	v_cmp_ne_u32_e64 s[0:1], 1, v3
	s_andn2_b64 vcc, exec, vcc
	; wave barrier
	s_cbranch_vccnz .LBB226_5
; %bb.4:
	ds_write_b32 v2, v0
.LBB226_5:
	s_cmp_gt_u32 s12, 1
	s_cselect_b64 s[8:9], -1, 0
	s_cmp_lt_u32 s12, 2
	; wave barrier
	s_cbranch_scc1 .LBB226_7
; %bb.6:
	v_add_u32_e32 v3, -8, v2
	ds_read_b32 v3, v3
	s_waitcnt lgkmcnt(0)
	v_add_f32_e32 v0, v0, v3
.LBB226_7:
	s_andn2_b64 vcc, exec, s[8:9]
	; wave barrier
	s_cbranch_vccnz .LBB226_9
; %bb.8:
	ds_write_b32 v2, v0
.LBB226_9:
	s_cmp_gt_u32 s12, 3
	s_cselect_b64 s[8:9], -1, 0
	s_cmp_lt_u32 s12, 4
	; wave barrier
	s_cbranch_scc1 .LBB226_11
; %bb.10:
	v_add_u32_e32 v3, -16, v2
	ds_read_b32 v3, v3
	s_waitcnt lgkmcnt(0)
	v_add_f32_e32 v0, v0, v3
.LBB226_11:
	s_andn2_b64 vcc, exec, s[8:9]
	; wave barrier
	s_cbranch_vccnz .LBB226_13
; %bb.12:
	ds_write_b32 v2, v0
.LBB226_13:
	s_cmp_gt_u32 s12, 7
	s_cselect_b64 s[8:9], -1, 0
	s_cmp_lt_u32 s12, 8
	; wave barrier
	s_cbranch_scc1 .LBB226_15
; %bb.14:
	v_subrev_u32_e32 v3, 32, v2
	ds_read_b32 v3, v3
	s_waitcnt lgkmcnt(0)
	v_add_f32_e32 v0, v0, v3
.LBB226_15:
	s_andn2_b64 vcc, exec, s[8:9]
	; wave barrier
	s_cbranch_vccnz .LBB226_17
; %bb.16:
	ds_write_b32 v2, v0
.LBB226_17:
	s_cmp_gt_u32 s12, 15
	s_cselect_b64 s[8:9], -1, 0
	s_cmp_lt_u32 s12, 16
	; wave barrier
	s_cbranch_scc1 .LBB226_19
; %bb.18:
	v_subrev_u32_e32 v3, 64, v2
	ds_read_b32 v3, v3
	s_waitcnt lgkmcnt(0)
	v_add_f32_e32 v0, v0, v3
.LBB226_19:
	s_andn2_b64 vcc, exec, s[8:9]
	; wave barrier
	s_cbranch_vccnz .LBB226_21
; %bb.20:
	ds_write_b32 v2, v0
.LBB226_21:
	s_load_dwordx2 s[8:9], s[4:5], 0x10
	s_cmp_gt_u32 s12, 31
	s_cselect_b64 s[10:11], -1, 0
	s_cmp_lt_u32 s12, 32
	; wave barrier
	s_cbranch_scc1 .LBB226_23
; %bb.22:
	v_add_u32_e32 v3, 0xffffff80, v2
	ds_read_b32 v3, v3
	s_waitcnt lgkmcnt(0)
	v_add_f32_e32 v0, v0, v3
.LBB226_23:
	s_andn2_b64 vcc, exec, s[10:11]
	; wave barrier
	s_cbranch_vccnz .LBB226_25
; %bb.24:
	ds_write_b32 v2, v0
.LBB226_25:
	s_load_dword s4, s[4:5], 0x18
	s_and_b64 vcc, exec, s[0:1]
	; wave barrier
	s_cbranch_vccnz .LBB226_27
; %bb.26:
	ds_read_b32 v1, v1
	s_waitcnt lgkmcnt(0)
	v_add_f32_e32 v1, s4, v1
	s_branch .LBB226_28
.LBB226_27:
	s_waitcnt lgkmcnt(0)
	v_mov_b32_e32 v1, s4
.LBB226_28:
	s_add_u32 s0, s2, s6
	v_add_f32_e32 v0, s4, v0
	s_addc_u32 s1, s3, s7
	v_mov_b32_e32 v2, 0
	global_store_dword v2, v0, s[0:1]
	s_add_u32 s0, s8, s6
	s_addc_u32 s1, s9, s7
	global_store_dword v2, v1, s[0:1]
	s_endpgm
	.section	.rodata,"a",@progbits
	.p2align	6, 0x0
	.amdhsa_kernel _Z16warp_scan_kernelIfLj1ELj37EENSt9enable_ifIXsr10test_utilsE35device_test_enabled_for_warp_size_vIXT1_EEEvE4typeEPT_S4_S4_S3_
		.amdhsa_group_segment_fixed_size 148
		.amdhsa_private_segment_fixed_size 0
		.amdhsa_kernarg_size 288
		.amdhsa_user_sgpr_count 6
		.amdhsa_user_sgpr_private_segment_buffer 1
		.amdhsa_user_sgpr_dispatch_ptr 0
		.amdhsa_user_sgpr_queue_ptr 0
		.amdhsa_user_sgpr_kernarg_segment_ptr 1
		.amdhsa_user_sgpr_dispatch_id 0
		.amdhsa_user_sgpr_flat_scratch_init 0
		.amdhsa_user_sgpr_private_segment_size 0
		.amdhsa_uses_dynamic_stack 0
		.amdhsa_system_sgpr_private_segment_wavefront_offset 0
		.amdhsa_system_sgpr_workgroup_id_x 1
		.amdhsa_system_sgpr_workgroup_id_y 0
		.amdhsa_system_sgpr_workgroup_id_z 0
		.amdhsa_system_sgpr_workgroup_info 0
		.amdhsa_system_vgpr_workitem_id 0
		.amdhsa_next_free_vgpr 4
		.amdhsa_next_free_sgpr 13
		.amdhsa_reserve_vcc 1
		.amdhsa_reserve_flat_scratch 0
		.amdhsa_float_round_mode_32 0
		.amdhsa_float_round_mode_16_64 0
		.amdhsa_float_denorm_mode_32 3
		.amdhsa_float_denorm_mode_16_64 3
		.amdhsa_dx10_clamp 1
		.amdhsa_ieee_mode 1
		.amdhsa_fp16_overflow 0
		.amdhsa_exception_fp_ieee_invalid_op 0
		.amdhsa_exception_fp_denorm_src 0
		.amdhsa_exception_fp_ieee_div_zero 0
		.amdhsa_exception_fp_ieee_overflow 0
		.amdhsa_exception_fp_ieee_underflow 0
		.amdhsa_exception_fp_ieee_inexact 0
		.amdhsa_exception_int_div_zero 0
	.end_amdhsa_kernel
	.section	.text._Z16warp_scan_kernelIfLj1ELj37EENSt9enable_ifIXsr10test_utilsE35device_test_enabled_for_warp_size_vIXT1_EEEvE4typeEPT_S4_S4_S3_,"axG",@progbits,_Z16warp_scan_kernelIfLj1ELj37EENSt9enable_ifIXsr10test_utilsE35device_test_enabled_for_warp_size_vIXT1_EEEvE4typeEPT_S4_S4_S3_,comdat
.Lfunc_end226:
	.size	_Z16warp_scan_kernelIfLj1ELj37EENSt9enable_ifIXsr10test_utilsE35device_test_enabled_for_warp_size_vIXT1_EEEvE4typeEPT_S4_S4_S3_, .Lfunc_end226-_Z16warp_scan_kernelIfLj1ELj37EENSt9enable_ifIXsr10test_utilsE35device_test_enabled_for_warp_size_vIXT1_EEEvE4typeEPT_S4_S4_S3_
                                        ; -- End function
	.set _Z16warp_scan_kernelIfLj1ELj37EENSt9enable_ifIXsr10test_utilsE35device_test_enabled_for_warp_size_vIXT1_EEEvE4typeEPT_S4_S4_S3_.num_vgpr, 4
	.set _Z16warp_scan_kernelIfLj1ELj37EENSt9enable_ifIXsr10test_utilsE35device_test_enabled_for_warp_size_vIXT1_EEEvE4typeEPT_S4_S4_S3_.num_agpr, 0
	.set _Z16warp_scan_kernelIfLj1ELj37EENSt9enable_ifIXsr10test_utilsE35device_test_enabled_for_warp_size_vIXT1_EEEvE4typeEPT_S4_S4_S3_.numbered_sgpr, 13
	.set _Z16warp_scan_kernelIfLj1ELj37EENSt9enable_ifIXsr10test_utilsE35device_test_enabled_for_warp_size_vIXT1_EEEvE4typeEPT_S4_S4_S3_.num_named_barrier, 0
	.set _Z16warp_scan_kernelIfLj1ELj37EENSt9enable_ifIXsr10test_utilsE35device_test_enabled_for_warp_size_vIXT1_EEEvE4typeEPT_S4_S4_S3_.private_seg_size, 0
	.set _Z16warp_scan_kernelIfLj1ELj37EENSt9enable_ifIXsr10test_utilsE35device_test_enabled_for_warp_size_vIXT1_EEEvE4typeEPT_S4_S4_S3_.uses_vcc, 1
	.set _Z16warp_scan_kernelIfLj1ELj37EENSt9enable_ifIXsr10test_utilsE35device_test_enabled_for_warp_size_vIXT1_EEEvE4typeEPT_S4_S4_S3_.uses_flat_scratch, 0
	.set _Z16warp_scan_kernelIfLj1ELj37EENSt9enable_ifIXsr10test_utilsE35device_test_enabled_for_warp_size_vIXT1_EEEvE4typeEPT_S4_S4_S3_.has_dyn_sized_stack, 0
	.set _Z16warp_scan_kernelIfLj1ELj37EENSt9enable_ifIXsr10test_utilsE35device_test_enabled_for_warp_size_vIXT1_EEEvE4typeEPT_S4_S4_S3_.has_recursion, 0
	.set _Z16warp_scan_kernelIfLj1ELj37EENSt9enable_ifIXsr10test_utilsE35device_test_enabled_for_warp_size_vIXT1_EEEvE4typeEPT_S4_S4_S3_.has_indirect_call, 0
	.section	.AMDGPU.csdata,"",@progbits
; Kernel info:
; codeLenInByte = 560
; TotalNumSgprs: 17
; NumVgprs: 4
; ScratchSize: 0
; MemoryBound: 0
; FloatMode: 240
; IeeeMode: 1
; LDSByteSize: 148 bytes/workgroup (compile time only)
; SGPRBlocks: 2
; VGPRBlocks: 0
; NumSGPRsForWavesPerEU: 17
; NumVGPRsForWavesPerEU: 4
; Occupancy: 10
; WaveLimiterHint : 0
; COMPUTE_PGM_RSRC2:SCRATCH_EN: 0
; COMPUTE_PGM_RSRC2:USER_SGPR: 6
; COMPUTE_PGM_RSRC2:TRAP_HANDLER: 0
; COMPUTE_PGM_RSRC2:TGID_X_EN: 1
; COMPUTE_PGM_RSRC2:TGID_Y_EN: 0
; COMPUTE_PGM_RSRC2:TGID_Z_EN: 0
; COMPUTE_PGM_RSRC2:TIDIG_COMP_CNT: 0
	.section	.text._Z16warp_scan_kernelIfLj37ELj37EENSt9enable_ifIXsr10test_utilsE35device_test_enabled_for_warp_size_vIXT1_EEEvE4typeEPT_S4_S4_S3_,"axG",@progbits,_Z16warp_scan_kernelIfLj37ELj37EENSt9enable_ifIXsr10test_utilsE35device_test_enabled_for_warp_size_vIXT1_EEEvE4typeEPT_S4_S4_S3_,comdat
	.protected	_Z16warp_scan_kernelIfLj37ELj37EENSt9enable_ifIXsr10test_utilsE35device_test_enabled_for_warp_size_vIXT1_EEEvE4typeEPT_S4_S4_S3_ ; -- Begin function _Z16warp_scan_kernelIfLj37ELj37EENSt9enable_ifIXsr10test_utilsE35device_test_enabled_for_warp_size_vIXT1_EEEvE4typeEPT_S4_S4_S3_
	.globl	_Z16warp_scan_kernelIfLj37ELj37EENSt9enable_ifIXsr10test_utilsE35device_test_enabled_for_warp_size_vIXT1_EEEvE4typeEPT_S4_S4_S3_
	.p2align	8
	.type	_Z16warp_scan_kernelIfLj37ELj37EENSt9enable_ifIXsr10test_utilsE35device_test_enabled_for_warp_size_vIXT1_EEEvE4typeEPT_S4_S4_S3_,@function
_Z16warp_scan_kernelIfLj37ELj37EENSt9enable_ifIXsr10test_utilsE35device_test_enabled_for_warp_size_vIXT1_EEEvE4typeEPT_S4_S4_S3_: ; @_Z16warp_scan_kernelIfLj37ELj37EENSt9enable_ifIXsr10test_utilsE35device_test_enabled_for_warp_size_vIXT1_EEEvE4typeEPT_S4_S4_S3_
; %bb.0:
	s_load_dword s7, s[4:5], 0x2c
	s_load_dwordx4 s[0:3], s[4:5], 0x0
	v_mov_b32_e32 v2, 0
	s_waitcnt lgkmcnt(0)
	s_and_b32 s7, s7, 0xffff
	s_mul_i32 s6, s6, s7
	v_add_u32_e32 v1, s6, v0
	v_lshlrev_b64 v[1:2], 2, v[1:2]
	v_mov_b32_e32 v4, s1
	v_add_co_u32_e32 v3, vcc, s0, v1
	v_addc_co_u32_e32 v4, vcc, v4, v2, vcc
	global_load_dword v3, v[3:4], off
	v_mbcnt_lo_u32_b32 v4, -1, 0
	s_mov_b32 s0, 0x6eb3e46
	v_mbcnt_hi_u32_b32 v4, -1, v4
	v_mul_hi_u32 v5, v4, s0
	v_mul_u32_u24_e32 v0, 0x6ec, v0
	s_movk_i32 s0, 0x94
	v_lshrrev_b32_e32 v0, 16, v0
	v_mul_u32_u24_e32 v5, 37, v5
	v_sub_u32_e32 v5, v4, v5
	v_lshlrev_b32_e32 v4, 2, v5
	v_mad_u32_u24 v4, v0, s0, v4
	v_cmp_ne_u32_e32 vcc, 0, v5
	v_add_u32_e32 v0, -4, v4
	s_waitcnt vmcnt(0)
	ds_write_b32 v4, v3
	; wave barrier
	s_and_saveexec_b64 s[0:1], vcc
	s_cbranch_execz .LBB227_2
; %bb.1:
	ds_read_b32 v6, v0
	s_waitcnt lgkmcnt(0)
	v_add_f32_e32 v3, v3, v6
.LBB227_2:
	s_or_b64 exec, exec, s[0:1]
	; wave barrier
	s_and_saveexec_b64 s[0:1], vcc
; %bb.3:
	ds_write_b32 v4, v3
; %bb.4:
	s_or_b64 exec, exec, s[0:1]
	v_cmp_lt_u32_e64 s[0:1], 1, v5
	; wave barrier
	s_and_saveexec_b64 s[6:7], s[0:1]
	s_cbranch_execz .LBB227_6
; %bb.5:
	v_add_u32_e32 v6, -8, v4
	ds_read_b32 v6, v6
	s_waitcnt lgkmcnt(0)
	v_add_f32_e32 v3, v3, v6
.LBB227_6:
	s_or_b64 exec, exec, s[6:7]
	; wave barrier
	s_and_saveexec_b64 s[6:7], s[0:1]
; %bb.7:
	ds_write_b32 v4, v3
; %bb.8:
	s_or_b64 exec, exec, s[6:7]
	v_cmp_lt_u32_e64 s[0:1], 3, v5
	; wave barrier
	s_and_saveexec_b64 s[6:7], s[0:1]
	s_cbranch_execz .LBB227_10
; %bb.9:
	v_add_u32_e32 v6, -16, v4
	ds_read_b32 v6, v6
	s_waitcnt lgkmcnt(0)
	v_add_f32_e32 v3, v3, v6
.LBB227_10:
	s_or_b64 exec, exec, s[6:7]
	; wave barrier
	s_and_saveexec_b64 s[6:7], s[0:1]
; %bb.11:
	ds_write_b32 v4, v3
; %bb.12:
	s_or_b64 exec, exec, s[6:7]
	v_cmp_lt_u32_e64 s[0:1], 7, v5
	; wave barrier
	s_and_saveexec_b64 s[6:7], s[0:1]
	s_cbranch_execz .LBB227_14
; %bb.13:
	v_subrev_u32_e32 v6, 32, v4
	ds_read_b32 v6, v6
	s_waitcnt lgkmcnt(0)
	v_add_f32_e32 v3, v3, v6
.LBB227_14:
	s_or_b64 exec, exec, s[6:7]
	; wave barrier
	s_and_saveexec_b64 s[6:7], s[0:1]
; %bb.15:
	ds_write_b32 v4, v3
; %bb.16:
	s_or_b64 exec, exec, s[6:7]
	v_cmp_lt_u32_e64 s[0:1], 15, v5
	; wave barrier
	s_and_saveexec_b64 s[6:7], s[0:1]
	s_cbranch_execz .LBB227_18
; %bb.17:
	v_subrev_u32_e32 v6, 64, v4
	ds_read_b32 v6, v6
	s_waitcnt lgkmcnt(0)
	v_add_f32_e32 v3, v3, v6
.LBB227_18:
	s_or_b64 exec, exec, s[6:7]
	; wave barrier
	s_and_saveexec_b64 s[6:7], s[0:1]
; %bb.19:
	ds_write_b32 v4, v3
; %bb.20:
	s_or_b64 exec, exec, s[6:7]
	s_load_dwordx2 s[6:7], s[4:5], 0x10
	v_cmp_lt_u32_e64 s[0:1], 31, v5
	; wave barrier
	s_and_saveexec_b64 s[8:9], s[0:1]
	s_cbranch_execz .LBB227_22
; %bb.21:
	v_add_u32_e32 v5, 0xffffff80, v4
	ds_read_b32 v5, v5
	s_waitcnt lgkmcnt(0)
	v_add_f32_e32 v3, v3, v5
.LBB227_22:
	s_or_b64 exec, exec, s[8:9]
	; wave barrier
	s_and_saveexec_b64 s[8:9], s[0:1]
; %bb.23:
	ds_write_b32 v4, v3
; %bb.24:
	s_or_b64 exec, exec, s[8:9]
	s_load_dword s4, s[4:5], 0x18
	; wave barrier
	s_waitcnt lgkmcnt(0)
	v_mov_b32_e32 v4, s4
	s_and_saveexec_b64 s[0:1], vcc
	s_cbranch_execz .LBB227_26
; %bb.25:
	ds_read_b32 v0, v0
	s_waitcnt lgkmcnt(0)
	v_add_f32_e32 v4, s4, v0
.LBB227_26:
	s_or_b64 exec, exec, s[0:1]
	v_add_f32_e32 v0, s4, v3
	v_mov_b32_e32 v3, s3
	v_add_co_u32_e32 v5, vcc, s2, v1
	v_addc_co_u32_e32 v6, vcc, v3, v2, vcc
	global_store_dword v[5:6], v0, off
	v_mov_b32_e32 v3, s7
	v_add_co_u32_e32 v0, vcc, s6, v1
	v_addc_co_u32_e32 v1, vcc, v3, v2, vcc
	global_store_dword v[0:1], v4, off
	s_endpgm
	.section	.rodata,"a",@progbits
	.p2align	6, 0x0
	.amdhsa_kernel _Z16warp_scan_kernelIfLj37ELj37EENSt9enable_ifIXsr10test_utilsE35device_test_enabled_for_warp_size_vIXT1_EEEvE4typeEPT_S4_S4_S3_
		.amdhsa_group_segment_fixed_size 148
		.amdhsa_private_segment_fixed_size 0
		.amdhsa_kernarg_size 288
		.amdhsa_user_sgpr_count 6
		.amdhsa_user_sgpr_private_segment_buffer 1
		.amdhsa_user_sgpr_dispatch_ptr 0
		.amdhsa_user_sgpr_queue_ptr 0
		.amdhsa_user_sgpr_kernarg_segment_ptr 1
		.amdhsa_user_sgpr_dispatch_id 0
		.amdhsa_user_sgpr_flat_scratch_init 0
		.amdhsa_user_sgpr_private_segment_size 0
		.amdhsa_uses_dynamic_stack 0
		.amdhsa_system_sgpr_private_segment_wavefront_offset 0
		.amdhsa_system_sgpr_workgroup_id_x 1
		.amdhsa_system_sgpr_workgroup_id_y 0
		.amdhsa_system_sgpr_workgroup_id_z 0
		.amdhsa_system_sgpr_workgroup_info 0
		.amdhsa_system_vgpr_workitem_id 0
		.amdhsa_next_free_vgpr 7
		.amdhsa_next_free_sgpr 10
		.amdhsa_reserve_vcc 1
		.amdhsa_reserve_flat_scratch 0
		.amdhsa_float_round_mode_32 0
		.amdhsa_float_round_mode_16_64 0
		.amdhsa_float_denorm_mode_32 3
		.amdhsa_float_denorm_mode_16_64 3
		.amdhsa_dx10_clamp 1
		.amdhsa_ieee_mode 1
		.amdhsa_fp16_overflow 0
		.amdhsa_exception_fp_ieee_invalid_op 0
		.amdhsa_exception_fp_denorm_src 0
		.amdhsa_exception_fp_ieee_div_zero 0
		.amdhsa_exception_fp_ieee_overflow 0
		.amdhsa_exception_fp_ieee_underflow 0
		.amdhsa_exception_fp_ieee_inexact 0
		.amdhsa_exception_int_div_zero 0
	.end_amdhsa_kernel
	.section	.text._Z16warp_scan_kernelIfLj37ELj37EENSt9enable_ifIXsr10test_utilsE35device_test_enabled_for_warp_size_vIXT1_EEEvE4typeEPT_S4_S4_S3_,"axG",@progbits,_Z16warp_scan_kernelIfLj37ELj37EENSt9enable_ifIXsr10test_utilsE35device_test_enabled_for_warp_size_vIXT1_EEEvE4typeEPT_S4_S4_S3_,comdat
.Lfunc_end227:
	.size	_Z16warp_scan_kernelIfLj37ELj37EENSt9enable_ifIXsr10test_utilsE35device_test_enabled_for_warp_size_vIXT1_EEEvE4typeEPT_S4_S4_S3_, .Lfunc_end227-_Z16warp_scan_kernelIfLj37ELj37EENSt9enable_ifIXsr10test_utilsE35device_test_enabled_for_warp_size_vIXT1_EEEvE4typeEPT_S4_S4_S3_
                                        ; -- End function
	.set _Z16warp_scan_kernelIfLj37ELj37EENSt9enable_ifIXsr10test_utilsE35device_test_enabled_for_warp_size_vIXT1_EEEvE4typeEPT_S4_S4_S3_.num_vgpr, 7
	.set _Z16warp_scan_kernelIfLj37ELj37EENSt9enable_ifIXsr10test_utilsE35device_test_enabled_for_warp_size_vIXT1_EEEvE4typeEPT_S4_S4_S3_.num_agpr, 0
	.set _Z16warp_scan_kernelIfLj37ELj37EENSt9enable_ifIXsr10test_utilsE35device_test_enabled_for_warp_size_vIXT1_EEEvE4typeEPT_S4_S4_S3_.numbered_sgpr, 10
	.set _Z16warp_scan_kernelIfLj37ELj37EENSt9enable_ifIXsr10test_utilsE35device_test_enabled_for_warp_size_vIXT1_EEEvE4typeEPT_S4_S4_S3_.num_named_barrier, 0
	.set _Z16warp_scan_kernelIfLj37ELj37EENSt9enable_ifIXsr10test_utilsE35device_test_enabled_for_warp_size_vIXT1_EEEvE4typeEPT_S4_S4_S3_.private_seg_size, 0
	.set _Z16warp_scan_kernelIfLj37ELj37EENSt9enable_ifIXsr10test_utilsE35device_test_enabled_for_warp_size_vIXT1_EEEvE4typeEPT_S4_S4_S3_.uses_vcc, 1
	.set _Z16warp_scan_kernelIfLj37ELj37EENSt9enable_ifIXsr10test_utilsE35device_test_enabled_for_warp_size_vIXT1_EEEvE4typeEPT_S4_S4_S3_.uses_flat_scratch, 0
	.set _Z16warp_scan_kernelIfLj37ELj37EENSt9enable_ifIXsr10test_utilsE35device_test_enabled_for_warp_size_vIXT1_EEEvE4typeEPT_S4_S4_S3_.has_dyn_sized_stack, 0
	.set _Z16warp_scan_kernelIfLj37ELj37EENSt9enable_ifIXsr10test_utilsE35device_test_enabled_for_warp_size_vIXT1_EEEvE4typeEPT_S4_S4_S3_.has_recursion, 0
	.set _Z16warp_scan_kernelIfLj37ELj37EENSt9enable_ifIXsr10test_utilsE35device_test_enabled_for_warp_size_vIXT1_EEEvE4typeEPT_S4_S4_S3_.has_indirect_call, 0
	.section	.AMDGPU.csdata,"",@progbits
; Kernel info:
; codeLenInByte = 584
; TotalNumSgprs: 14
; NumVgprs: 7
; ScratchSize: 0
; MemoryBound: 0
; FloatMode: 240
; IeeeMode: 1
; LDSByteSize: 148 bytes/workgroup (compile time only)
; SGPRBlocks: 1
; VGPRBlocks: 1
; NumSGPRsForWavesPerEU: 14
; NumVGPRsForWavesPerEU: 7
; Occupancy: 10
; WaveLimiterHint : 0
; COMPUTE_PGM_RSRC2:SCRATCH_EN: 0
; COMPUTE_PGM_RSRC2:USER_SGPR: 6
; COMPUTE_PGM_RSRC2:TRAP_HANDLER: 0
; COMPUTE_PGM_RSRC2:TGID_X_EN: 1
; COMPUTE_PGM_RSRC2:TGID_Y_EN: 0
; COMPUTE_PGM_RSRC2:TGID_Z_EN: 0
; COMPUTE_PGM_RSRC2:TIDIG_COMP_CNT: 0
	.section	.text._Z16warp_scan_kernelIfLj30ELj15EENSt9enable_ifIXsr10test_utilsE35device_test_enabled_for_warp_size_vIXT1_EEEvE4typeEPT_S4_S4_S3_,"axG",@progbits,_Z16warp_scan_kernelIfLj30ELj15EENSt9enable_ifIXsr10test_utilsE35device_test_enabled_for_warp_size_vIXT1_EEEvE4typeEPT_S4_S4_S3_,comdat
	.protected	_Z16warp_scan_kernelIfLj30ELj15EENSt9enable_ifIXsr10test_utilsE35device_test_enabled_for_warp_size_vIXT1_EEEvE4typeEPT_S4_S4_S3_ ; -- Begin function _Z16warp_scan_kernelIfLj30ELj15EENSt9enable_ifIXsr10test_utilsE35device_test_enabled_for_warp_size_vIXT1_EEEvE4typeEPT_S4_S4_S3_
	.globl	_Z16warp_scan_kernelIfLj30ELj15EENSt9enable_ifIXsr10test_utilsE35device_test_enabled_for_warp_size_vIXT1_EEEvE4typeEPT_S4_S4_S3_
	.p2align	8
	.type	_Z16warp_scan_kernelIfLj30ELj15EENSt9enable_ifIXsr10test_utilsE35device_test_enabled_for_warp_size_vIXT1_EEEvE4typeEPT_S4_S4_S3_,@function
_Z16warp_scan_kernelIfLj30ELj15EENSt9enable_ifIXsr10test_utilsE35device_test_enabled_for_warp_size_vIXT1_EEEvE4typeEPT_S4_S4_S3_: ; @_Z16warp_scan_kernelIfLj30ELj15EENSt9enable_ifIXsr10test_utilsE35device_test_enabled_for_warp_size_vIXT1_EEEvE4typeEPT_S4_S4_S3_
; %bb.0:
	s_load_dword s7, s[4:5], 0x2c
	s_load_dwordx4 s[0:3], s[4:5], 0x0
	v_mov_b32_e32 v2, 0
	s_waitcnt lgkmcnt(0)
	s_and_b32 s7, s7, 0xffff
	s_mul_i32 s6, s6, s7
	v_add_u32_e32 v1, s6, v0
	v_lshlrev_b64 v[1:2], 2, v[1:2]
	v_mov_b32_e32 v4, s1
	v_add_co_u32_e32 v3, vcc, s0, v1
	v_addc_co_u32_e32 v4, vcc, v4, v2, vcc
	global_load_dword v3, v[3:4], off
	v_mbcnt_lo_u32_b32 v4, -1, 0
	s_mov_b32 s0, 0x11111112
	v_mbcnt_hi_u32_b32 v4, -1, v4
	v_mul_hi_u32 v5, v4, s0
	v_mul_u32_u24_e32 v0, 0x1112, v0
	v_lshrrev_b32_e32 v0, 16, v0
	v_mul_u32_u24_e32 v5, 15, v5
	v_sub_u32_e32 v5, v4, v5
	v_lshlrev_b32_e32 v4, 2, v5
	v_mad_u32_u24 v4, v0, 60, v4
	v_cmp_ne_u32_e32 vcc, 0, v5
	v_add_u32_e32 v0, -4, v4
	s_waitcnt vmcnt(0)
	ds_write_b32 v4, v3
	; wave barrier
	s_and_saveexec_b64 s[0:1], vcc
	s_cbranch_execz .LBB228_2
; %bb.1:
	ds_read_b32 v6, v0
	s_waitcnt lgkmcnt(0)
	v_add_f32_e32 v3, v3, v6
.LBB228_2:
	s_or_b64 exec, exec, s[0:1]
	; wave barrier
	s_and_saveexec_b64 s[0:1], vcc
; %bb.3:
	ds_write_b32 v4, v3
; %bb.4:
	s_or_b64 exec, exec, s[0:1]
	v_cmp_lt_u32_e64 s[0:1], 1, v5
	; wave barrier
	s_and_saveexec_b64 s[6:7], s[0:1]
	s_cbranch_execz .LBB228_6
; %bb.5:
	v_add_u32_e32 v6, -8, v4
	ds_read_b32 v6, v6
	s_waitcnt lgkmcnt(0)
	v_add_f32_e32 v3, v3, v6
.LBB228_6:
	s_or_b64 exec, exec, s[6:7]
	; wave barrier
	s_and_saveexec_b64 s[6:7], s[0:1]
; %bb.7:
	ds_write_b32 v4, v3
; %bb.8:
	s_or_b64 exec, exec, s[6:7]
	v_cmp_lt_u32_e64 s[0:1], 3, v5
	; wave barrier
	s_and_saveexec_b64 s[6:7], s[0:1]
	s_cbranch_execz .LBB228_10
; %bb.9:
	v_add_u32_e32 v6, -16, v4
	ds_read_b32 v6, v6
	s_waitcnt lgkmcnt(0)
	v_add_f32_e32 v3, v3, v6
.LBB228_10:
	s_or_b64 exec, exec, s[6:7]
	; wave barrier
	s_and_saveexec_b64 s[6:7], s[0:1]
; %bb.11:
	ds_write_b32 v4, v3
; %bb.12:
	s_or_b64 exec, exec, s[6:7]
	s_load_dwordx2 s[6:7], s[4:5], 0x10
	v_cmp_lt_u32_e64 s[0:1], 7, v5
	; wave barrier
	s_and_saveexec_b64 s[8:9], s[0:1]
	s_cbranch_execz .LBB228_14
; %bb.13:
	v_subrev_u32_e32 v5, 32, v4
	ds_read_b32 v5, v5
	s_waitcnt lgkmcnt(0)
	v_add_f32_e32 v3, v3, v5
.LBB228_14:
	s_or_b64 exec, exec, s[8:9]
	; wave barrier
	s_and_saveexec_b64 s[8:9], s[0:1]
; %bb.15:
	ds_write_b32 v4, v3
; %bb.16:
	s_or_b64 exec, exec, s[8:9]
	s_load_dword s4, s[4:5], 0x18
	; wave barrier
	s_waitcnt lgkmcnt(0)
	v_mov_b32_e32 v4, s4
	s_and_saveexec_b64 s[0:1], vcc
	s_cbranch_execz .LBB228_18
; %bb.17:
	ds_read_b32 v0, v0
	s_waitcnt lgkmcnt(0)
	v_add_f32_e32 v4, s4, v0
.LBB228_18:
	s_or_b64 exec, exec, s[0:1]
	v_add_f32_e32 v0, s4, v3
	v_mov_b32_e32 v3, s3
	v_add_co_u32_e32 v5, vcc, s2, v1
	v_addc_co_u32_e32 v6, vcc, v3, v2, vcc
	global_store_dword v[5:6], v0, off
	v_mov_b32_e32 v3, s7
	v_add_co_u32_e32 v0, vcc, s6, v1
	v_addc_co_u32_e32 v1, vcc, v3, v2, vcc
	global_store_dword v[0:1], v4, off
	s_endpgm
	.section	.rodata,"a",@progbits
	.p2align	6, 0x0
	.amdhsa_kernel _Z16warp_scan_kernelIfLj30ELj15EENSt9enable_ifIXsr10test_utilsE35device_test_enabled_for_warp_size_vIXT1_EEEvE4typeEPT_S4_S4_S3_
		.amdhsa_group_segment_fixed_size 120
		.amdhsa_private_segment_fixed_size 0
		.amdhsa_kernarg_size 288
		.amdhsa_user_sgpr_count 6
		.amdhsa_user_sgpr_private_segment_buffer 1
		.amdhsa_user_sgpr_dispatch_ptr 0
		.amdhsa_user_sgpr_queue_ptr 0
		.amdhsa_user_sgpr_kernarg_segment_ptr 1
		.amdhsa_user_sgpr_dispatch_id 0
		.amdhsa_user_sgpr_flat_scratch_init 0
		.amdhsa_user_sgpr_private_segment_size 0
		.amdhsa_uses_dynamic_stack 0
		.amdhsa_system_sgpr_private_segment_wavefront_offset 0
		.amdhsa_system_sgpr_workgroup_id_x 1
		.amdhsa_system_sgpr_workgroup_id_y 0
		.amdhsa_system_sgpr_workgroup_id_z 0
		.amdhsa_system_sgpr_workgroup_info 0
		.amdhsa_system_vgpr_workitem_id 0
		.amdhsa_next_free_vgpr 7
		.amdhsa_next_free_sgpr 10
		.amdhsa_reserve_vcc 1
		.amdhsa_reserve_flat_scratch 0
		.amdhsa_float_round_mode_32 0
		.amdhsa_float_round_mode_16_64 0
		.amdhsa_float_denorm_mode_32 3
		.amdhsa_float_denorm_mode_16_64 3
		.amdhsa_dx10_clamp 1
		.amdhsa_ieee_mode 1
		.amdhsa_fp16_overflow 0
		.amdhsa_exception_fp_ieee_invalid_op 0
		.amdhsa_exception_fp_denorm_src 0
		.amdhsa_exception_fp_ieee_div_zero 0
		.amdhsa_exception_fp_ieee_overflow 0
		.amdhsa_exception_fp_ieee_underflow 0
		.amdhsa_exception_fp_ieee_inexact 0
		.amdhsa_exception_int_div_zero 0
	.end_amdhsa_kernel
	.section	.text._Z16warp_scan_kernelIfLj30ELj15EENSt9enable_ifIXsr10test_utilsE35device_test_enabled_for_warp_size_vIXT1_EEEvE4typeEPT_S4_S4_S3_,"axG",@progbits,_Z16warp_scan_kernelIfLj30ELj15EENSt9enable_ifIXsr10test_utilsE35device_test_enabled_for_warp_size_vIXT1_EEEvE4typeEPT_S4_S4_S3_,comdat
.Lfunc_end228:
	.size	_Z16warp_scan_kernelIfLj30ELj15EENSt9enable_ifIXsr10test_utilsE35device_test_enabled_for_warp_size_vIXT1_EEEvE4typeEPT_S4_S4_S3_, .Lfunc_end228-_Z16warp_scan_kernelIfLj30ELj15EENSt9enable_ifIXsr10test_utilsE35device_test_enabled_for_warp_size_vIXT1_EEEvE4typeEPT_S4_S4_S3_
                                        ; -- End function
	.set _Z16warp_scan_kernelIfLj30ELj15EENSt9enable_ifIXsr10test_utilsE35device_test_enabled_for_warp_size_vIXT1_EEEvE4typeEPT_S4_S4_S3_.num_vgpr, 7
	.set _Z16warp_scan_kernelIfLj30ELj15EENSt9enable_ifIXsr10test_utilsE35device_test_enabled_for_warp_size_vIXT1_EEEvE4typeEPT_S4_S4_S3_.num_agpr, 0
	.set _Z16warp_scan_kernelIfLj30ELj15EENSt9enable_ifIXsr10test_utilsE35device_test_enabled_for_warp_size_vIXT1_EEEvE4typeEPT_S4_S4_S3_.numbered_sgpr, 10
	.set _Z16warp_scan_kernelIfLj30ELj15EENSt9enable_ifIXsr10test_utilsE35device_test_enabled_for_warp_size_vIXT1_EEEvE4typeEPT_S4_S4_S3_.num_named_barrier, 0
	.set _Z16warp_scan_kernelIfLj30ELj15EENSt9enable_ifIXsr10test_utilsE35device_test_enabled_for_warp_size_vIXT1_EEEvE4typeEPT_S4_S4_S3_.private_seg_size, 0
	.set _Z16warp_scan_kernelIfLj30ELj15EENSt9enable_ifIXsr10test_utilsE35device_test_enabled_for_warp_size_vIXT1_EEEvE4typeEPT_S4_S4_S3_.uses_vcc, 1
	.set _Z16warp_scan_kernelIfLj30ELj15EENSt9enable_ifIXsr10test_utilsE35device_test_enabled_for_warp_size_vIXT1_EEEvE4typeEPT_S4_S4_S3_.uses_flat_scratch, 0
	.set _Z16warp_scan_kernelIfLj30ELj15EENSt9enable_ifIXsr10test_utilsE35device_test_enabled_for_warp_size_vIXT1_EEEvE4typeEPT_S4_S4_S3_.has_dyn_sized_stack, 0
	.set _Z16warp_scan_kernelIfLj30ELj15EENSt9enable_ifIXsr10test_utilsE35device_test_enabled_for_warp_size_vIXT1_EEEvE4typeEPT_S4_S4_S3_.has_recursion, 0
	.set _Z16warp_scan_kernelIfLj30ELj15EENSt9enable_ifIXsr10test_utilsE35device_test_enabled_for_warp_size_vIXT1_EEEvE4typeEPT_S4_S4_S3_.has_indirect_call, 0
	.section	.AMDGPU.csdata,"",@progbits
; Kernel info:
; codeLenInByte = 464
; TotalNumSgprs: 14
; NumVgprs: 7
; ScratchSize: 0
; MemoryBound: 0
; FloatMode: 240
; IeeeMode: 1
; LDSByteSize: 120 bytes/workgroup (compile time only)
; SGPRBlocks: 1
; VGPRBlocks: 1
; NumSGPRsForWavesPerEU: 14
; NumVGPRsForWavesPerEU: 7
; Occupancy: 10
; WaveLimiterHint : 0
; COMPUTE_PGM_RSRC2:SCRATCH_EN: 0
; COMPUTE_PGM_RSRC2:USER_SGPR: 6
; COMPUTE_PGM_RSRC2:TRAP_HANDLER: 0
; COMPUTE_PGM_RSRC2:TGID_X_EN: 1
; COMPUTE_PGM_RSRC2:TGID_Y_EN: 0
; COMPUTE_PGM_RSRC2:TGID_Z_EN: 0
; COMPUTE_PGM_RSRC2:TIDIG_COMP_CNT: 0
	.section	.text._Z16warp_scan_kernelIfLj60ELj15EENSt9enable_ifIXsr10test_utilsE35device_test_enabled_for_warp_size_vIXT1_EEEvE4typeEPT_S4_S4_S3_,"axG",@progbits,_Z16warp_scan_kernelIfLj60ELj15EENSt9enable_ifIXsr10test_utilsE35device_test_enabled_for_warp_size_vIXT1_EEEvE4typeEPT_S4_S4_S3_,comdat
	.protected	_Z16warp_scan_kernelIfLj60ELj15EENSt9enable_ifIXsr10test_utilsE35device_test_enabled_for_warp_size_vIXT1_EEEvE4typeEPT_S4_S4_S3_ ; -- Begin function _Z16warp_scan_kernelIfLj60ELj15EENSt9enable_ifIXsr10test_utilsE35device_test_enabled_for_warp_size_vIXT1_EEEvE4typeEPT_S4_S4_S3_
	.globl	_Z16warp_scan_kernelIfLj60ELj15EENSt9enable_ifIXsr10test_utilsE35device_test_enabled_for_warp_size_vIXT1_EEEvE4typeEPT_S4_S4_S3_
	.p2align	8
	.type	_Z16warp_scan_kernelIfLj60ELj15EENSt9enable_ifIXsr10test_utilsE35device_test_enabled_for_warp_size_vIXT1_EEEvE4typeEPT_S4_S4_S3_,@function
_Z16warp_scan_kernelIfLj60ELj15EENSt9enable_ifIXsr10test_utilsE35device_test_enabled_for_warp_size_vIXT1_EEEvE4typeEPT_S4_S4_S3_: ; @_Z16warp_scan_kernelIfLj60ELj15EENSt9enable_ifIXsr10test_utilsE35device_test_enabled_for_warp_size_vIXT1_EEEvE4typeEPT_S4_S4_S3_
; %bb.0:
	s_load_dword s7, s[4:5], 0x2c
	s_load_dwordx4 s[0:3], s[4:5], 0x0
	v_mov_b32_e32 v2, 0
	s_waitcnt lgkmcnt(0)
	s_and_b32 s7, s7, 0xffff
	s_mul_i32 s6, s6, s7
	v_add_u32_e32 v1, s6, v0
	v_lshlrev_b64 v[1:2], 2, v[1:2]
	v_mov_b32_e32 v4, s1
	v_add_co_u32_e32 v3, vcc, s0, v1
	v_addc_co_u32_e32 v4, vcc, v4, v2, vcc
	global_load_dword v3, v[3:4], off
	v_mbcnt_lo_u32_b32 v4, -1, 0
	s_mov_b32 s0, 0x11111112
	v_mbcnt_hi_u32_b32 v4, -1, v4
	v_mul_hi_u32 v5, v4, s0
	v_mul_u32_u24_e32 v0, 0x1112, v0
	v_lshrrev_b32_e32 v0, 16, v0
	v_mul_u32_u24_e32 v5, 15, v5
	v_sub_u32_e32 v5, v4, v5
	v_lshlrev_b32_e32 v4, 2, v5
	v_mad_u32_u24 v4, v0, 60, v4
	v_cmp_ne_u32_e32 vcc, 0, v5
	v_add_u32_e32 v0, -4, v4
	s_waitcnt vmcnt(0)
	ds_write_b32 v4, v3
	; wave barrier
	s_and_saveexec_b64 s[0:1], vcc
	s_cbranch_execz .LBB229_2
; %bb.1:
	ds_read_b32 v6, v0
	s_waitcnt lgkmcnt(0)
	v_add_f32_e32 v3, v3, v6
.LBB229_2:
	s_or_b64 exec, exec, s[0:1]
	; wave barrier
	s_and_saveexec_b64 s[0:1], vcc
; %bb.3:
	ds_write_b32 v4, v3
; %bb.4:
	s_or_b64 exec, exec, s[0:1]
	v_cmp_lt_u32_e64 s[0:1], 1, v5
	; wave barrier
	s_and_saveexec_b64 s[6:7], s[0:1]
	s_cbranch_execz .LBB229_6
; %bb.5:
	v_add_u32_e32 v6, -8, v4
	ds_read_b32 v6, v6
	s_waitcnt lgkmcnt(0)
	v_add_f32_e32 v3, v3, v6
.LBB229_6:
	s_or_b64 exec, exec, s[6:7]
	; wave barrier
	s_and_saveexec_b64 s[6:7], s[0:1]
; %bb.7:
	ds_write_b32 v4, v3
; %bb.8:
	s_or_b64 exec, exec, s[6:7]
	v_cmp_lt_u32_e64 s[0:1], 3, v5
	; wave barrier
	s_and_saveexec_b64 s[6:7], s[0:1]
	s_cbranch_execz .LBB229_10
; %bb.9:
	v_add_u32_e32 v6, -16, v4
	ds_read_b32 v6, v6
	s_waitcnt lgkmcnt(0)
	v_add_f32_e32 v3, v3, v6
.LBB229_10:
	s_or_b64 exec, exec, s[6:7]
	; wave barrier
	s_and_saveexec_b64 s[6:7], s[0:1]
; %bb.11:
	ds_write_b32 v4, v3
; %bb.12:
	s_or_b64 exec, exec, s[6:7]
	s_load_dwordx2 s[6:7], s[4:5], 0x10
	v_cmp_lt_u32_e64 s[0:1], 7, v5
	; wave barrier
	s_and_saveexec_b64 s[8:9], s[0:1]
	s_cbranch_execz .LBB229_14
; %bb.13:
	v_subrev_u32_e32 v5, 32, v4
	ds_read_b32 v5, v5
	s_waitcnt lgkmcnt(0)
	v_add_f32_e32 v3, v3, v5
.LBB229_14:
	s_or_b64 exec, exec, s[8:9]
	; wave barrier
	s_and_saveexec_b64 s[8:9], s[0:1]
; %bb.15:
	ds_write_b32 v4, v3
; %bb.16:
	s_or_b64 exec, exec, s[8:9]
	s_load_dword s4, s[4:5], 0x18
	; wave barrier
	s_waitcnt lgkmcnt(0)
	v_mov_b32_e32 v4, s4
	s_and_saveexec_b64 s[0:1], vcc
	s_cbranch_execz .LBB229_18
; %bb.17:
	ds_read_b32 v0, v0
	s_waitcnt lgkmcnt(0)
	v_add_f32_e32 v4, s4, v0
.LBB229_18:
	s_or_b64 exec, exec, s[0:1]
	v_add_f32_e32 v0, s4, v3
	v_mov_b32_e32 v3, s3
	v_add_co_u32_e32 v5, vcc, s2, v1
	v_addc_co_u32_e32 v6, vcc, v3, v2, vcc
	global_store_dword v[5:6], v0, off
	v_mov_b32_e32 v3, s7
	v_add_co_u32_e32 v0, vcc, s6, v1
	v_addc_co_u32_e32 v1, vcc, v3, v2, vcc
	global_store_dword v[0:1], v4, off
	s_endpgm
	.section	.rodata,"a",@progbits
	.p2align	6, 0x0
	.amdhsa_kernel _Z16warp_scan_kernelIfLj60ELj15EENSt9enable_ifIXsr10test_utilsE35device_test_enabled_for_warp_size_vIXT1_EEEvE4typeEPT_S4_S4_S3_
		.amdhsa_group_segment_fixed_size 240
		.amdhsa_private_segment_fixed_size 0
		.amdhsa_kernarg_size 288
		.amdhsa_user_sgpr_count 6
		.amdhsa_user_sgpr_private_segment_buffer 1
		.amdhsa_user_sgpr_dispatch_ptr 0
		.amdhsa_user_sgpr_queue_ptr 0
		.amdhsa_user_sgpr_kernarg_segment_ptr 1
		.amdhsa_user_sgpr_dispatch_id 0
		.amdhsa_user_sgpr_flat_scratch_init 0
		.amdhsa_user_sgpr_private_segment_size 0
		.amdhsa_uses_dynamic_stack 0
		.amdhsa_system_sgpr_private_segment_wavefront_offset 0
		.amdhsa_system_sgpr_workgroup_id_x 1
		.amdhsa_system_sgpr_workgroup_id_y 0
		.amdhsa_system_sgpr_workgroup_id_z 0
		.amdhsa_system_sgpr_workgroup_info 0
		.amdhsa_system_vgpr_workitem_id 0
		.amdhsa_next_free_vgpr 7
		.amdhsa_next_free_sgpr 10
		.amdhsa_reserve_vcc 1
		.amdhsa_reserve_flat_scratch 0
		.amdhsa_float_round_mode_32 0
		.amdhsa_float_round_mode_16_64 0
		.amdhsa_float_denorm_mode_32 3
		.amdhsa_float_denorm_mode_16_64 3
		.amdhsa_dx10_clamp 1
		.amdhsa_ieee_mode 1
		.amdhsa_fp16_overflow 0
		.amdhsa_exception_fp_ieee_invalid_op 0
		.amdhsa_exception_fp_denorm_src 0
		.amdhsa_exception_fp_ieee_div_zero 0
		.amdhsa_exception_fp_ieee_overflow 0
		.amdhsa_exception_fp_ieee_underflow 0
		.amdhsa_exception_fp_ieee_inexact 0
		.amdhsa_exception_int_div_zero 0
	.end_amdhsa_kernel
	.section	.text._Z16warp_scan_kernelIfLj60ELj15EENSt9enable_ifIXsr10test_utilsE35device_test_enabled_for_warp_size_vIXT1_EEEvE4typeEPT_S4_S4_S3_,"axG",@progbits,_Z16warp_scan_kernelIfLj60ELj15EENSt9enable_ifIXsr10test_utilsE35device_test_enabled_for_warp_size_vIXT1_EEEvE4typeEPT_S4_S4_S3_,comdat
.Lfunc_end229:
	.size	_Z16warp_scan_kernelIfLj60ELj15EENSt9enable_ifIXsr10test_utilsE35device_test_enabled_for_warp_size_vIXT1_EEEvE4typeEPT_S4_S4_S3_, .Lfunc_end229-_Z16warp_scan_kernelIfLj60ELj15EENSt9enable_ifIXsr10test_utilsE35device_test_enabled_for_warp_size_vIXT1_EEEvE4typeEPT_S4_S4_S3_
                                        ; -- End function
	.set _Z16warp_scan_kernelIfLj60ELj15EENSt9enable_ifIXsr10test_utilsE35device_test_enabled_for_warp_size_vIXT1_EEEvE4typeEPT_S4_S4_S3_.num_vgpr, 7
	.set _Z16warp_scan_kernelIfLj60ELj15EENSt9enable_ifIXsr10test_utilsE35device_test_enabled_for_warp_size_vIXT1_EEEvE4typeEPT_S4_S4_S3_.num_agpr, 0
	.set _Z16warp_scan_kernelIfLj60ELj15EENSt9enable_ifIXsr10test_utilsE35device_test_enabled_for_warp_size_vIXT1_EEEvE4typeEPT_S4_S4_S3_.numbered_sgpr, 10
	.set _Z16warp_scan_kernelIfLj60ELj15EENSt9enable_ifIXsr10test_utilsE35device_test_enabled_for_warp_size_vIXT1_EEEvE4typeEPT_S4_S4_S3_.num_named_barrier, 0
	.set _Z16warp_scan_kernelIfLj60ELj15EENSt9enable_ifIXsr10test_utilsE35device_test_enabled_for_warp_size_vIXT1_EEEvE4typeEPT_S4_S4_S3_.private_seg_size, 0
	.set _Z16warp_scan_kernelIfLj60ELj15EENSt9enable_ifIXsr10test_utilsE35device_test_enabled_for_warp_size_vIXT1_EEEvE4typeEPT_S4_S4_S3_.uses_vcc, 1
	.set _Z16warp_scan_kernelIfLj60ELj15EENSt9enable_ifIXsr10test_utilsE35device_test_enabled_for_warp_size_vIXT1_EEEvE4typeEPT_S4_S4_S3_.uses_flat_scratch, 0
	.set _Z16warp_scan_kernelIfLj60ELj15EENSt9enable_ifIXsr10test_utilsE35device_test_enabled_for_warp_size_vIXT1_EEEvE4typeEPT_S4_S4_S3_.has_dyn_sized_stack, 0
	.set _Z16warp_scan_kernelIfLj60ELj15EENSt9enable_ifIXsr10test_utilsE35device_test_enabled_for_warp_size_vIXT1_EEEvE4typeEPT_S4_S4_S3_.has_recursion, 0
	.set _Z16warp_scan_kernelIfLj60ELj15EENSt9enable_ifIXsr10test_utilsE35device_test_enabled_for_warp_size_vIXT1_EEEvE4typeEPT_S4_S4_S3_.has_indirect_call, 0
	.section	.AMDGPU.csdata,"",@progbits
; Kernel info:
; codeLenInByte = 464
; TotalNumSgprs: 14
; NumVgprs: 7
; ScratchSize: 0
; MemoryBound: 0
; FloatMode: 240
; IeeeMode: 1
; LDSByteSize: 240 bytes/workgroup (compile time only)
; SGPRBlocks: 1
; VGPRBlocks: 1
; NumSGPRsForWavesPerEU: 14
; NumVGPRsForWavesPerEU: 7
; Occupancy: 10
; WaveLimiterHint : 0
; COMPUTE_PGM_RSRC2:SCRATCH_EN: 0
; COMPUTE_PGM_RSRC2:USER_SGPR: 6
; COMPUTE_PGM_RSRC2:TRAP_HANDLER: 0
; COMPUTE_PGM_RSRC2:TGID_X_EN: 1
; COMPUTE_PGM_RSRC2:TGID_Y_EN: 0
; COMPUTE_PGM_RSRC2:TGID_Z_EN: 0
; COMPUTE_PGM_RSRC2:TIDIG_COMP_CNT: 0
	.section	.text._Z16warp_scan_kernelIfLj28ELj7EENSt9enable_ifIXsr10test_utilsE35device_test_enabled_for_warp_size_vIXT1_EEEvE4typeEPT_S4_S4_S3_,"axG",@progbits,_Z16warp_scan_kernelIfLj28ELj7EENSt9enable_ifIXsr10test_utilsE35device_test_enabled_for_warp_size_vIXT1_EEEvE4typeEPT_S4_S4_S3_,comdat
	.protected	_Z16warp_scan_kernelIfLj28ELj7EENSt9enable_ifIXsr10test_utilsE35device_test_enabled_for_warp_size_vIXT1_EEEvE4typeEPT_S4_S4_S3_ ; -- Begin function _Z16warp_scan_kernelIfLj28ELj7EENSt9enable_ifIXsr10test_utilsE35device_test_enabled_for_warp_size_vIXT1_EEEvE4typeEPT_S4_S4_S3_
	.globl	_Z16warp_scan_kernelIfLj28ELj7EENSt9enable_ifIXsr10test_utilsE35device_test_enabled_for_warp_size_vIXT1_EEEvE4typeEPT_S4_S4_S3_
	.p2align	8
	.type	_Z16warp_scan_kernelIfLj28ELj7EENSt9enable_ifIXsr10test_utilsE35device_test_enabled_for_warp_size_vIXT1_EEEvE4typeEPT_S4_S4_S3_,@function
_Z16warp_scan_kernelIfLj28ELj7EENSt9enable_ifIXsr10test_utilsE35device_test_enabled_for_warp_size_vIXT1_EEEvE4typeEPT_S4_S4_S3_: ; @_Z16warp_scan_kernelIfLj28ELj7EENSt9enable_ifIXsr10test_utilsE35device_test_enabled_for_warp_size_vIXT1_EEEvE4typeEPT_S4_S4_S3_
; %bb.0:
	s_load_dword s7, s[4:5], 0x2c
	s_load_dwordx4 s[0:3], s[4:5], 0x0
	v_mov_b32_e32 v2, 0
	s_waitcnt lgkmcnt(0)
	s_and_b32 s7, s7, 0xffff
	s_mul_i32 s6, s6, s7
	v_add_u32_e32 v1, s6, v0
	v_lshlrev_b64 v[1:2], 2, v[1:2]
	v_mov_b32_e32 v4, s1
	v_add_co_u32_e32 v3, vcc, s0, v1
	v_addc_co_u32_e32 v4, vcc, v4, v2, vcc
	global_load_dword v3, v[3:4], off
	v_mbcnt_lo_u32_b32 v4, -1, 0
	s_mov_b32 s0, 0x24924925
	v_mbcnt_hi_u32_b32 v4, -1, v4
	v_mul_hi_u32 v5, v4, s0
	v_mul_u32_u24_e32 v0, 0x2493, v0
	v_lshrrev_b32_e32 v0, 16, v0
	v_mul_u32_u24_e32 v5, 7, v5
	v_sub_u32_e32 v5, v4, v5
	v_lshlrev_b32_e32 v4, 2, v5
	v_mad_u32_u24 v4, v0, 28, v4
	v_cmp_ne_u32_e32 vcc, 0, v5
	v_add_u32_e32 v0, -4, v4
	s_waitcnt vmcnt(0)
	ds_write_b32 v4, v3
	; wave barrier
	s_and_saveexec_b64 s[0:1], vcc
	s_cbranch_execz .LBB230_2
; %bb.1:
	ds_read_b32 v6, v0
	s_waitcnt lgkmcnt(0)
	v_add_f32_e32 v3, v3, v6
.LBB230_2:
	s_or_b64 exec, exec, s[0:1]
	; wave barrier
	s_and_saveexec_b64 s[0:1], vcc
; %bb.3:
	ds_write_b32 v4, v3
; %bb.4:
	s_or_b64 exec, exec, s[0:1]
	v_cmp_lt_u32_e64 s[0:1], 1, v5
	; wave barrier
	s_and_saveexec_b64 s[6:7], s[0:1]
	s_cbranch_execz .LBB230_6
; %bb.5:
	v_add_u32_e32 v6, -8, v4
	ds_read_b32 v6, v6
	s_waitcnt lgkmcnt(0)
	v_add_f32_e32 v3, v3, v6
.LBB230_6:
	s_or_b64 exec, exec, s[6:7]
	; wave barrier
	s_and_saveexec_b64 s[6:7], s[0:1]
; %bb.7:
	ds_write_b32 v4, v3
; %bb.8:
	s_or_b64 exec, exec, s[6:7]
	s_load_dwordx2 s[6:7], s[4:5], 0x10
	v_cmp_lt_u32_e64 s[0:1], 3, v5
	; wave barrier
	s_and_saveexec_b64 s[8:9], s[0:1]
	s_cbranch_execz .LBB230_10
; %bb.9:
	v_add_u32_e32 v5, -16, v4
	ds_read_b32 v5, v5
	s_waitcnt lgkmcnt(0)
	v_add_f32_e32 v3, v3, v5
.LBB230_10:
	s_or_b64 exec, exec, s[8:9]
	; wave barrier
	s_and_saveexec_b64 s[8:9], s[0:1]
; %bb.11:
	ds_write_b32 v4, v3
; %bb.12:
	s_or_b64 exec, exec, s[8:9]
	s_load_dword s4, s[4:5], 0x18
	; wave barrier
	s_waitcnt lgkmcnt(0)
	v_mov_b32_e32 v4, s4
	s_and_saveexec_b64 s[0:1], vcc
	s_cbranch_execz .LBB230_14
; %bb.13:
	ds_read_b32 v0, v0
	s_waitcnt lgkmcnt(0)
	v_add_f32_e32 v4, s4, v0
.LBB230_14:
	s_or_b64 exec, exec, s[0:1]
	v_add_f32_e32 v0, s4, v3
	v_mov_b32_e32 v3, s3
	v_add_co_u32_e32 v5, vcc, s2, v1
	v_addc_co_u32_e32 v6, vcc, v3, v2, vcc
	global_store_dword v[5:6], v0, off
	v_mov_b32_e32 v3, s7
	v_add_co_u32_e32 v0, vcc, s6, v1
	v_addc_co_u32_e32 v1, vcc, v3, v2, vcc
	global_store_dword v[0:1], v4, off
	s_endpgm
	.section	.rodata,"a",@progbits
	.p2align	6, 0x0
	.amdhsa_kernel _Z16warp_scan_kernelIfLj28ELj7EENSt9enable_ifIXsr10test_utilsE35device_test_enabled_for_warp_size_vIXT1_EEEvE4typeEPT_S4_S4_S3_
		.amdhsa_group_segment_fixed_size 112
		.amdhsa_private_segment_fixed_size 0
		.amdhsa_kernarg_size 288
		.amdhsa_user_sgpr_count 6
		.amdhsa_user_sgpr_private_segment_buffer 1
		.amdhsa_user_sgpr_dispatch_ptr 0
		.amdhsa_user_sgpr_queue_ptr 0
		.amdhsa_user_sgpr_kernarg_segment_ptr 1
		.amdhsa_user_sgpr_dispatch_id 0
		.amdhsa_user_sgpr_flat_scratch_init 0
		.amdhsa_user_sgpr_private_segment_size 0
		.amdhsa_uses_dynamic_stack 0
		.amdhsa_system_sgpr_private_segment_wavefront_offset 0
		.amdhsa_system_sgpr_workgroup_id_x 1
		.amdhsa_system_sgpr_workgroup_id_y 0
		.amdhsa_system_sgpr_workgroup_id_z 0
		.amdhsa_system_sgpr_workgroup_info 0
		.amdhsa_system_vgpr_workitem_id 0
		.amdhsa_next_free_vgpr 7
		.amdhsa_next_free_sgpr 10
		.amdhsa_reserve_vcc 1
		.amdhsa_reserve_flat_scratch 0
		.amdhsa_float_round_mode_32 0
		.amdhsa_float_round_mode_16_64 0
		.amdhsa_float_denorm_mode_32 3
		.amdhsa_float_denorm_mode_16_64 3
		.amdhsa_dx10_clamp 1
		.amdhsa_ieee_mode 1
		.amdhsa_fp16_overflow 0
		.amdhsa_exception_fp_ieee_invalid_op 0
		.amdhsa_exception_fp_denorm_src 0
		.amdhsa_exception_fp_ieee_div_zero 0
		.amdhsa_exception_fp_ieee_overflow 0
		.amdhsa_exception_fp_ieee_underflow 0
		.amdhsa_exception_fp_ieee_inexact 0
		.amdhsa_exception_int_div_zero 0
	.end_amdhsa_kernel
	.section	.text._Z16warp_scan_kernelIfLj28ELj7EENSt9enable_ifIXsr10test_utilsE35device_test_enabled_for_warp_size_vIXT1_EEEvE4typeEPT_S4_S4_S3_,"axG",@progbits,_Z16warp_scan_kernelIfLj28ELj7EENSt9enable_ifIXsr10test_utilsE35device_test_enabled_for_warp_size_vIXT1_EEEvE4typeEPT_S4_S4_S3_,comdat
.Lfunc_end230:
	.size	_Z16warp_scan_kernelIfLj28ELj7EENSt9enable_ifIXsr10test_utilsE35device_test_enabled_for_warp_size_vIXT1_EEEvE4typeEPT_S4_S4_S3_, .Lfunc_end230-_Z16warp_scan_kernelIfLj28ELj7EENSt9enable_ifIXsr10test_utilsE35device_test_enabled_for_warp_size_vIXT1_EEEvE4typeEPT_S4_S4_S3_
                                        ; -- End function
	.set _Z16warp_scan_kernelIfLj28ELj7EENSt9enable_ifIXsr10test_utilsE35device_test_enabled_for_warp_size_vIXT1_EEEvE4typeEPT_S4_S4_S3_.num_vgpr, 7
	.set _Z16warp_scan_kernelIfLj28ELj7EENSt9enable_ifIXsr10test_utilsE35device_test_enabled_for_warp_size_vIXT1_EEEvE4typeEPT_S4_S4_S3_.num_agpr, 0
	.set _Z16warp_scan_kernelIfLj28ELj7EENSt9enable_ifIXsr10test_utilsE35device_test_enabled_for_warp_size_vIXT1_EEEvE4typeEPT_S4_S4_S3_.numbered_sgpr, 10
	.set _Z16warp_scan_kernelIfLj28ELj7EENSt9enable_ifIXsr10test_utilsE35device_test_enabled_for_warp_size_vIXT1_EEEvE4typeEPT_S4_S4_S3_.num_named_barrier, 0
	.set _Z16warp_scan_kernelIfLj28ELj7EENSt9enable_ifIXsr10test_utilsE35device_test_enabled_for_warp_size_vIXT1_EEEvE4typeEPT_S4_S4_S3_.private_seg_size, 0
	.set _Z16warp_scan_kernelIfLj28ELj7EENSt9enable_ifIXsr10test_utilsE35device_test_enabled_for_warp_size_vIXT1_EEEvE4typeEPT_S4_S4_S3_.uses_vcc, 1
	.set _Z16warp_scan_kernelIfLj28ELj7EENSt9enable_ifIXsr10test_utilsE35device_test_enabled_for_warp_size_vIXT1_EEEvE4typeEPT_S4_S4_S3_.uses_flat_scratch, 0
	.set _Z16warp_scan_kernelIfLj28ELj7EENSt9enable_ifIXsr10test_utilsE35device_test_enabled_for_warp_size_vIXT1_EEEvE4typeEPT_S4_S4_S3_.has_dyn_sized_stack, 0
	.set _Z16warp_scan_kernelIfLj28ELj7EENSt9enable_ifIXsr10test_utilsE35device_test_enabled_for_warp_size_vIXT1_EEEvE4typeEPT_S4_S4_S3_.has_recursion, 0
	.set _Z16warp_scan_kernelIfLj28ELj7EENSt9enable_ifIXsr10test_utilsE35device_test_enabled_for_warp_size_vIXT1_EEEvE4typeEPT_S4_S4_S3_.has_indirect_call, 0
	.section	.AMDGPU.csdata,"",@progbits
; Kernel info:
; codeLenInByte = 408
; TotalNumSgprs: 14
; NumVgprs: 7
; ScratchSize: 0
; MemoryBound: 0
; FloatMode: 240
; IeeeMode: 1
; LDSByteSize: 112 bytes/workgroup (compile time only)
; SGPRBlocks: 1
; VGPRBlocks: 1
; NumSGPRsForWavesPerEU: 14
; NumVGPRsForWavesPerEU: 7
; Occupancy: 10
; WaveLimiterHint : 0
; COMPUTE_PGM_RSRC2:SCRATCH_EN: 0
; COMPUTE_PGM_RSRC2:USER_SGPR: 6
; COMPUTE_PGM_RSRC2:TRAP_HANDLER: 0
; COMPUTE_PGM_RSRC2:TGID_X_EN: 1
; COMPUTE_PGM_RSRC2:TGID_Y_EN: 0
; COMPUTE_PGM_RSRC2:TGID_Z_EN: 0
; COMPUTE_PGM_RSRC2:TIDIG_COMP_CNT: 0
	.section	.text._Z16warp_scan_kernelIfLj63ELj7EENSt9enable_ifIXsr10test_utilsE35device_test_enabled_for_warp_size_vIXT1_EEEvE4typeEPT_S4_S4_S3_,"axG",@progbits,_Z16warp_scan_kernelIfLj63ELj7EENSt9enable_ifIXsr10test_utilsE35device_test_enabled_for_warp_size_vIXT1_EEEvE4typeEPT_S4_S4_S3_,comdat
	.protected	_Z16warp_scan_kernelIfLj63ELj7EENSt9enable_ifIXsr10test_utilsE35device_test_enabled_for_warp_size_vIXT1_EEEvE4typeEPT_S4_S4_S3_ ; -- Begin function _Z16warp_scan_kernelIfLj63ELj7EENSt9enable_ifIXsr10test_utilsE35device_test_enabled_for_warp_size_vIXT1_EEEvE4typeEPT_S4_S4_S3_
	.globl	_Z16warp_scan_kernelIfLj63ELj7EENSt9enable_ifIXsr10test_utilsE35device_test_enabled_for_warp_size_vIXT1_EEEvE4typeEPT_S4_S4_S3_
	.p2align	8
	.type	_Z16warp_scan_kernelIfLj63ELj7EENSt9enable_ifIXsr10test_utilsE35device_test_enabled_for_warp_size_vIXT1_EEEvE4typeEPT_S4_S4_S3_,@function
_Z16warp_scan_kernelIfLj63ELj7EENSt9enable_ifIXsr10test_utilsE35device_test_enabled_for_warp_size_vIXT1_EEEvE4typeEPT_S4_S4_S3_: ; @_Z16warp_scan_kernelIfLj63ELj7EENSt9enable_ifIXsr10test_utilsE35device_test_enabled_for_warp_size_vIXT1_EEEvE4typeEPT_S4_S4_S3_
; %bb.0:
	s_load_dword s7, s[4:5], 0x2c
	s_load_dwordx4 s[0:3], s[4:5], 0x0
	v_mov_b32_e32 v2, 0
	s_waitcnt lgkmcnt(0)
	s_and_b32 s7, s7, 0xffff
	s_mul_i32 s6, s6, s7
	v_add_u32_e32 v1, s6, v0
	v_lshlrev_b64 v[1:2], 2, v[1:2]
	v_mov_b32_e32 v4, s1
	v_add_co_u32_e32 v3, vcc, s0, v1
	v_addc_co_u32_e32 v4, vcc, v4, v2, vcc
	global_load_dword v3, v[3:4], off
	v_mbcnt_lo_u32_b32 v4, -1, 0
	s_mov_b32 s0, 0x24924925
	v_mbcnt_hi_u32_b32 v4, -1, v4
	v_mul_hi_u32 v5, v4, s0
	v_mul_u32_u24_e32 v0, 0x2493, v0
	v_lshrrev_b32_e32 v0, 16, v0
	v_mul_u32_u24_e32 v5, 7, v5
	v_sub_u32_e32 v5, v4, v5
	v_lshlrev_b32_e32 v4, 2, v5
	v_mad_u32_u24 v4, v0, 28, v4
	v_cmp_ne_u32_e32 vcc, 0, v5
	v_add_u32_e32 v0, -4, v4
	s_waitcnt vmcnt(0)
	ds_write_b32 v4, v3
	; wave barrier
	s_and_saveexec_b64 s[0:1], vcc
	s_cbranch_execz .LBB231_2
; %bb.1:
	ds_read_b32 v6, v0
	s_waitcnt lgkmcnt(0)
	v_add_f32_e32 v3, v3, v6
.LBB231_2:
	s_or_b64 exec, exec, s[0:1]
	; wave barrier
	s_and_saveexec_b64 s[0:1], vcc
; %bb.3:
	ds_write_b32 v4, v3
; %bb.4:
	s_or_b64 exec, exec, s[0:1]
	v_cmp_lt_u32_e64 s[0:1], 1, v5
	; wave barrier
	s_and_saveexec_b64 s[6:7], s[0:1]
	s_cbranch_execz .LBB231_6
; %bb.5:
	v_add_u32_e32 v6, -8, v4
	ds_read_b32 v6, v6
	s_waitcnt lgkmcnt(0)
	v_add_f32_e32 v3, v3, v6
.LBB231_6:
	s_or_b64 exec, exec, s[6:7]
	; wave barrier
	s_and_saveexec_b64 s[6:7], s[0:1]
; %bb.7:
	ds_write_b32 v4, v3
; %bb.8:
	s_or_b64 exec, exec, s[6:7]
	s_load_dwordx2 s[6:7], s[4:5], 0x10
	v_cmp_lt_u32_e64 s[0:1], 3, v5
	; wave barrier
	s_and_saveexec_b64 s[8:9], s[0:1]
	s_cbranch_execz .LBB231_10
; %bb.9:
	v_add_u32_e32 v5, -16, v4
	ds_read_b32 v5, v5
	s_waitcnt lgkmcnt(0)
	v_add_f32_e32 v3, v3, v5
.LBB231_10:
	s_or_b64 exec, exec, s[8:9]
	; wave barrier
	s_and_saveexec_b64 s[8:9], s[0:1]
; %bb.11:
	ds_write_b32 v4, v3
; %bb.12:
	s_or_b64 exec, exec, s[8:9]
	s_load_dword s4, s[4:5], 0x18
	; wave barrier
	s_waitcnt lgkmcnt(0)
	v_mov_b32_e32 v4, s4
	s_and_saveexec_b64 s[0:1], vcc
	s_cbranch_execz .LBB231_14
; %bb.13:
	ds_read_b32 v0, v0
	s_waitcnt lgkmcnt(0)
	v_add_f32_e32 v4, s4, v0
.LBB231_14:
	s_or_b64 exec, exec, s[0:1]
	v_add_f32_e32 v0, s4, v3
	v_mov_b32_e32 v3, s3
	v_add_co_u32_e32 v5, vcc, s2, v1
	v_addc_co_u32_e32 v6, vcc, v3, v2, vcc
	global_store_dword v[5:6], v0, off
	v_mov_b32_e32 v3, s7
	v_add_co_u32_e32 v0, vcc, s6, v1
	v_addc_co_u32_e32 v1, vcc, v3, v2, vcc
	global_store_dword v[0:1], v4, off
	s_endpgm
	.section	.rodata,"a",@progbits
	.p2align	6, 0x0
	.amdhsa_kernel _Z16warp_scan_kernelIfLj63ELj7EENSt9enable_ifIXsr10test_utilsE35device_test_enabled_for_warp_size_vIXT1_EEEvE4typeEPT_S4_S4_S3_
		.amdhsa_group_segment_fixed_size 252
		.amdhsa_private_segment_fixed_size 0
		.amdhsa_kernarg_size 288
		.amdhsa_user_sgpr_count 6
		.amdhsa_user_sgpr_private_segment_buffer 1
		.amdhsa_user_sgpr_dispatch_ptr 0
		.amdhsa_user_sgpr_queue_ptr 0
		.amdhsa_user_sgpr_kernarg_segment_ptr 1
		.amdhsa_user_sgpr_dispatch_id 0
		.amdhsa_user_sgpr_flat_scratch_init 0
		.amdhsa_user_sgpr_private_segment_size 0
		.amdhsa_uses_dynamic_stack 0
		.amdhsa_system_sgpr_private_segment_wavefront_offset 0
		.amdhsa_system_sgpr_workgroup_id_x 1
		.amdhsa_system_sgpr_workgroup_id_y 0
		.amdhsa_system_sgpr_workgroup_id_z 0
		.amdhsa_system_sgpr_workgroup_info 0
		.amdhsa_system_vgpr_workitem_id 0
		.amdhsa_next_free_vgpr 7
		.amdhsa_next_free_sgpr 10
		.amdhsa_reserve_vcc 1
		.amdhsa_reserve_flat_scratch 0
		.amdhsa_float_round_mode_32 0
		.amdhsa_float_round_mode_16_64 0
		.amdhsa_float_denorm_mode_32 3
		.amdhsa_float_denorm_mode_16_64 3
		.amdhsa_dx10_clamp 1
		.amdhsa_ieee_mode 1
		.amdhsa_fp16_overflow 0
		.amdhsa_exception_fp_ieee_invalid_op 0
		.amdhsa_exception_fp_denorm_src 0
		.amdhsa_exception_fp_ieee_div_zero 0
		.amdhsa_exception_fp_ieee_overflow 0
		.amdhsa_exception_fp_ieee_underflow 0
		.amdhsa_exception_fp_ieee_inexact 0
		.amdhsa_exception_int_div_zero 0
	.end_amdhsa_kernel
	.section	.text._Z16warp_scan_kernelIfLj63ELj7EENSt9enable_ifIXsr10test_utilsE35device_test_enabled_for_warp_size_vIXT1_EEEvE4typeEPT_S4_S4_S3_,"axG",@progbits,_Z16warp_scan_kernelIfLj63ELj7EENSt9enable_ifIXsr10test_utilsE35device_test_enabled_for_warp_size_vIXT1_EEEvE4typeEPT_S4_S4_S3_,comdat
.Lfunc_end231:
	.size	_Z16warp_scan_kernelIfLj63ELj7EENSt9enable_ifIXsr10test_utilsE35device_test_enabled_for_warp_size_vIXT1_EEEvE4typeEPT_S4_S4_S3_, .Lfunc_end231-_Z16warp_scan_kernelIfLj63ELj7EENSt9enable_ifIXsr10test_utilsE35device_test_enabled_for_warp_size_vIXT1_EEEvE4typeEPT_S4_S4_S3_
                                        ; -- End function
	.set _Z16warp_scan_kernelIfLj63ELj7EENSt9enable_ifIXsr10test_utilsE35device_test_enabled_for_warp_size_vIXT1_EEEvE4typeEPT_S4_S4_S3_.num_vgpr, 7
	.set _Z16warp_scan_kernelIfLj63ELj7EENSt9enable_ifIXsr10test_utilsE35device_test_enabled_for_warp_size_vIXT1_EEEvE4typeEPT_S4_S4_S3_.num_agpr, 0
	.set _Z16warp_scan_kernelIfLj63ELj7EENSt9enable_ifIXsr10test_utilsE35device_test_enabled_for_warp_size_vIXT1_EEEvE4typeEPT_S4_S4_S3_.numbered_sgpr, 10
	.set _Z16warp_scan_kernelIfLj63ELj7EENSt9enable_ifIXsr10test_utilsE35device_test_enabled_for_warp_size_vIXT1_EEEvE4typeEPT_S4_S4_S3_.num_named_barrier, 0
	.set _Z16warp_scan_kernelIfLj63ELj7EENSt9enable_ifIXsr10test_utilsE35device_test_enabled_for_warp_size_vIXT1_EEEvE4typeEPT_S4_S4_S3_.private_seg_size, 0
	.set _Z16warp_scan_kernelIfLj63ELj7EENSt9enable_ifIXsr10test_utilsE35device_test_enabled_for_warp_size_vIXT1_EEEvE4typeEPT_S4_S4_S3_.uses_vcc, 1
	.set _Z16warp_scan_kernelIfLj63ELj7EENSt9enable_ifIXsr10test_utilsE35device_test_enabled_for_warp_size_vIXT1_EEEvE4typeEPT_S4_S4_S3_.uses_flat_scratch, 0
	.set _Z16warp_scan_kernelIfLj63ELj7EENSt9enable_ifIXsr10test_utilsE35device_test_enabled_for_warp_size_vIXT1_EEEvE4typeEPT_S4_S4_S3_.has_dyn_sized_stack, 0
	.set _Z16warp_scan_kernelIfLj63ELj7EENSt9enable_ifIXsr10test_utilsE35device_test_enabled_for_warp_size_vIXT1_EEEvE4typeEPT_S4_S4_S3_.has_recursion, 0
	.set _Z16warp_scan_kernelIfLj63ELj7EENSt9enable_ifIXsr10test_utilsE35device_test_enabled_for_warp_size_vIXT1_EEEvE4typeEPT_S4_S4_S3_.has_indirect_call, 0
	.section	.AMDGPU.csdata,"",@progbits
; Kernel info:
; codeLenInByte = 408
; TotalNumSgprs: 14
; NumVgprs: 7
; ScratchSize: 0
; MemoryBound: 0
; FloatMode: 240
; IeeeMode: 1
; LDSByteSize: 252 bytes/workgroup (compile time only)
; SGPRBlocks: 1
; VGPRBlocks: 1
; NumSGPRsForWavesPerEU: 14
; NumVGPRsForWavesPerEU: 7
; Occupancy: 10
; WaveLimiterHint : 0
; COMPUTE_PGM_RSRC2:SCRATCH_EN: 0
; COMPUTE_PGM_RSRC2:USER_SGPR: 6
; COMPUTE_PGM_RSRC2:TRAP_HANDLER: 0
; COMPUTE_PGM_RSRC2:TGID_X_EN: 1
; COMPUTE_PGM_RSRC2:TGID_Y_EN: 0
; COMPUTE_PGM_RSRC2:TGID_Z_EN: 0
; COMPUTE_PGM_RSRC2:TIDIG_COMP_CNT: 0
	.section	.text._Z16warp_scan_kernelIfLj30ELj3EENSt9enable_ifIXsr10test_utilsE35device_test_enabled_for_warp_size_vIXT1_EEEvE4typeEPT_S4_S4_S3_,"axG",@progbits,_Z16warp_scan_kernelIfLj30ELj3EENSt9enable_ifIXsr10test_utilsE35device_test_enabled_for_warp_size_vIXT1_EEEvE4typeEPT_S4_S4_S3_,comdat
	.protected	_Z16warp_scan_kernelIfLj30ELj3EENSt9enable_ifIXsr10test_utilsE35device_test_enabled_for_warp_size_vIXT1_EEEvE4typeEPT_S4_S4_S3_ ; -- Begin function _Z16warp_scan_kernelIfLj30ELj3EENSt9enable_ifIXsr10test_utilsE35device_test_enabled_for_warp_size_vIXT1_EEEvE4typeEPT_S4_S4_S3_
	.globl	_Z16warp_scan_kernelIfLj30ELj3EENSt9enable_ifIXsr10test_utilsE35device_test_enabled_for_warp_size_vIXT1_EEEvE4typeEPT_S4_S4_S3_
	.p2align	8
	.type	_Z16warp_scan_kernelIfLj30ELj3EENSt9enable_ifIXsr10test_utilsE35device_test_enabled_for_warp_size_vIXT1_EEEvE4typeEPT_S4_S4_S3_,@function
_Z16warp_scan_kernelIfLj30ELj3EENSt9enable_ifIXsr10test_utilsE35device_test_enabled_for_warp_size_vIXT1_EEEvE4typeEPT_S4_S4_S3_: ; @_Z16warp_scan_kernelIfLj30ELj3EENSt9enable_ifIXsr10test_utilsE35device_test_enabled_for_warp_size_vIXT1_EEEvE4typeEPT_S4_S4_S3_
; %bb.0:
	s_load_dword s0, s[4:5], 0x2c
	s_load_dwordx4 s[8:11], s[4:5], 0x0
	v_mov_b32_e32 v2, 0
	s_waitcnt lgkmcnt(0)
	s_and_b32 s0, s0, 0xffff
	s_mul_i32 s6, s6, s0
	v_add_u32_e32 v1, s6, v0
	v_lshlrev_b64 v[1:2], 2, v[1:2]
	v_mov_b32_e32 v4, s9
	v_add_co_u32_e32 v3, vcc, s8, v1
	v_addc_co_u32_e32 v4, vcc, v4, v2, vcc
	global_load_dword v3, v[3:4], off
	v_mbcnt_lo_u32_b32 v4, -1, 0
	s_mov_b32 s0, 0x55555556
	v_mbcnt_hi_u32_b32 v4, -1, v4
	v_mul_hi_u32 v5, v4, s0
	v_mul_u32_u24_e32 v0, 0x5556, v0
	v_lshrrev_b32_e32 v6, 16, v0
	v_mul_u32_u24_e32 v0, 3, v5
	v_sub_u32_e32 v5, v4, v0
	v_lshlrev_b32_e32 v0, 2, v5
	v_mad_u32_u24 v4, v6, 12, v0
	v_cmp_ne_u32_e32 vcc, 0, v5
	v_add_u32_e32 v0, -4, v4
	s_waitcnt vmcnt(0)
	ds_write_b32 v4, v3
	; wave barrier
	s_and_saveexec_b64 s[0:1], vcc
	s_cbranch_execz .LBB232_2
; %bb.1:
	ds_read_b32 v7, v0
	s_waitcnt lgkmcnt(0)
	v_add_f32_e32 v3, v3, v7
.LBB232_2:
	s_or_b64 exec, exec, s[0:1]
	s_load_dwordx2 s[6:7], s[4:5], 0x10
	v_mul_u32_u24_e32 v6, 12, v6
	; wave barrier
	s_and_saveexec_b64 s[0:1], vcc
; %bb.3:
	ds_write_b32 v4, v3
; %bb.4:
	s_or_b64 exec, exec, s[0:1]
	; wave barrier
	ds_read_b32 v6, v6
	v_cmp_gt_u32_e64 s[0:1], 2, v5
	v_cmp_lt_u32_e64 s[2:3], 1, v5
	; wave barrier
	s_waitcnt lgkmcnt(0)
	v_add_f32_e32 v5, v3, v6
	s_and_saveexec_b64 s[8:9], s[2:3]
; %bb.5:
	ds_write_b32 v4, v5
; %bb.6:
	s_or_b64 exec, exec, s[8:9]
	s_load_dword s4, s[4:5], 0x18
	; wave barrier
	s_waitcnt lgkmcnt(0)
	v_mov_b32_e32 v4, s4
	s_and_saveexec_b64 s[2:3], vcc
	s_cbranch_execz .LBB232_8
; %bb.7:
	ds_read_b32 v0, v0
	s_waitcnt lgkmcnt(0)
	v_add_f32_e32 v4, s4, v0
.LBB232_8:
	s_or_b64 exec, exec, s[2:3]
	v_cndmask_b32_e64 v0, v5, v3, s[0:1]
	v_mov_b32_e32 v3, s11
	v_add_co_u32_e32 v5, vcc, s10, v1
	v_add_f32_e32 v0, s4, v0
	v_addc_co_u32_e32 v6, vcc, v3, v2, vcc
	global_store_dword v[5:6], v0, off
	v_mov_b32_e32 v3, s7
	v_add_co_u32_e32 v0, vcc, s6, v1
	v_addc_co_u32_e32 v1, vcc, v3, v2, vcc
	global_store_dword v[0:1], v4, off
	s_endpgm
	.section	.rodata,"a",@progbits
	.p2align	6, 0x0
	.amdhsa_kernel _Z16warp_scan_kernelIfLj30ELj3EENSt9enable_ifIXsr10test_utilsE35device_test_enabled_for_warp_size_vIXT1_EEEvE4typeEPT_S4_S4_S3_
		.amdhsa_group_segment_fixed_size 120
		.amdhsa_private_segment_fixed_size 0
		.amdhsa_kernarg_size 288
		.amdhsa_user_sgpr_count 6
		.amdhsa_user_sgpr_private_segment_buffer 1
		.amdhsa_user_sgpr_dispatch_ptr 0
		.amdhsa_user_sgpr_queue_ptr 0
		.amdhsa_user_sgpr_kernarg_segment_ptr 1
		.amdhsa_user_sgpr_dispatch_id 0
		.amdhsa_user_sgpr_flat_scratch_init 0
		.amdhsa_user_sgpr_private_segment_size 0
		.amdhsa_uses_dynamic_stack 0
		.amdhsa_system_sgpr_private_segment_wavefront_offset 0
		.amdhsa_system_sgpr_workgroup_id_x 1
		.amdhsa_system_sgpr_workgroup_id_y 0
		.amdhsa_system_sgpr_workgroup_id_z 0
		.amdhsa_system_sgpr_workgroup_info 0
		.amdhsa_system_vgpr_workitem_id 0
		.amdhsa_next_free_vgpr 8
		.amdhsa_next_free_sgpr 12
		.amdhsa_reserve_vcc 1
		.amdhsa_reserve_flat_scratch 0
		.amdhsa_float_round_mode_32 0
		.amdhsa_float_round_mode_16_64 0
		.amdhsa_float_denorm_mode_32 3
		.amdhsa_float_denorm_mode_16_64 3
		.amdhsa_dx10_clamp 1
		.amdhsa_ieee_mode 1
		.amdhsa_fp16_overflow 0
		.amdhsa_exception_fp_ieee_invalid_op 0
		.amdhsa_exception_fp_denorm_src 0
		.amdhsa_exception_fp_ieee_div_zero 0
		.amdhsa_exception_fp_ieee_overflow 0
		.amdhsa_exception_fp_ieee_underflow 0
		.amdhsa_exception_fp_ieee_inexact 0
		.amdhsa_exception_int_div_zero 0
	.end_amdhsa_kernel
	.section	.text._Z16warp_scan_kernelIfLj30ELj3EENSt9enable_ifIXsr10test_utilsE35device_test_enabled_for_warp_size_vIXT1_EEEvE4typeEPT_S4_S4_S3_,"axG",@progbits,_Z16warp_scan_kernelIfLj30ELj3EENSt9enable_ifIXsr10test_utilsE35device_test_enabled_for_warp_size_vIXT1_EEEvE4typeEPT_S4_S4_S3_,comdat
.Lfunc_end232:
	.size	_Z16warp_scan_kernelIfLj30ELj3EENSt9enable_ifIXsr10test_utilsE35device_test_enabled_for_warp_size_vIXT1_EEEvE4typeEPT_S4_S4_S3_, .Lfunc_end232-_Z16warp_scan_kernelIfLj30ELj3EENSt9enable_ifIXsr10test_utilsE35device_test_enabled_for_warp_size_vIXT1_EEEvE4typeEPT_S4_S4_S3_
                                        ; -- End function
	.set _Z16warp_scan_kernelIfLj30ELj3EENSt9enable_ifIXsr10test_utilsE35device_test_enabled_for_warp_size_vIXT1_EEEvE4typeEPT_S4_S4_S3_.num_vgpr, 8
	.set _Z16warp_scan_kernelIfLj30ELj3EENSt9enable_ifIXsr10test_utilsE35device_test_enabled_for_warp_size_vIXT1_EEEvE4typeEPT_S4_S4_S3_.num_agpr, 0
	.set _Z16warp_scan_kernelIfLj30ELj3EENSt9enable_ifIXsr10test_utilsE35device_test_enabled_for_warp_size_vIXT1_EEEvE4typeEPT_S4_S4_S3_.numbered_sgpr, 12
	.set _Z16warp_scan_kernelIfLj30ELj3EENSt9enable_ifIXsr10test_utilsE35device_test_enabled_for_warp_size_vIXT1_EEEvE4typeEPT_S4_S4_S3_.num_named_barrier, 0
	.set _Z16warp_scan_kernelIfLj30ELj3EENSt9enable_ifIXsr10test_utilsE35device_test_enabled_for_warp_size_vIXT1_EEEvE4typeEPT_S4_S4_S3_.private_seg_size, 0
	.set _Z16warp_scan_kernelIfLj30ELj3EENSt9enable_ifIXsr10test_utilsE35device_test_enabled_for_warp_size_vIXT1_EEEvE4typeEPT_S4_S4_S3_.uses_vcc, 1
	.set _Z16warp_scan_kernelIfLj30ELj3EENSt9enable_ifIXsr10test_utilsE35device_test_enabled_for_warp_size_vIXT1_EEEvE4typeEPT_S4_S4_S3_.uses_flat_scratch, 0
	.set _Z16warp_scan_kernelIfLj30ELj3EENSt9enable_ifIXsr10test_utilsE35device_test_enabled_for_warp_size_vIXT1_EEEvE4typeEPT_S4_S4_S3_.has_dyn_sized_stack, 0
	.set _Z16warp_scan_kernelIfLj30ELj3EENSt9enable_ifIXsr10test_utilsE35device_test_enabled_for_warp_size_vIXT1_EEEvE4typeEPT_S4_S4_S3_.has_recursion, 0
	.set _Z16warp_scan_kernelIfLj30ELj3EENSt9enable_ifIXsr10test_utilsE35device_test_enabled_for_warp_size_vIXT1_EEEvE4typeEPT_S4_S4_S3_.has_indirect_call, 0
	.section	.AMDGPU.csdata,"",@progbits
; Kernel info:
; codeLenInByte = 356
; TotalNumSgprs: 16
; NumVgprs: 8
; ScratchSize: 0
; MemoryBound: 0
; FloatMode: 240
; IeeeMode: 1
; LDSByteSize: 120 bytes/workgroup (compile time only)
; SGPRBlocks: 1
; VGPRBlocks: 1
; NumSGPRsForWavesPerEU: 16
; NumVGPRsForWavesPerEU: 8
; Occupancy: 10
; WaveLimiterHint : 0
; COMPUTE_PGM_RSRC2:SCRATCH_EN: 0
; COMPUTE_PGM_RSRC2:USER_SGPR: 6
; COMPUTE_PGM_RSRC2:TRAP_HANDLER: 0
; COMPUTE_PGM_RSRC2:TGID_X_EN: 1
; COMPUTE_PGM_RSRC2:TGID_Y_EN: 0
; COMPUTE_PGM_RSRC2:TGID_Z_EN: 0
; COMPUTE_PGM_RSRC2:TIDIG_COMP_CNT: 0
	.section	.text._Z16warp_scan_kernelIfLj63ELj3EENSt9enable_ifIXsr10test_utilsE35device_test_enabled_for_warp_size_vIXT1_EEEvE4typeEPT_S4_S4_S3_,"axG",@progbits,_Z16warp_scan_kernelIfLj63ELj3EENSt9enable_ifIXsr10test_utilsE35device_test_enabled_for_warp_size_vIXT1_EEEvE4typeEPT_S4_S4_S3_,comdat
	.protected	_Z16warp_scan_kernelIfLj63ELj3EENSt9enable_ifIXsr10test_utilsE35device_test_enabled_for_warp_size_vIXT1_EEEvE4typeEPT_S4_S4_S3_ ; -- Begin function _Z16warp_scan_kernelIfLj63ELj3EENSt9enable_ifIXsr10test_utilsE35device_test_enabled_for_warp_size_vIXT1_EEEvE4typeEPT_S4_S4_S3_
	.globl	_Z16warp_scan_kernelIfLj63ELj3EENSt9enable_ifIXsr10test_utilsE35device_test_enabled_for_warp_size_vIXT1_EEEvE4typeEPT_S4_S4_S3_
	.p2align	8
	.type	_Z16warp_scan_kernelIfLj63ELj3EENSt9enable_ifIXsr10test_utilsE35device_test_enabled_for_warp_size_vIXT1_EEEvE4typeEPT_S4_S4_S3_,@function
_Z16warp_scan_kernelIfLj63ELj3EENSt9enable_ifIXsr10test_utilsE35device_test_enabled_for_warp_size_vIXT1_EEEvE4typeEPT_S4_S4_S3_: ; @_Z16warp_scan_kernelIfLj63ELj3EENSt9enable_ifIXsr10test_utilsE35device_test_enabled_for_warp_size_vIXT1_EEEvE4typeEPT_S4_S4_S3_
; %bb.0:
	s_load_dword s0, s[4:5], 0x2c
	s_load_dwordx4 s[8:11], s[4:5], 0x0
	v_mov_b32_e32 v2, 0
	s_waitcnt lgkmcnt(0)
	s_and_b32 s0, s0, 0xffff
	s_mul_i32 s6, s6, s0
	v_add_u32_e32 v1, s6, v0
	v_lshlrev_b64 v[1:2], 2, v[1:2]
	v_mov_b32_e32 v4, s9
	v_add_co_u32_e32 v3, vcc, s8, v1
	v_addc_co_u32_e32 v4, vcc, v4, v2, vcc
	global_load_dword v3, v[3:4], off
	v_mbcnt_lo_u32_b32 v4, -1, 0
	s_mov_b32 s0, 0x55555556
	v_mbcnt_hi_u32_b32 v4, -1, v4
	v_mul_hi_u32 v5, v4, s0
	v_mul_u32_u24_e32 v0, 0x5556, v0
	v_lshrrev_b32_e32 v6, 16, v0
	v_mul_u32_u24_e32 v0, 3, v5
	v_sub_u32_e32 v5, v4, v0
	v_lshlrev_b32_e32 v0, 2, v5
	v_mad_u32_u24 v4, v6, 12, v0
	v_cmp_ne_u32_e32 vcc, 0, v5
	v_add_u32_e32 v0, -4, v4
	s_waitcnt vmcnt(0)
	ds_write_b32 v4, v3
	; wave barrier
	s_and_saveexec_b64 s[0:1], vcc
	s_cbranch_execz .LBB233_2
; %bb.1:
	ds_read_b32 v7, v0
	s_waitcnt lgkmcnt(0)
	v_add_f32_e32 v3, v3, v7
.LBB233_2:
	s_or_b64 exec, exec, s[0:1]
	s_load_dwordx2 s[6:7], s[4:5], 0x10
	v_mul_u32_u24_e32 v6, 12, v6
	; wave barrier
	s_and_saveexec_b64 s[0:1], vcc
; %bb.3:
	ds_write_b32 v4, v3
; %bb.4:
	s_or_b64 exec, exec, s[0:1]
	; wave barrier
	ds_read_b32 v6, v6
	v_cmp_gt_u32_e64 s[0:1], 2, v5
	v_cmp_lt_u32_e64 s[2:3], 1, v5
	; wave barrier
	s_waitcnt lgkmcnt(0)
	v_add_f32_e32 v5, v3, v6
	s_and_saveexec_b64 s[8:9], s[2:3]
; %bb.5:
	ds_write_b32 v4, v5
; %bb.6:
	s_or_b64 exec, exec, s[8:9]
	s_load_dword s4, s[4:5], 0x18
	; wave barrier
	s_waitcnt lgkmcnt(0)
	v_mov_b32_e32 v4, s4
	s_and_saveexec_b64 s[2:3], vcc
	s_cbranch_execz .LBB233_8
; %bb.7:
	ds_read_b32 v0, v0
	s_waitcnt lgkmcnt(0)
	v_add_f32_e32 v4, s4, v0
.LBB233_8:
	s_or_b64 exec, exec, s[2:3]
	v_cndmask_b32_e64 v0, v5, v3, s[0:1]
	v_mov_b32_e32 v3, s11
	v_add_co_u32_e32 v5, vcc, s10, v1
	v_add_f32_e32 v0, s4, v0
	v_addc_co_u32_e32 v6, vcc, v3, v2, vcc
	global_store_dword v[5:6], v0, off
	v_mov_b32_e32 v3, s7
	v_add_co_u32_e32 v0, vcc, s6, v1
	v_addc_co_u32_e32 v1, vcc, v3, v2, vcc
	global_store_dword v[0:1], v4, off
	s_endpgm
	.section	.rodata,"a",@progbits
	.p2align	6, 0x0
	.amdhsa_kernel _Z16warp_scan_kernelIfLj63ELj3EENSt9enable_ifIXsr10test_utilsE35device_test_enabled_for_warp_size_vIXT1_EEEvE4typeEPT_S4_S4_S3_
		.amdhsa_group_segment_fixed_size 252
		.amdhsa_private_segment_fixed_size 0
		.amdhsa_kernarg_size 288
		.amdhsa_user_sgpr_count 6
		.amdhsa_user_sgpr_private_segment_buffer 1
		.amdhsa_user_sgpr_dispatch_ptr 0
		.amdhsa_user_sgpr_queue_ptr 0
		.amdhsa_user_sgpr_kernarg_segment_ptr 1
		.amdhsa_user_sgpr_dispatch_id 0
		.amdhsa_user_sgpr_flat_scratch_init 0
		.amdhsa_user_sgpr_private_segment_size 0
		.amdhsa_uses_dynamic_stack 0
		.amdhsa_system_sgpr_private_segment_wavefront_offset 0
		.amdhsa_system_sgpr_workgroup_id_x 1
		.amdhsa_system_sgpr_workgroup_id_y 0
		.amdhsa_system_sgpr_workgroup_id_z 0
		.amdhsa_system_sgpr_workgroup_info 0
		.amdhsa_system_vgpr_workitem_id 0
		.amdhsa_next_free_vgpr 8
		.amdhsa_next_free_sgpr 12
		.amdhsa_reserve_vcc 1
		.amdhsa_reserve_flat_scratch 0
		.amdhsa_float_round_mode_32 0
		.amdhsa_float_round_mode_16_64 0
		.amdhsa_float_denorm_mode_32 3
		.amdhsa_float_denorm_mode_16_64 3
		.amdhsa_dx10_clamp 1
		.amdhsa_ieee_mode 1
		.amdhsa_fp16_overflow 0
		.amdhsa_exception_fp_ieee_invalid_op 0
		.amdhsa_exception_fp_denorm_src 0
		.amdhsa_exception_fp_ieee_div_zero 0
		.amdhsa_exception_fp_ieee_overflow 0
		.amdhsa_exception_fp_ieee_underflow 0
		.amdhsa_exception_fp_ieee_inexact 0
		.amdhsa_exception_int_div_zero 0
	.end_amdhsa_kernel
	.section	.text._Z16warp_scan_kernelIfLj63ELj3EENSt9enable_ifIXsr10test_utilsE35device_test_enabled_for_warp_size_vIXT1_EEEvE4typeEPT_S4_S4_S3_,"axG",@progbits,_Z16warp_scan_kernelIfLj63ELj3EENSt9enable_ifIXsr10test_utilsE35device_test_enabled_for_warp_size_vIXT1_EEEvE4typeEPT_S4_S4_S3_,comdat
.Lfunc_end233:
	.size	_Z16warp_scan_kernelIfLj63ELj3EENSt9enable_ifIXsr10test_utilsE35device_test_enabled_for_warp_size_vIXT1_EEEvE4typeEPT_S4_S4_S3_, .Lfunc_end233-_Z16warp_scan_kernelIfLj63ELj3EENSt9enable_ifIXsr10test_utilsE35device_test_enabled_for_warp_size_vIXT1_EEEvE4typeEPT_S4_S4_S3_
                                        ; -- End function
	.set _Z16warp_scan_kernelIfLj63ELj3EENSt9enable_ifIXsr10test_utilsE35device_test_enabled_for_warp_size_vIXT1_EEEvE4typeEPT_S4_S4_S3_.num_vgpr, 8
	.set _Z16warp_scan_kernelIfLj63ELj3EENSt9enable_ifIXsr10test_utilsE35device_test_enabled_for_warp_size_vIXT1_EEEvE4typeEPT_S4_S4_S3_.num_agpr, 0
	.set _Z16warp_scan_kernelIfLj63ELj3EENSt9enable_ifIXsr10test_utilsE35device_test_enabled_for_warp_size_vIXT1_EEEvE4typeEPT_S4_S4_S3_.numbered_sgpr, 12
	.set _Z16warp_scan_kernelIfLj63ELj3EENSt9enable_ifIXsr10test_utilsE35device_test_enabled_for_warp_size_vIXT1_EEEvE4typeEPT_S4_S4_S3_.num_named_barrier, 0
	.set _Z16warp_scan_kernelIfLj63ELj3EENSt9enable_ifIXsr10test_utilsE35device_test_enabled_for_warp_size_vIXT1_EEEvE4typeEPT_S4_S4_S3_.private_seg_size, 0
	.set _Z16warp_scan_kernelIfLj63ELj3EENSt9enable_ifIXsr10test_utilsE35device_test_enabled_for_warp_size_vIXT1_EEEvE4typeEPT_S4_S4_S3_.uses_vcc, 1
	.set _Z16warp_scan_kernelIfLj63ELj3EENSt9enable_ifIXsr10test_utilsE35device_test_enabled_for_warp_size_vIXT1_EEEvE4typeEPT_S4_S4_S3_.uses_flat_scratch, 0
	.set _Z16warp_scan_kernelIfLj63ELj3EENSt9enable_ifIXsr10test_utilsE35device_test_enabled_for_warp_size_vIXT1_EEEvE4typeEPT_S4_S4_S3_.has_dyn_sized_stack, 0
	.set _Z16warp_scan_kernelIfLj63ELj3EENSt9enable_ifIXsr10test_utilsE35device_test_enabled_for_warp_size_vIXT1_EEEvE4typeEPT_S4_S4_S3_.has_recursion, 0
	.set _Z16warp_scan_kernelIfLj63ELj3EENSt9enable_ifIXsr10test_utilsE35device_test_enabled_for_warp_size_vIXT1_EEEvE4typeEPT_S4_S4_S3_.has_indirect_call, 0
	.section	.AMDGPU.csdata,"",@progbits
; Kernel info:
; codeLenInByte = 356
; TotalNumSgprs: 16
; NumVgprs: 8
; ScratchSize: 0
; MemoryBound: 0
; FloatMode: 240
; IeeeMode: 1
; LDSByteSize: 252 bytes/workgroup (compile time only)
; SGPRBlocks: 1
; VGPRBlocks: 1
; NumSGPRsForWavesPerEU: 16
; NumVGPRsForWavesPerEU: 8
; Occupancy: 10
; WaveLimiterHint : 0
; COMPUTE_PGM_RSRC2:SCRATCH_EN: 0
; COMPUTE_PGM_RSRC2:USER_SGPR: 6
; COMPUTE_PGM_RSRC2:TRAP_HANDLER: 0
; COMPUTE_PGM_RSRC2:TGID_X_EN: 1
; COMPUTE_PGM_RSRC2:TGID_Y_EN: 0
; COMPUTE_PGM_RSRC2:TGID_Z_EN: 0
; COMPUTE_PGM_RSRC2:TIDIG_COMP_CNT: 0
	.section	.text._Z16warp_scan_kernelIiLj1ELj61EENSt9enable_ifIXsr10test_utilsE35device_test_enabled_for_warp_size_vIXT1_EEEvE4typeEPT_S4_S4_S3_,"axG",@progbits,_Z16warp_scan_kernelIiLj1ELj61EENSt9enable_ifIXsr10test_utilsE35device_test_enabled_for_warp_size_vIXT1_EEEvE4typeEPT_S4_S4_S3_,comdat
	.protected	_Z16warp_scan_kernelIiLj1ELj61EENSt9enable_ifIXsr10test_utilsE35device_test_enabled_for_warp_size_vIXT1_EEEvE4typeEPT_S4_S4_S3_ ; -- Begin function _Z16warp_scan_kernelIiLj1ELj61EENSt9enable_ifIXsr10test_utilsE35device_test_enabled_for_warp_size_vIXT1_EEEvE4typeEPT_S4_S4_S3_
	.globl	_Z16warp_scan_kernelIiLj1ELj61EENSt9enable_ifIXsr10test_utilsE35device_test_enabled_for_warp_size_vIXT1_EEEvE4typeEPT_S4_S4_S3_
	.p2align	8
	.type	_Z16warp_scan_kernelIiLj1ELj61EENSt9enable_ifIXsr10test_utilsE35device_test_enabled_for_warp_size_vIXT1_EEEvE4typeEPT_S4_S4_S3_,@function
_Z16warp_scan_kernelIiLj1ELj61EENSt9enable_ifIXsr10test_utilsE35device_test_enabled_for_warp_size_vIXT1_EEEvE4typeEPT_S4_S4_S3_: ; @_Z16warp_scan_kernelIiLj1ELj61EENSt9enable_ifIXsr10test_utilsE35device_test_enabled_for_warp_size_vIXT1_EEEvE4typeEPT_S4_S4_S3_
; %bb.0:
	s_load_dword s8, s[4:5], 0x2c
	s_load_dwordx4 s[0:3], s[4:5], 0x0
	s_mov_b32 s7, 0
	v_mbcnt_lo_u32_b32 v0, -1, 0
	v_mbcnt_hi_u32_b32 v0, -1, v0
	s_waitcnt lgkmcnt(0)
	s_and_b32 s8, s8, 0xffff
	s_mul_i32 s6, s6, s8
	s_lshl_b64 s[6:7], s[6:7], 2
	s_mov_b32 s8, 0x4325c54
	s_add_u32 s0, s0, s6
	v_mul_hi_u32 v1, v0, s8
	s_addc_u32 s1, s1, s7
	s_load_dword s8, s[0:1], 0x0
	v_mul_u32_u24_e32 v1, 61, v1
	v_sub_u32_e32 v0, v0, v1
	v_lshlrev_b32_e32 v2, 2, v0
	s_waitcnt lgkmcnt(0)
	v_mov_b32_e32 v1, s8
	v_cmp_eq_u32_e64 s[0:1], 0, v0
	v_readfirstlane_b32 s12, v0
	ds_write_b32 v2, v1
	v_cmp_ne_u32_e32 vcc, 0, v0
	s_and_b64 s[0:1], s[0:1], exec
	v_add_u32_e32 v1, -4, v2
	; wave barrier
	s_cbranch_scc1 .LBB234_2
; %bb.1:
	ds_read_b32 v0, v1
	s_waitcnt lgkmcnt(0)
	v_add_u32_e32 v0, s8, v0
	s_branch .LBB234_3
.LBB234_2:
	v_mov_b32_e32 v0, s8
.LBB234_3:
	v_cndmask_b32_e64 v3, 0, 1, vcc
	v_cmp_ne_u32_e64 s[0:1], 1, v3
	s_andn2_b64 vcc, exec, vcc
	; wave barrier
	s_cbranch_vccnz .LBB234_5
; %bb.4:
	ds_write_b32 v2, v0
.LBB234_5:
	s_cmp_gt_u32 s12, 1
	s_cselect_b64 s[8:9], -1, 0
	s_cmp_lt_u32 s12, 2
	; wave barrier
	s_cbranch_scc1 .LBB234_7
; %bb.6:
	v_add_u32_e32 v3, -8, v2
	ds_read_b32 v3, v3
	s_waitcnt lgkmcnt(0)
	v_add_u32_e32 v0, v3, v0
.LBB234_7:
	s_andn2_b64 vcc, exec, s[8:9]
	; wave barrier
	s_cbranch_vccnz .LBB234_9
; %bb.8:
	ds_write_b32 v2, v0
.LBB234_9:
	s_cmp_gt_u32 s12, 3
	s_cselect_b64 s[8:9], -1, 0
	s_cmp_lt_u32 s12, 4
	; wave barrier
	s_cbranch_scc1 .LBB234_11
; %bb.10:
	v_add_u32_e32 v3, -16, v2
	ds_read_b32 v3, v3
	s_waitcnt lgkmcnt(0)
	v_add_u32_e32 v0, v3, v0
.LBB234_11:
	s_andn2_b64 vcc, exec, s[8:9]
	; wave barrier
	s_cbranch_vccnz .LBB234_13
; %bb.12:
	ds_write_b32 v2, v0
.LBB234_13:
	s_cmp_gt_u32 s12, 7
	s_cselect_b64 s[8:9], -1, 0
	s_cmp_lt_u32 s12, 8
	; wave barrier
	s_cbranch_scc1 .LBB234_15
; %bb.14:
	v_subrev_u32_e32 v3, 32, v2
	ds_read_b32 v3, v3
	s_waitcnt lgkmcnt(0)
	v_add_u32_e32 v0, v3, v0
.LBB234_15:
	s_andn2_b64 vcc, exec, s[8:9]
	; wave barrier
	s_cbranch_vccnz .LBB234_17
; %bb.16:
	ds_write_b32 v2, v0
.LBB234_17:
	s_cmp_gt_u32 s12, 15
	s_cselect_b64 s[8:9], -1, 0
	s_cmp_lt_u32 s12, 16
	; wave barrier
	s_cbranch_scc1 .LBB234_19
; %bb.18:
	v_subrev_u32_e32 v3, 64, v2
	ds_read_b32 v3, v3
	s_waitcnt lgkmcnt(0)
	v_add_u32_e32 v0, v3, v0
.LBB234_19:
	s_andn2_b64 vcc, exec, s[8:9]
	; wave barrier
	s_cbranch_vccnz .LBB234_21
; %bb.20:
	ds_write_b32 v2, v0
.LBB234_21:
	s_load_dwordx2 s[8:9], s[4:5], 0x10
	s_cmp_gt_u32 s12, 31
	s_cselect_b64 s[10:11], -1, 0
	s_cmp_lt_u32 s12, 32
	; wave barrier
	s_cbranch_scc1 .LBB234_23
; %bb.22:
	v_add_u32_e32 v3, 0xffffff80, v2
	ds_read_b32 v3, v3
	s_waitcnt lgkmcnt(0)
	v_add_u32_e32 v0, v3, v0
.LBB234_23:
	s_andn2_b64 vcc, exec, s[10:11]
	; wave barrier
	s_cbranch_vccnz .LBB234_25
; %bb.24:
	ds_write_b32 v2, v0
.LBB234_25:
	s_load_dword s4, s[4:5], 0x18
	s_and_b64 vcc, exec, s[0:1]
	; wave barrier
	s_cbranch_vccnz .LBB234_27
; %bb.26:
	ds_read_b32 v1, v1
	s_waitcnt lgkmcnt(0)
	v_add_u32_e32 v1, s4, v1
	s_branch .LBB234_28
.LBB234_27:
	s_waitcnt lgkmcnt(0)
	v_mov_b32_e32 v1, s4
.LBB234_28:
	s_add_u32 s0, s2, s6
	v_add_u32_e32 v0, s4, v0
	s_addc_u32 s1, s3, s7
	v_mov_b32_e32 v2, 0
	global_store_dword v2, v0, s[0:1]
	s_add_u32 s0, s8, s6
	s_addc_u32 s1, s9, s7
	global_store_dword v2, v1, s[0:1]
	s_endpgm
	.section	.rodata,"a",@progbits
	.p2align	6, 0x0
	.amdhsa_kernel _Z16warp_scan_kernelIiLj1ELj61EENSt9enable_ifIXsr10test_utilsE35device_test_enabled_for_warp_size_vIXT1_EEEvE4typeEPT_S4_S4_S3_
		.amdhsa_group_segment_fixed_size 244
		.amdhsa_private_segment_fixed_size 0
		.amdhsa_kernarg_size 288
		.amdhsa_user_sgpr_count 6
		.amdhsa_user_sgpr_private_segment_buffer 1
		.amdhsa_user_sgpr_dispatch_ptr 0
		.amdhsa_user_sgpr_queue_ptr 0
		.amdhsa_user_sgpr_kernarg_segment_ptr 1
		.amdhsa_user_sgpr_dispatch_id 0
		.amdhsa_user_sgpr_flat_scratch_init 0
		.amdhsa_user_sgpr_private_segment_size 0
		.amdhsa_uses_dynamic_stack 0
		.amdhsa_system_sgpr_private_segment_wavefront_offset 0
		.amdhsa_system_sgpr_workgroup_id_x 1
		.amdhsa_system_sgpr_workgroup_id_y 0
		.amdhsa_system_sgpr_workgroup_id_z 0
		.amdhsa_system_sgpr_workgroup_info 0
		.amdhsa_system_vgpr_workitem_id 0
		.amdhsa_next_free_vgpr 4
		.amdhsa_next_free_sgpr 13
		.amdhsa_reserve_vcc 1
		.amdhsa_reserve_flat_scratch 0
		.amdhsa_float_round_mode_32 0
		.amdhsa_float_round_mode_16_64 0
		.amdhsa_float_denorm_mode_32 3
		.amdhsa_float_denorm_mode_16_64 3
		.amdhsa_dx10_clamp 1
		.amdhsa_ieee_mode 1
		.amdhsa_fp16_overflow 0
		.amdhsa_exception_fp_ieee_invalid_op 0
		.amdhsa_exception_fp_denorm_src 0
		.amdhsa_exception_fp_ieee_div_zero 0
		.amdhsa_exception_fp_ieee_overflow 0
		.amdhsa_exception_fp_ieee_underflow 0
		.amdhsa_exception_fp_ieee_inexact 0
		.amdhsa_exception_int_div_zero 0
	.end_amdhsa_kernel
	.section	.text._Z16warp_scan_kernelIiLj1ELj61EENSt9enable_ifIXsr10test_utilsE35device_test_enabled_for_warp_size_vIXT1_EEEvE4typeEPT_S4_S4_S3_,"axG",@progbits,_Z16warp_scan_kernelIiLj1ELj61EENSt9enable_ifIXsr10test_utilsE35device_test_enabled_for_warp_size_vIXT1_EEEvE4typeEPT_S4_S4_S3_,comdat
.Lfunc_end234:
	.size	_Z16warp_scan_kernelIiLj1ELj61EENSt9enable_ifIXsr10test_utilsE35device_test_enabled_for_warp_size_vIXT1_EEEvE4typeEPT_S4_S4_S3_, .Lfunc_end234-_Z16warp_scan_kernelIiLj1ELj61EENSt9enable_ifIXsr10test_utilsE35device_test_enabled_for_warp_size_vIXT1_EEEvE4typeEPT_S4_S4_S3_
                                        ; -- End function
	.set _Z16warp_scan_kernelIiLj1ELj61EENSt9enable_ifIXsr10test_utilsE35device_test_enabled_for_warp_size_vIXT1_EEEvE4typeEPT_S4_S4_S3_.num_vgpr, 4
	.set _Z16warp_scan_kernelIiLj1ELj61EENSt9enable_ifIXsr10test_utilsE35device_test_enabled_for_warp_size_vIXT1_EEEvE4typeEPT_S4_S4_S3_.num_agpr, 0
	.set _Z16warp_scan_kernelIiLj1ELj61EENSt9enable_ifIXsr10test_utilsE35device_test_enabled_for_warp_size_vIXT1_EEEvE4typeEPT_S4_S4_S3_.numbered_sgpr, 13
	.set _Z16warp_scan_kernelIiLj1ELj61EENSt9enable_ifIXsr10test_utilsE35device_test_enabled_for_warp_size_vIXT1_EEEvE4typeEPT_S4_S4_S3_.num_named_barrier, 0
	.set _Z16warp_scan_kernelIiLj1ELj61EENSt9enable_ifIXsr10test_utilsE35device_test_enabled_for_warp_size_vIXT1_EEEvE4typeEPT_S4_S4_S3_.private_seg_size, 0
	.set _Z16warp_scan_kernelIiLj1ELj61EENSt9enable_ifIXsr10test_utilsE35device_test_enabled_for_warp_size_vIXT1_EEEvE4typeEPT_S4_S4_S3_.uses_vcc, 1
	.set _Z16warp_scan_kernelIiLj1ELj61EENSt9enable_ifIXsr10test_utilsE35device_test_enabled_for_warp_size_vIXT1_EEEvE4typeEPT_S4_S4_S3_.uses_flat_scratch, 0
	.set _Z16warp_scan_kernelIiLj1ELj61EENSt9enable_ifIXsr10test_utilsE35device_test_enabled_for_warp_size_vIXT1_EEEvE4typeEPT_S4_S4_S3_.has_dyn_sized_stack, 0
	.set _Z16warp_scan_kernelIiLj1ELj61EENSt9enable_ifIXsr10test_utilsE35device_test_enabled_for_warp_size_vIXT1_EEEvE4typeEPT_S4_S4_S3_.has_recursion, 0
	.set _Z16warp_scan_kernelIiLj1ELj61EENSt9enable_ifIXsr10test_utilsE35device_test_enabled_for_warp_size_vIXT1_EEEvE4typeEPT_S4_S4_S3_.has_indirect_call, 0
	.section	.AMDGPU.csdata,"",@progbits
; Kernel info:
; codeLenInByte = 560
; TotalNumSgprs: 17
; NumVgprs: 4
; ScratchSize: 0
; MemoryBound: 0
; FloatMode: 240
; IeeeMode: 1
; LDSByteSize: 244 bytes/workgroup (compile time only)
; SGPRBlocks: 2
; VGPRBlocks: 0
; NumSGPRsForWavesPerEU: 17
; NumVGPRsForWavesPerEU: 4
; Occupancy: 10
; WaveLimiterHint : 0
; COMPUTE_PGM_RSRC2:SCRATCH_EN: 0
; COMPUTE_PGM_RSRC2:USER_SGPR: 6
; COMPUTE_PGM_RSRC2:TRAP_HANDLER: 0
; COMPUTE_PGM_RSRC2:TGID_X_EN: 1
; COMPUTE_PGM_RSRC2:TGID_Y_EN: 0
; COMPUTE_PGM_RSRC2:TGID_Z_EN: 0
; COMPUTE_PGM_RSRC2:TIDIG_COMP_CNT: 0
	.section	.text._Z16warp_scan_kernelIiLj61ELj61EENSt9enable_ifIXsr10test_utilsE35device_test_enabled_for_warp_size_vIXT1_EEEvE4typeEPT_S4_S4_S3_,"axG",@progbits,_Z16warp_scan_kernelIiLj61ELj61EENSt9enable_ifIXsr10test_utilsE35device_test_enabled_for_warp_size_vIXT1_EEEvE4typeEPT_S4_S4_S3_,comdat
	.protected	_Z16warp_scan_kernelIiLj61ELj61EENSt9enable_ifIXsr10test_utilsE35device_test_enabled_for_warp_size_vIXT1_EEEvE4typeEPT_S4_S4_S3_ ; -- Begin function _Z16warp_scan_kernelIiLj61ELj61EENSt9enable_ifIXsr10test_utilsE35device_test_enabled_for_warp_size_vIXT1_EEEvE4typeEPT_S4_S4_S3_
	.globl	_Z16warp_scan_kernelIiLj61ELj61EENSt9enable_ifIXsr10test_utilsE35device_test_enabled_for_warp_size_vIXT1_EEEvE4typeEPT_S4_S4_S3_
	.p2align	8
	.type	_Z16warp_scan_kernelIiLj61ELj61EENSt9enable_ifIXsr10test_utilsE35device_test_enabled_for_warp_size_vIXT1_EEEvE4typeEPT_S4_S4_S3_,@function
_Z16warp_scan_kernelIiLj61ELj61EENSt9enable_ifIXsr10test_utilsE35device_test_enabled_for_warp_size_vIXT1_EEEvE4typeEPT_S4_S4_S3_: ; @_Z16warp_scan_kernelIiLj61ELj61EENSt9enable_ifIXsr10test_utilsE35device_test_enabled_for_warp_size_vIXT1_EEEvE4typeEPT_S4_S4_S3_
; %bb.0:
	s_load_dword s7, s[4:5], 0x2c
	s_load_dwordx4 s[0:3], s[4:5], 0x0
	v_mov_b32_e32 v2, 0
	s_waitcnt lgkmcnt(0)
	s_and_b32 s7, s7, 0xffff
	s_mul_i32 s6, s6, s7
	v_add_u32_e32 v1, s6, v0
	v_lshlrev_b64 v[1:2], 2, v[1:2]
	v_mov_b32_e32 v4, s1
	v_add_co_u32_e32 v3, vcc, s0, v1
	v_addc_co_u32_e32 v4, vcc, v4, v2, vcc
	global_load_dword v3, v[3:4], off
	v_mbcnt_lo_u32_b32 v4, -1, 0
	s_mov_b32 s0, 0x4325c54
	v_mbcnt_hi_u32_b32 v4, -1, v4
	v_mul_hi_u32 v5, v4, s0
	v_mul_u32_u24_e32 v0, 0x433, v0
	s_movk_i32 s0, 0xf4
	v_lshrrev_b32_e32 v0, 16, v0
	v_mul_u32_u24_e32 v5, 61, v5
	v_sub_u32_e32 v5, v4, v5
	v_lshlrev_b32_e32 v4, 2, v5
	v_mad_u32_u24 v4, v0, s0, v4
	v_cmp_ne_u32_e32 vcc, 0, v5
	v_add_u32_e32 v0, -4, v4
	s_waitcnt vmcnt(0)
	ds_write_b32 v4, v3
	; wave barrier
	s_and_saveexec_b64 s[0:1], vcc
	s_cbranch_execz .LBB235_2
; %bb.1:
	ds_read_b32 v6, v0
	s_waitcnt lgkmcnt(0)
	v_add_u32_e32 v3, v6, v3
.LBB235_2:
	s_or_b64 exec, exec, s[0:1]
	; wave barrier
	s_and_saveexec_b64 s[0:1], vcc
; %bb.3:
	ds_write_b32 v4, v3
; %bb.4:
	s_or_b64 exec, exec, s[0:1]
	v_cmp_lt_u32_e64 s[0:1], 1, v5
	; wave barrier
	s_and_saveexec_b64 s[6:7], s[0:1]
	s_cbranch_execz .LBB235_6
; %bb.5:
	v_add_u32_e32 v6, -8, v4
	ds_read_b32 v6, v6
	s_waitcnt lgkmcnt(0)
	v_add_u32_e32 v3, v6, v3
.LBB235_6:
	s_or_b64 exec, exec, s[6:7]
	; wave barrier
	s_and_saveexec_b64 s[6:7], s[0:1]
; %bb.7:
	ds_write_b32 v4, v3
; %bb.8:
	s_or_b64 exec, exec, s[6:7]
	v_cmp_lt_u32_e64 s[0:1], 3, v5
	; wave barrier
	s_and_saveexec_b64 s[6:7], s[0:1]
	s_cbranch_execz .LBB235_10
; %bb.9:
	v_add_u32_e32 v6, -16, v4
	ds_read_b32 v6, v6
	s_waitcnt lgkmcnt(0)
	v_add_u32_e32 v3, v6, v3
.LBB235_10:
	s_or_b64 exec, exec, s[6:7]
	; wave barrier
	s_and_saveexec_b64 s[6:7], s[0:1]
; %bb.11:
	ds_write_b32 v4, v3
; %bb.12:
	s_or_b64 exec, exec, s[6:7]
	v_cmp_lt_u32_e64 s[0:1], 7, v5
	; wave barrier
	s_and_saveexec_b64 s[6:7], s[0:1]
	s_cbranch_execz .LBB235_14
; %bb.13:
	v_subrev_u32_e32 v6, 32, v4
	ds_read_b32 v6, v6
	s_waitcnt lgkmcnt(0)
	v_add_u32_e32 v3, v6, v3
.LBB235_14:
	s_or_b64 exec, exec, s[6:7]
	; wave barrier
	s_and_saveexec_b64 s[6:7], s[0:1]
; %bb.15:
	ds_write_b32 v4, v3
; %bb.16:
	s_or_b64 exec, exec, s[6:7]
	v_cmp_lt_u32_e64 s[0:1], 15, v5
	; wave barrier
	s_and_saveexec_b64 s[6:7], s[0:1]
	s_cbranch_execz .LBB235_18
; %bb.17:
	v_subrev_u32_e32 v6, 64, v4
	ds_read_b32 v6, v6
	s_waitcnt lgkmcnt(0)
	v_add_u32_e32 v3, v6, v3
.LBB235_18:
	s_or_b64 exec, exec, s[6:7]
	; wave barrier
	s_and_saveexec_b64 s[6:7], s[0:1]
; %bb.19:
	ds_write_b32 v4, v3
; %bb.20:
	s_or_b64 exec, exec, s[6:7]
	s_load_dwordx2 s[6:7], s[4:5], 0x10
	v_cmp_lt_u32_e64 s[0:1], 31, v5
	; wave barrier
	s_and_saveexec_b64 s[8:9], s[0:1]
	s_cbranch_execz .LBB235_22
; %bb.21:
	v_add_u32_e32 v5, 0xffffff80, v4
	ds_read_b32 v5, v5
	s_waitcnt lgkmcnt(0)
	v_add_u32_e32 v3, v5, v3
.LBB235_22:
	s_or_b64 exec, exec, s[8:9]
	; wave barrier
	s_and_saveexec_b64 s[8:9], s[0:1]
; %bb.23:
	ds_write_b32 v4, v3
; %bb.24:
	s_or_b64 exec, exec, s[8:9]
	s_load_dword s4, s[4:5], 0x18
	; wave barrier
	s_waitcnt lgkmcnt(0)
	v_mov_b32_e32 v4, s4
	s_and_saveexec_b64 s[0:1], vcc
	s_cbranch_execz .LBB235_26
; %bb.25:
	ds_read_b32 v0, v0
	s_waitcnt lgkmcnt(0)
	v_add_u32_e32 v4, s4, v0
.LBB235_26:
	s_or_b64 exec, exec, s[0:1]
	v_add_u32_e32 v0, s4, v3
	v_mov_b32_e32 v3, s3
	v_add_co_u32_e32 v5, vcc, s2, v1
	v_addc_co_u32_e32 v6, vcc, v3, v2, vcc
	global_store_dword v[5:6], v0, off
	v_mov_b32_e32 v3, s7
	v_add_co_u32_e32 v0, vcc, s6, v1
	v_addc_co_u32_e32 v1, vcc, v3, v2, vcc
	global_store_dword v[0:1], v4, off
	s_endpgm
	.section	.rodata,"a",@progbits
	.p2align	6, 0x0
	.amdhsa_kernel _Z16warp_scan_kernelIiLj61ELj61EENSt9enable_ifIXsr10test_utilsE35device_test_enabled_for_warp_size_vIXT1_EEEvE4typeEPT_S4_S4_S3_
		.amdhsa_group_segment_fixed_size 244
		.amdhsa_private_segment_fixed_size 0
		.amdhsa_kernarg_size 288
		.amdhsa_user_sgpr_count 6
		.amdhsa_user_sgpr_private_segment_buffer 1
		.amdhsa_user_sgpr_dispatch_ptr 0
		.amdhsa_user_sgpr_queue_ptr 0
		.amdhsa_user_sgpr_kernarg_segment_ptr 1
		.amdhsa_user_sgpr_dispatch_id 0
		.amdhsa_user_sgpr_flat_scratch_init 0
		.amdhsa_user_sgpr_private_segment_size 0
		.amdhsa_uses_dynamic_stack 0
		.amdhsa_system_sgpr_private_segment_wavefront_offset 0
		.amdhsa_system_sgpr_workgroup_id_x 1
		.amdhsa_system_sgpr_workgroup_id_y 0
		.amdhsa_system_sgpr_workgroup_id_z 0
		.amdhsa_system_sgpr_workgroup_info 0
		.amdhsa_system_vgpr_workitem_id 0
		.amdhsa_next_free_vgpr 7
		.amdhsa_next_free_sgpr 10
		.amdhsa_reserve_vcc 1
		.amdhsa_reserve_flat_scratch 0
		.amdhsa_float_round_mode_32 0
		.amdhsa_float_round_mode_16_64 0
		.amdhsa_float_denorm_mode_32 3
		.amdhsa_float_denorm_mode_16_64 3
		.amdhsa_dx10_clamp 1
		.amdhsa_ieee_mode 1
		.amdhsa_fp16_overflow 0
		.amdhsa_exception_fp_ieee_invalid_op 0
		.amdhsa_exception_fp_denorm_src 0
		.amdhsa_exception_fp_ieee_div_zero 0
		.amdhsa_exception_fp_ieee_overflow 0
		.amdhsa_exception_fp_ieee_underflow 0
		.amdhsa_exception_fp_ieee_inexact 0
		.amdhsa_exception_int_div_zero 0
	.end_amdhsa_kernel
	.section	.text._Z16warp_scan_kernelIiLj61ELj61EENSt9enable_ifIXsr10test_utilsE35device_test_enabled_for_warp_size_vIXT1_EEEvE4typeEPT_S4_S4_S3_,"axG",@progbits,_Z16warp_scan_kernelIiLj61ELj61EENSt9enable_ifIXsr10test_utilsE35device_test_enabled_for_warp_size_vIXT1_EEEvE4typeEPT_S4_S4_S3_,comdat
.Lfunc_end235:
	.size	_Z16warp_scan_kernelIiLj61ELj61EENSt9enable_ifIXsr10test_utilsE35device_test_enabled_for_warp_size_vIXT1_EEEvE4typeEPT_S4_S4_S3_, .Lfunc_end235-_Z16warp_scan_kernelIiLj61ELj61EENSt9enable_ifIXsr10test_utilsE35device_test_enabled_for_warp_size_vIXT1_EEEvE4typeEPT_S4_S4_S3_
                                        ; -- End function
	.set _Z16warp_scan_kernelIiLj61ELj61EENSt9enable_ifIXsr10test_utilsE35device_test_enabled_for_warp_size_vIXT1_EEEvE4typeEPT_S4_S4_S3_.num_vgpr, 7
	.set _Z16warp_scan_kernelIiLj61ELj61EENSt9enable_ifIXsr10test_utilsE35device_test_enabled_for_warp_size_vIXT1_EEEvE4typeEPT_S4_S4_S3_.num_agpr, 0
	.set _Z16warp_scan_kernelIiLj61ELj61EENSt9enable_ifIXsr10test_utilsE35device_test_enabled_for_warp_size_vIXT1_EEEvE4typeEPT_S4_S4_S3_.numbered_sgpr, 10
	.set _Z16warp_scan_kernelIiLj61ELj61EENSt9enable_ifIXsr10test_utilsE35device_test_enabled_for_warp_size_vIXT1_EEEvE4typeEPT_S4_S4_S3_.num_named_barrier, 0
	.set _Z16warp_scan_kernelIiLj61ELj61EENSt9enable_ifIXsr10test_utilsE35device_test_enabled_for_warp_size_vIXT1_EEEvE4typeEPT_S4_S4_S3_.private_seg_size, 0
	.set _Z16warp_scan_kernelIiLj61ELj61EENSt9enable_ifIXsr10test_utilsE35device_test_enabled_for_warp_size_vIXT1_EEEvE4typeEPT_S4_S4_S3_.uses_vcc, 1
	.set _Z16warp_scan_kernelIiLj61ELj61EENSt9enable_ifIXsr10test_utilsE35device_test_enabled_for_warp_size_vIXT1_EEEvE4typeEPT_S4_S4_S3_.uses_flat_scratch, 0
	.set _Z16warp_scan_kernelIiLj61ELj61EENSt9enable_ifIXsr10test_utilsE35device_test_enabled_for_warp_size_vIXT1_EEEvE4typeEPT_S4_S4_S3_.has_dyn_sized_stack, 0
	.set _Z16warp_scan_kernelIiLj61ELj61EENSt9enable_ifIXsr10test_utilsE35device_test_enabled_for_warp_size_vIXT1_EEEvE4typeEPT_S4_S4_S3_.has_recursion, 0
	.set _Z16warp_scan_kernelIiLj61ELj61EENSt9enable_ifIXsr10test_utilsE35device_test_enabled_for_warp_size_vIXT1_EEEvE4typeEPT_S4_S4_S3_.has_indirect_call, 0
	.section	.AMDGPU.csdata,"",@progbits
; Kernel info:
; codeLenInByte = 584
; TotalNumSgprs: 14
; NumVgprs: 7
; ScratchSize: 0
; MemoryBound: 0
; FloatMode: 240
; IeeeMode: 1
; LDSByteSize: 244 bytes/workgroup (compile time only)
; SGPRBlocks: 1
; VGPRBlocks: 1
; NumSGPRsForWavesPerEU: 14
; NumVGPRsForWavesPerEU: 7
; Occupancy: 10
; WaveLimiterHint : 0
; COMPUTE_PGM_RSRC2:SCRATCH_EN: 0
; COMPUTE_PGM_RSRC2:USER_SGPR: 6
; COMPUTE_PGM_RSRC2:TRAP_HANDLER: 0
; COMPUTE_PGM_RSRC2:TGID_X_EN: 1
; COMPUTE_PGM_RSRC2:TGID_Y_EN: 0
; COMPUTE_PGM_RSRC2:TGID_Z_EN: 0
; COMPUTE_PGM_RSRC2:TIDIG_COMP_CNT: 0
	.section	.text._Z16warp_scan_kernelIiLj1ELj37EENSt9enable_ifIXsr10test_utilsE35device_test_enabled_for_warp_size_vIXT1_EEEvE4typeEPT_S4_S4_S3_,"axG",@progbits,_Z16warp_scan_kernelIiLj1ELj37EENSt9enable_ifIXsr10test_utilsE35device_test_enabled_for_warp_size_vIXT1_EEEvE4typeEPT_S4_S4_S3_,comdat
	.protected	_Z16warp_scan_kernelIiLj1ELj37EENSt9enable_ifIXsr10test_utilsE35device_test_enabled_for_warp_size_vIXT1_EEEvE4typeEPT_S4_S4_S3_ ; -- Begin function _Z16warp_scan_kernelIiLj1ELj37EENSt9enable_ifIXsr10test_utilsE35device_test_enabled_for_warp_size_vIXT1_EEEvE4typeEPT_S4_S4_S3_
	.globl	_Z16warp_scan_kernelIiLj1ELj37EENSt9enable_ifIXsr10test_utilsE35device_test_enabled_for_warp_size_vIXT1_EEEvE4typeEPT_S4_S4_S3_
	.p2align	8
	.type	_Z16warp_scan_kernelIiLj1ELj37EENSt9enable_ifIXsr10test_utilsE35device_test_enabled_for_warp_size_vIXT1_EEEvE4typeEPT_S4_S4_S3_,@function
_Z16warp_scan_kernelIiLj1ELj37EENSt9enable_ifIXsr10test_utilsE35device_test_enabled_for_warp_size_vIXT1_EEEvE4typeEPT_S4_S4_S3_: ; @_Z16warp_scan_kernelIiLj1ELj37EENSt9enable_ifIXsr10test_utilsE35device_test_enabled_for_warp_size_vIXT1_EEEvE4typeEPT_S4_S4_S3_
; %bb.0:
	s_load_dword s8, s[4:5], 0x2c
	s_load_dwordx4 s[0:3], s[4:5], 0x0
	s_mov_b32 s7, 0
	v_mbcnt_lo_u32_b32 v0, -1, 0
	v_mbcnt_hi_u32_b32 v0, -1, v0
	s_waitcnt lgkmcnt(0)
	s_and_b32 s8, s8, 0xffff
	s_mul_i32 s6, s6, s8
	s_lshl_b64 s[6:7], s[6:7], 2
	s_mov_b32 s8, 0x6eb3e46
	s_add_u32 s0, s0, s6
	v_mul_hi_u32 v1, v0, s8
	s_addc_u32 s1, s1, s7
	s_load_dword s8, s[0:1], 0x0
	v_mul_u32_u24_e32 v1, 37, v1
	v_sub_u32_e32 v0, v0, v1
	v_lshlrev_b32_e32 v2, 2, v0
	s_waitcnt lgkmcnt(0)
	v_mov_b32_e32 v1, s8
	v_cmp_eq_u32_e64 s[0:1], 0, v0
	v_readfirstlane_b32 s12, v0
	ds_write_b32 v2, v1
	v_cmp_ne_u32_e32 vcc, 0, v0
	s_and_b64 s[0:1], s[0:1], exec
	v_add_u32_e32 v1, -4, v2
	; wave barrier
	s_cbranch_scc1 .LBB236_2
; %bb.1:
	ds_read_b32 v0, v1
	s_waitcnt lgkmcnt(0)
	v_add_u32_e32 v0, s8, v0
	s_branch .LBB236_3
.LBB236_2:
	v_mov_b32_e32 v0, s8
.LBB236_3:
	v_cndmask_b32_e64 v3, 0, 1, vcc
	v_cmp_ne_u32_e64 s[0:1], 1, v3
	s_andn2_b64 vcc, exec, vcc
	; wave barrier
	s_cbranch_vccnz .LBB236_5
; %bb.4:
	ds_write_b32 v2, v0
.LBB236_5:
	s_cmp_gt_u32 s12, 1
	s_cselect_b64 s[8:9], -1, 0
	s_cmp_lt_u32 s12, 2
	; wave barrier
	s_cbranch_scc1 .LBB236_7
; %bb.6:
	v_add_u32_e32 v3, -8, v2
	ds_read_b32 v3, v3
	s_waitcnt lgkmcnt(0)
	v_add_u32_e32 v0, v3, v0
.LBB236_7:
	s_andn2_b64 vcc, exec, s[8:9]
	; wave barrier
	s_cbranch_vccnz .LBB236_9
; %bb.8:
	ds_write_b32 v2, v0
.LBB236_9:
	s_cmp_gt_u32 s12, 3
	s_cselect_b64 s[8:9], -1, 0
	s_cmp_lt_u32 s12, 4
	; wave barrier
	s_cbranch_scc1 .LBB236_11
; %bb.10:
	v_add_u32_e32 v3, -16, v2
	ds_read_b32 v3, v3
	s_waitcnt lgkmcnt(0)
	v_add_u32_e32 v0, v3, v0
.LBB236_11:
	s_andn2_b64 vcc, exec, s[8:9]
	; wave barrier
	s_cbranch_vccnz .LBB236_13
; %bb.12:
	ds_write_b32 v2, v0
.LBB236_13:
	s_cmp_gt_u32 s12, 7
	s_cselect_b64 s[8:9], -1, 0
	s_cmp_lt_u32 s12, 8
	; wave barrier
	s_cbranch_scc1 .LBB236_15
; %bb.14:
	v_subrev_u32_e32 v3, 32, v2
	ds_read_b32 v3, v3
	s_waitcnt lgkmcnt(0)
	v_add_u32_e32 v0, v3, v0
.LBB236_15:
	s_andn2_b64 vcc, exec, s[8:9]
	; wave barrier
	s_cbranch_vccnz .LBB236_17
; %bb.16:
	ds_write_b32 v2, v0
.LBB236_17:
	s_cmp_gt_u32 s12, 15
	s_cselect_b64 s[8:9], -1, 0
	s_cmp_lt_u32 s12, 16
	; wave barrier
	s_cbranch_scc1 .LBB236_19
; %bb.18:
	v_subrev_u32_e32 v3, 64, v2
	ds_read_b32 v3, v3
	s_waitcnt lgkmcnt(0)
	v_add_u32_e32 v0, v3, v0
.LBB236_19:
	s_andn2_b64 vcc, exec, s[8:9]
	; wave barrier
	s_cbranch_vccnz .LBB236_21
; %bb.20:
	ds_write_b32 v2, v0
.LBB236_21:
	s_load_dwordx2 s[8:9], s[4:5], 0x10
	s_cmp_gt_u32 s12, 31
	s_cselect_b64 s[10:11], -1, 0
	s_cmp_lt_u32 s12, 32
	; wave barrier
	s_cbranch_scc1 .LBB236_23
; %bb.22:
	v_add_u32_e32 v3, 0xffffff80, v2
	ds_read_b32 v3, v3
	s_waitcnt lgkmcnt(0)
	v_add_u32_e32 v0, v3, v0
.LBB236_23:
	s_andn2_b64 vcc, exec, s[10:11]
	; wave barrier
	s_cbranch_vccnz .LBB236_25
; %bb.24:
	ds_write_b32 v2, v0
.LBB236_25:
	s_load_dword s4, s[4:5], 0x18
	s_and_b64 vcc, exec, s[0:1]
	; wave barrier
	s_cbranch_vccnz .LBB236_27
; %bb.26:
	ds_read_b32 v1, v1
	s_waitcnt lgkmcnt(0)
	v_add_u32_e32 v1, s4, v1
	s_branch .LBB236_28
.LBB236_27:
	s_waitcnt lgkmcnt(0)
	v_mov_b32_e32 v1, s4
.LBB236_28:
	s_add_u32 s0, s2, s6
	v_add_u32_e32 v0, s4, v0
	s_addc_u32 s1, s3, s7
	v_mov_b32_e32 v2, 0
	global_store_dword v2, v0, s[0:1]
	s_add_u32 s0, s8, s6
	s_addc_u32 s1, s9, s7
	global_store_dword v2, v1, s[0:1]
	s_endpgm
	.section	.rodata,"a",@progbits
	.p2align	6, 0x0
	.amdhsa_kernel _Z16warp_scan_kernelIiLj1ELj37EENSt9enable_ifIXsr10test_utilsE35device_test_enabled_for_warp_size_vIXT1_EEEvE4typeEPT_S4_S4_S3_
		.amdhsa_group_segment_fixed_size 148
		.amdhsa_private_segment_fixed_size 0
		.amdhsa_kernarg_size 288
		.amdhsa_user_sgpr_count 6
		.amdhsa_user_sgpr_private_segment_buffer 1
		.amdhsa_user_sgpr_dispatch_ptr 0
		.amdhsa_user_sgpr_queue_ptr 0
		.amdhsa_user_sgpr_kernarg_segment_ptr 1
		.amdhsa_user_sgpr_dispatch_id 0
		.amdhsa_user_sgpr_flat_scratch_init 0
		.amdhsa_user_sgpr_private_segment_size 0
		.amdhsa_uses_dynamic_stack 0
		.amdhsa_system_sgpr_private_segment_wavefront_offset 0
		.amdhsa_system_sgpr_workgroup_id_x 1
		.amdhsa_system_sgpr_workgroup_id_y 0
		.amdhsa_system_sgpr_workgroup_id_z 0
		.amdhsa_system_sgpr_workgroup_info 0
		.amdhsa_system_vgpr_workitem_id 0
		.amdhsa_next_free_vgpr 4
		.amdhsa_next_free_sgpr 13
		.amdhsa_reserve_vcc 1
		.amdhsa_reserve_flat_scratch 0
		.amdhsa_float_round_mode_32 0
		.amdhsa_float_round_mode_16_64 0
		.amdhsa_float_denorm_mode_32 3
		.amdhsa_float_denorm_mode_16_64 3
		.amdhsa_dx10_clamp 1
		.amdhsa_ieee_mode 1
		.amdhsa_fp16_overflow 0
		.amdhsa_exception_fp_ieee_invalid_op 0
		.amdhsa_exception_fp_denorm_src 0
		.amdhsa_exception_fp_ieee_div_zero 0
		.amdhsa_exception_fp_ieee_overflow 0
		.amdhsa_exception_fp_ieee_underflow 0
		.amdhsa_exception_fp_ieee_inexact 0
		.amdhsa_exception_int_div_zero 0
	.end_amdhsa_kernel
	.section	.text._Z16warp_scan_kernelIiLj1ELj37EENSt9enable_ifIXsr10test_utilsE35device_test_enabled_for_warp_size_vIXT1_EEEvE4typeEPT_S4_S4_S3_,"axG",@progbits,_Z16warp_scan_kernelIiLj1ELj37EENSt9enable_ifIXsr10test_utilsE35device_test_enabled_for_warp_size_vIXT1_EEEvE4typeEPT_S4_S4_S3_,comdat
.Lfunc_end236:
	.size	_Z16warp_scan_kernelIiLj1ELj37EENSt9enable_ifIXsr10test_utilsE35device_test_enabled_for_warp_size_vIXT1_EEEvE4typeEPT_S4_S4_S3_, .Lfunc_end236-_Z16warp_scan_kernelIiLj1ELj37EENSt9enable_ifIXsr10test_utilsE35device_test_enabled_for_warp_size_vIXT1_EEEvE4typeEPT_S4_S4_S3_
                                        ; -- End function
	.set _Z16warp_scan_kernelIiLj1ELj37EENSt9enable_ifIXsr10test_utilsE35device_test_enabled_for_warp_size_vIXT1_EEEvE4typeEPT_S4_S4_S3_.num_vgpr, 4
	.set _Z16warp_scan_kernelIiLj1ELj37EENSt9enable_ifIXsr10test_utilsE35device_test_enabled_for_warp_size_vIXT1_EEEvE4typeEPT_S4_S4_S3_.num_agpr, 0
	.set _Z16warp_scan_kernelIiLj1ELj37EENSt9enable_ifIXsr10test_utilsE35device_test_enabled_for_warp_size_vIXT1_EEEvE4typeEPT_S4_S4_S3_.numbered_sgpr, 13
	.set _Z16warp_scan_kernelIiLj1ELj37EENSt9enable_ifIXsr10test_utilsE35device_test_enabled_for_warp_size_vIXT1_EEEvE4typeEPT_S4_S4_S3_.num_named_barrier, 0
	.set _Z16warp_scan_kernelIiLj1ELj37EENSt9enable_ifIXsr10test_utilsE35device_test_enabled_for_warp_size_vIXT1_EEEvE4typeEPT_S4_S4_S3_.private_seg_size, 0
	.set _Z16warp_scan_kernelIiLj1ELj37EENSt9enable_ifIXsr10test_utilsE35device_test_enabled_for_warp_size_vIXT1_EEEvE4typeEPT_S4_S4_S3_.uses_vcc, 1
	.set _Z16warp_scan_kernelIiLj1ELj37EENSt9enable_ifIXsr10test_utilsE35device_test_enabled_for_warp_size_vIXT1_EEEvE4typeEPT_S4_S4_S3_.uses_flat_scratch, 0
	.set _Z16warp_scan_kernelIiLj1ELj37EENSt9enable_ifIXsr10test_utilsE35device_test_enabled_for_warp_size_vIXT1_EEEvE4typeEPT_S4_S4_S3_.has_dyn_sized_stack, 0
	.set _Z16warp_scan_kernelIiLj1ELj37EENSt9enable_ifIXsr10test_utilsE35device_test_enabled_for_warp_size_vIXT1_EEEvE4typeEPT_S4_S4_S3_.has_recursion, 0
	.set _Z16warp_scan_kernelIiLj1ELj37EENSt9enable_ifIXsr10test_utilsE35device_test_enabled_for_warp_size_vIXT1_EEEvE4typeEPT_S4_S4_S3_.has_indirect_call, 0
	.section	.AMDGPU.csdata,"",@progbits
; Kernel info:
; codeLenInByte = 560
; TotalNumSgprs: 17
; NumVgprs: 4
; ScratchSize: 0
; MemoryBound: 0
; FloatMode: 240
; IeeeMode: 1
; LDSByteSize: 148 bytes/workgroup (compile time only)
; SGPRBlocks: 2
; VGPRBlocks: 0
; NumSGPRsForWavesPerEU: 17
; NumVGPRsForWavesPerEU: 4
; Occupancy: 10
; WaveLimiterHint : 0
; COMPUTE_PGM_RSRC2:SCRATCH_EN: 0
; COMPUTE_PGM_RSRC2:USER_SGPR: 6
; COMPUTE_PGM_RSRC2:TRAP_HANDLER: 0
; COMPUTE_PGM_RSRC2:TGID_X_EN: 1
; COMPUTE_PGM_RSRC2:TGID_Y_EN: 0
; COMPUTE_PGM_RSRC2:TGID_Z_EN: 0
; COMPUTE_PGM_RSRC2:TIDIG_COMP_CNT: 0
	.section	.text._Z16warp_scan_kernelIiLj37ELj37EENSt9enable_ifIXsr10test_utilsE35device_test_enabled_for_warp_size_vIXT1_EEEvE4typeEPT_S4_S4_S3_,"axG",@progbits,_Z16warp_scan_kernelIiLj37ELj37EENSt9enable_ifIXsr10test_utilsE35device_test_enabled_for_warp_size_vIXT1_EEEvE4typeEPT_S4_S4_S3_,comdat
	.protected	_Z16warp_scan_kernelIiLj37ELj37EENSt9enable_ifIXsr10test_utilsE35device_test_enabled_for_warp_size_vIXT1_EEEvE4typeEPT_S4_S4_S3_ ; -- Begin function _Z16warp_scan_kernelIiLj37ELj37EENSt9enable_ifIXsr10test_utilsE35device_test_enabled_for_warp_size_vIXT1_EEEvE4typeEPT_S4_S4_S3_
	.globl	_Z16warp_scan_kernelIiLj37ELj37EENSt9enable_ifIXsr10test_utilsE35device_test_enabled_for_warp_size_vIXT1_EEEvE4typeEPT_S4_S4_S3_
	.p2align	8
	.type	_Z16warp_scan_kernelIiLj37ELj37EENSt9enable_ifIXsr10test_utilsE35device_test_enabled_for_warp_size_vIXT1_EEEvE4typeEPT_S4_S4_S3_,@function
_Z16warp_scan_kernelIiLj37ELj37EENSt9enable_ifIXsr10test_utilsE35device_test_enabled_for_warp_size_vIXT1_EEEvE4typeEPT_S4_S4_S3_: ; @_Z16warp_scan_kernelIiLj37ELj37EENSt9enable_ifIXsr10test_utilsE35device_test_enabled_for_warp_size_vIXT1_EEEvE4typeEPT_S4_S4_S3_
; %bb.0:
	s_load_dword s7, s[4:5], 0x2c
	s_load_dwordx4 s[0:3], s[4:5], 0x0
	v_mov_b32_e32 v2, 0
	s_waitcnt lgkmcnt(0)
	s_and_b32 s7, s7, 0xffff
	s_mul_i32 s6, s6, s7
	v_add_u32_e32 v1, s6, v0
	v_lshlrev_b64 v[1:2], 2, v[1:2]
	v_mov_b32_e32 v4, s1
	v_add_co_u32_e32 v3, vcc, s0, v1
	v_addc_co_u32_e32 v4, vcc, v4, v2, vcc
	global_load_dword v3, v[3:4], off
	v_mbcnt_lo_u32_b32 v4, -1, 0
	s_mov_b32 s0, 0x6eb3e46
	v_mbcnt_hi_u32_b32 v4, -1, v4
	v_mul_hi_u32 v5, v4, s0
	v_mul_u32_u24_e32 v0, 0x6ec, v0
	s_movk_i32 s0, 0x94
	v_lshrrev_b32_e32 v0, 16, v0
	v_mul_u32_u24_e32 v5, 37, v5
	v_sub_u32_e32 v5, v4, v5
	v_lshlrev_b32_e32 v4, 2, v5
	v_mad_u32_u24 v4, v0, s0, v4
	v_cmp_ne_u32_e32 vcc, 0, v5
	v_add_u32_e32 v0, -4, v4
	s_waitcnt vmcnt(0)
	ds_write_b32 v4, v3
	; wave barrier
	s_and_saveexec_b64 s[0:1], vcc
	s_cbranch_execz .LBB237_2
; %bb.1:
	ds_read_b32 v6, v0
	s_waitcnt lgkmcnt(0)
	v_add_u32_e32 v3, v6, v3
.LBB237_2:
	s_or_b64 exec, exec, s[0:1]
	; wave barrier
	s_and_saveexec_b64 s[0:1], vcc
; %bb.3:
	ds_write_b32 v4, v3
; %bb.4:
	s_or_b64 exec, exec, s[0:1]
	v_cmp_lt_u32_e64 s[0:1], 1, v5
	; wave barrier
	s_and_saveexec_b64 s[6:7], s[0:1]
	s_cbranch_execz .LBB237_6
; %bb.5:
	v_add_u32_e32 v6, -8, v4
	ds_read_b32 v6, v6
	s_waitcnt lgkmcnt(0)
	v_add_u32_e32 v3, v6, v3
.LBB237_6:
	s_or_b64 exec, exec, s[6:7]
	; wave barrier
	s_and_saveexec_b64 s[6:7], s[0:1]
; %bb.7:
	ds_write_b32 v4, v3
; %bb.8:
	s_or_b64 exec, exec, s[6:7]
	v_cmp_lt_u32_e64 s[0:1], 3, v5
	; wave barrier
	s_and_saveexec_b64 s[6:7], s[0:1]
	s_cbranch_execz .LBB237_10
; %bb.9:
	v_add_u32_e32 v6, -16, v4
	ds_read_b32 v6, v6
	s_waitcnt lgkmcnt(0)
	v_add_u32_e32 v3, v6, v3
.LBB237_10:
	s_or_b64 exec, exec, s[6:7]
	; wave barrier
	s_and_saveexec_b64 s[6:7], s[0:1]
; %bb.11:
	ds_write_b32 v4, v3
; %bb.12:
	s_or_b64 exec, exec, s[6:7]
	v_cmp_lt_u32_e64 s[0:1], 7, v5
	; wave barrier
	s_and_saveexec_b64 s[6:7], s[0:1]
	s_cbranch_execz .LBB237_14
; %bb.13:
	v_subrev_u32_e32 v6, 32, v4
	ds_read_b32 v6, v6
	s_waitcnt lgkmcnt(0)
	v_add_u32_e32 v3, v6, v3
.LBB237_14:
	s_or_b64 exec, exec, s[6:7]
	; wave barrier
	s_and_saveexec_b64 s[6:7], s[0:1]
; %bb.15:
	ds_write_b32 v4, v3
; %bb.16:
	s_or_b64 exec, exec, s[6:7]
	v_cmp_lt_u32_e64 s[0:1], 15, v5
	; wave barrier
	s_and_saveexec_b64 s[6:7], s[0:1]
	s_cbranch_execz .LBB237_18
; %bb.17:
	v_subrev_u32_e32 v6, 64, v4
	ds_read_b32 v6, v6
	s_waitcnt lgkmcnt(0)
	v_add_u32_e32 v3, v6, v3
.LBB237_18:
	s_or_b64 exec, exec, s[6:7]
	; wave barrier
	s_and_saveexec_b64 s[6:7], s[0:1]
; %bb.19:
	ds_write_b32 v4, v3
; %bb.20:
	s_or_b64 exec, exec, s[6:7]
	s_load_dwordx2 s[6:7], s[4:5], 0x10
	v_cmp_lt_u32_e64 s[0:1], 31, v5
	; wave barrier
	s_and_saveexec_b64 s[8:9], s[0:1]
	s_cbranch_execz .LBB237_22
; %bb.21:
	v_add_u32_e32 v5, 0xffffff80, v4
	ds_read_b32 v5, v5
	s_waitcnt lgkmcnt(0)
	v_add_u32_e32 v3, v5, v3
.LBB237_22:
	s_or_b64 exec, exec, s[8:9]
	; wave barrier
	s_and_saveexec_b64 s[8:9], s[0:1]
; %bb.23:
	ds_write_b32 v4, v3
; %bb.24:
	s_or_b64 exec, exec, s[8:9]
	s_load_dword s4, s[4:5], 0x18
	; wave barrier
	s_waitcnt lgkmcnt(0)
	v_mov_b32_e32 v4, s4
	s_and_saveexec_b64 s[0:1], vcc
	s_cbranch_execz .LBB237_26
; %bb.25:
	ds_read_b32 v0, v0
	s_waitcnt lgkmcnt(0)
	v_add_u32_e32 v4, s4, v0
.LBB237_26:
	s_or_b64 exec, exec, s[0:1]
	v_add_u32_e32 v0, s4, v3
	v_mov_b32_e32 v3, s3
	v_add_co_u32_e32 v5, vcc, s2, v1
	v_addc_co_u32_e32 v6, vcc, v3, v2, vcc
	global_store_dword v[5:6], v0, off
	v_mov_b32_e32 v3, s7
	v_add_co_u32_e32 v0, vcc, s6, v1
	v_addc_co_u32_e32 v1, vcc, v3, v2, vcc
	global_store_dword v[0:1], v4, off
	s_endpgm
	.section	.rodata,"a",@progbits
	.p2align	6, 0x0
	.amdhsa_kernel _Z16warp_scan_kernelIiLj37ELj37EENSt9enable_ifIXsr10test_utilsE35device_test_enabled_for_warp_size_vIXT1_EEEvE4typeEPT_S4_S4_S3_
		.amdhsa_group_segment_fixed_size 148
		.amdhsa_private_segment_fixed_size 0
		.amdhsa_kernarg_size 288
		.amdhsa_user_sgpr_count 6
		.amdhsa_user_sgpr_private_segment_buffer 1
		.amdhsa_user_sgpr_dispatch_ptr 0
		.amdhsa_user_sgpr_queue_ptr 0
		.amdhsa_user_sgpr_kernarg_segment_ptr 1
		.amdhsa_user_sgpr_dispatch_id 0
		.amdhsa_user_sgpr_flat_scratch_init 0
		.amdhsa_user_sgpr_private_segment_size 0
		.amdhsa_uses_dynamic_stack 0
		.amdhsa_system_sgpr_private_segment_wavefront_offset 0
		.amdhsa_system_sgpr_workgroup_id_x 1
		.amdhsa_system_sgpr_workgroup_id_y 0
		.amdhsa_system_sgpr_workgroup_id_z 0
		.amdhsa_system_sgpr_workgroup_info 0
		.amdhsa_system_vgpr_workitem_id 0
		.amdhsa_next_free_vgpr 7
		.amdhsa_next_free_sgpr 10
		.amdhsa_reserve_vcc 1
		.amdhsa_reserve_flat_scratch 0
		.amdhsa_float_round_mode_32 0
		.amdhsa_float_round_mode_16_64 0
		.amdhsa_float_denorm_mode_32 3
		.amdhsa_float_denorm_mode_16_64 3
		.amdhsa_dx10_clamp 1
		.amdhsa_ieee_mode 1
		.amdhsa_fp16_overflow 0
		.amdhsa_exception_fp_ieee_invalid_op 0
		.amdhsa_exception_fp_denorm_src 0
		.amdhsa_exception_fp_ieee_div_zero 0
		.amdhsa_exception_fp_ieee_overflow 0
		.amdhsa_exception_fp_ieee_underflow 0
		.amdhsa_exception_fp_ieee_inexact 0
		.amdhsa_exception_int_div_zero 0
	.end_amdhsa_kernel
	.section	.text._Z16warp_scan_kernelIiLj37ELj37EENSt9enable_ifIXsr10test_utilsE35device_test_enabled_for_warp_size_vIXT1_EEEvE4typeEPT_S4_S4_S3_,"axG",@progbits,_Z16warp_scan_kernelIiLj37ELj37EENSt9enable_ifIXsr10test_utilsE35device_test_enabled_for_warp_size_vIXT1_EEEvE4typeEPT_S4_S4_S3_,comdat
.Lfunc_end237:
	.size	_Z16warp_scan_kernelIiLj37ELj37EENSt9enable_ifIXsr10test_utilsE35device_test_enabled_for_warp_size_vIXT1_EEEvE4typeEPT_S4_S4_S3_, .Lfunc_end237-_Z16warp_scan_kernelIiLj37ELj37EENSt9enable_ifIXsr10test_utilsE35device_test_enabled_for_warp_size_vIXT1_EEEvE4typeEPT_S4_S4_S3_
                                        ; -- End function
	.set _Z16warp_scan_kernelIiLj37ELj37EENSt9enable_ifIXsr10test_utilsE35device_test_enabled_for_warp_size_vIXT1_EEEvE4typeEPT_S4_S4_S3_.num_vgpr, 7
	.set _Z16warp_scan_kernelIiLj37ELj37EENSt9enable_ifIXsr10test_utilsE35device_test_enabled_for_warp_size_vIXT1_EEEvE4typeEPT_S4_S4_S3_.num_agpr, 0
	.set _Z16warp_scan_kernelIiLj37ELj37EENSt9enable_ifIXsr10test_utilsE35device_test_enabled_for_warp_size_vIXT1_EEEvE4typeEPT_S4_S4_S3_.numbered_sgpr, 10
	.set _Z16warp_scan_kernelIiLj37ELj37EENSt9enable_ifIXsr10test_utilsE35device_test_enabled_for_warp_size_vIXT1_EEEvE4typeEPT_S4_S4_S3_.num_named_barrier, 0
	.set _Z16warp_scan_kernelIiLj37ELj37EENSt9enable_ifIXsr10test_utilsE35device_test_enabled_for_warp_size_vIXT1_EEEvE4typeEPT_S4_S4_S3_.private_seg_size, 0
	.set _Z16warp_scan_kernelIiLj37ELj37EENSt9enable_ifIXsr10test_utilsE35device_test_enabled_for_warp_size_vIXT1_EEEvE4typeEPT_S4_S4_S3_.uses_vcc, 1
	.set _Z16warp_scan_kernelIiLj37ELj37EENSt9enable_ifIXsr10test_utilsE35device_test_enabled_for_warp_size_vIXT1_EEEvE4typeEPT_S4_S4_S3_.uses_flat_scratch, 0
	.set _Z16warp_scan_kernelIiLj37ELj37EENSt9enable_ifIXsr10test_utilsE35device_test_enabled_for_warp_size_vIXT1_EEEvE4typeEPT_S4_S4_S3_.has_dyn_sized_stack, 0
	.set _Z16warp_scan_kernelIiLj37ELj37EENSt9enable_ifIXsr10test_utilsE35device_test_enabled_for_warp_size_vIXT1_EEEvE4typeEPT_S4_S4_S3_.has_recursion, 0
	.set _Z16warp_scan_kernelIiLj37ELj37EENSt9enable_ifIXsr10test_utilsE35device_test_enabled_for_warp_size_vIXT1_EEEvE4typeEPT_S4_S4_S3_.has_indirect_call, 0
	.section	.AMDGPU.csdata,"",@progbits
; Kernel info:
; codeLenInByte = 584
; TotalNumSgprs: 14
; NumVgprs: 7
; ScratchSize: 0
; MemoryBound: 0
; FloatMode: 240
; IeeeMode: 1
; LDSByteSize: 148 bytes/workgroup (compile time only)
; SGPRBlocks: 1
; VGPRBlocks: 1
; NumSGPRsForWavesPerEU: 14
; NumVGPRsForWavesPerEU: 7
; Occupancy: 10
; WaveLimiterHint : 0
; COMPUTE_PGM_RSRC2:SCRATCH_EN: 0
; COMPUTE_PGM_RSRC2:USER_SGPR: 6
; COMPUTE_PGM_RSRC2:TRAP_HANDLER: 0
; COMPUTE_PGM_RSRC2:TGID_X_EN: 1
; COMPUTE_PGM_RSRC2:TGID_Y_EN: 0
; COMPUTE_PGM_RSRC2:TGID_Z_EN: 0
; COMPUTE_PGM_RSRC2:TIDIG_COMP_CNT: 0
	.section	.text._Z16warp_scan_kernelIiLj30ELj15EENSt9enable_ifIXsr10test_utilsE35device_test_enabled_for_warp_size_vIXT1_EEEvE4typeEPT_S4_S4_S3_,"axG",@progbits,_Z16warp_scan_kernelIiLj30ELj15EENSt9enable_ifIXsr10test_utilsE35device_test_enabled_for_warp_size_vIXT1_EEEvE4typeEPT_S4_S4_S3_,comdat
	.protected	_Z16warp_scan_kernelIiLj30ELj15EENSt9enable_ifIXsr10test_utilsE35device_test_enabled_for_warp_size_vIXT1_EEEvE4typeEPT_S4_S4_S3_ ; -- Begin function _Z16warp_scan_kernelIiLj30ELj15EENSt9enable_ifIXsr10test_utilsE35device_test_enabled_for_warp_size_vIXT1_EEEvE4typeEPT_S4_S4_S3_
	.globl	_Z16warp_scan_kernelIiLj30ELj15EENSt9enable_ifIXsr10test_utilsE35device_test_enabled_for_warp_size_vIXT1_EEEvE4typeEPT_S4_S4_S3_
	.p2align	8
	.type	_Z16warp_scan_kernelIiLj30ELj15EENSt9enable_ifIXsr10test_utilsE35device_test_enabled_for_warp_size_vIXT1_EEEvE4typeEPT_S4_S4_S3_,@function
_Z16warp_scan_kernelIiLj30ELj15EENSt9enable_ifIXsr10test_utilsE35device_test_enabled_for_warp_size_vIXT1_EEEvE4typeEPT_S4_S4_S3_: ; @_Z16warp_scan_kernelIiLj30ELj15EENSt9enable_ifIXsr10test_utilsE35device_test_enabled_for_warp_size_vIXT1_EEEvE4typeEPT_S4_S4_S3_
; %bb.0:
	s_load_dword s7, s[4:5], 0x2c
	s_load_dwordx4 s[0:3], s[4:5], 0x0
	v_mov_b32_e32 v2, 0
	s_waitcnt lgkmcnt(0)
	s_and_b32 s7, s7, 0xffff
	s_mul_i32 s6, s6, s7
	v_add_u32_e32 v1, s6, v0
	v_lshlrev_b64 v[1:2], 2, v[1:2]
	v_mov_b32_e32 v4, s1
	v_add_co_u32_e32 v3, vcc, s0, v1
	v_addc_co_u32_e32 v4, vcc, v4, v2, vcc
	global_load_dword v3, v[3:4], off
	v_mbcnt_lo_u32_b32 v4, -1, 0
	s_mov_b32 s0, 0x11111112
	v_mbcnt_hi_u32_b32 v4, -1, v4
	v_mul_hi_u32 v5, v4, s0
	v_mul_u32_u24_e32 v0, 0x1112, v0
	v_lshrrev_b32_e32 v0, 16, v0
	v_mul_u32_u24_e32 v5, 15, v5
	v_sub_u32_e32 v5, v4, v5
	v_lshlrev_b32_e32 v4, 2, v5
	v_mad_u32_u24 v4, v0, 60, v4
	v_cmp_ne_u32_e32 vcc, 0, v5
	v_add_u32_e32 v0, -4, v4
	s_waitcnt vmcnt(0)
	ds_write_b32 v4, v3
	; wave barrier
	s_and_saveexec_b64 s[0:1], vcc
	s_cbranch_execz .LBB238_2
; %bb.1:
	ds_read_b32 v6, v0
	s_waitcnt lgkmcnt(0)
	v_add_u32_e32 v3, v6, v3
.LBB238_2:
	s_or_b64 exec, exec, s[0:1]
	; wave barrier
	s_and_saveexec_b64 s[0:1], vcc
; %bb.3:
	ds_write_b32 v4, v3
; %bb.4:
	s_or_b64 exec, exec, s[0:1]
	v_cmp_lt_u32_e64 s[0:1], 1, v5
	; wave barrier
	s_and_saveexec_b64 s[6:7], s[0:1]
	s_cbranch_execz .LBB238_6
; %bb.5:
	v_add_u32_e32 v6, -8, v4
	ds_read_b32 v6, v6
	s_waitcnt lgkmcnt(0)
	v_add_u32_e32 v3, v6, v3
.LBB238_6:
	s_or_b64 exec, exec, s[6:7]
	; wave barrier
	s_and_saveexec_b64 s[6:7], s[0:1]
; %bb.7:
	ds_write_b32 v4, v3
; %bb.8:
	s_or_b64 exec, exec, s[6:7]
	v_cmp_lt_u32_e64 s[0:1], 3, v5
	; wave barrier
	s_and_saveexec_b64 s[6:7], s[0:1]
	s_cbranch_execz .LBB238_10
; %bb.9:
	v_add_u32_e32 v6, -16, v4
	ds_read_b32 v6, v6
	s_waitcnt lgkmcnt(0)
	v_add_u32_e32 v3, v6, v3
.LBB238_10:
	s_or_b64 exec, exec, s[6:7]
	; wave barrier
	s_and_saveexec_b64 s[6:7], s[0:1]
; %bb.11:
	ds_write_b32 v4, v3
; %bb.12:
	s_or_b64 exec, exec, s[6:7]
	s_load_dwordx2 s[6:7], s[4:5], 0x10
	v_cmp_lt_u32_e64 s[0:1], 7, v5
	; wave barrier
	s_and_saveexec_b64 s[8:9], s[0:1]
	s_cbranch_execz .LBB238_14
; %bb.13:
	v_subrev_u32_e32 v5, 32, v4
	ds_read_b32 v5, v5
	s_waitcnt lgkmcnt(0)
	v_add_u32_e32 v3, v5, v3
.LBB238_14:
	s_or_b64 exec, exec, s[8:9]
	; wave barrier
	s_and_saveexec_b64 s[8:9], s[0:1]
; %bb.15:
	ds_write_b32 v4, v3
; %bb.16:
	s_or_b64 exec, exec, s[8:9]
	s_load_dword s4, s[4:5], 0x18
	; wave barrier
	s_waitcnt lgkmcnt(0)
	v_mov_b32_e32 v4, s4
	s_and_saveexec_b64 s[0:1], vcc
	s_cbranch_execz .LBB238_18
; %bb.17:
	ds_read_b32 v0, v0
	s_waitcnt lgkmcnt(0)
	v_add_u32_e32 v4, s4, v0
.LBB238_18:
	s_or_b64 exec, exec, s[0:1]
	v_add_u32_e32 v0, s4, v3
	v_mov_b32_e32 v3, s3
	v_add_co_u32_e32 v5, vcc, s2, v1
	v_addc_co_u32_e32 v6, vcc, v3, v2, vcc
	global_store_dword v[5:6], v0, off
	v_mov_b32_e32 v3, s7
	v_add_co_u32_e32 v0, vcc, s6, v1
	v_addc_co_u32_e32 v1, vcc, v3, v2, vcc
	global_store_dword v[0:1], v4, off
	s_endpgm
	.section	.rodata,"a",@progbits
	.p2align	6, 0x0
	.amdhsa_kernel _Z16warp_scan_kernelIiLj30ELj15EENSt9enable_ifIXsr10test_utilsE35device_test_enabled_for_warp_size_vIXT1_EEEvE4typeEPT_S4_S4_S3_
		.amdhsa_group_segment_fixed_size 120
		.amdhsa_private_segment_fixed_size 0
		.amdhsa_kernarg_size 288
		.amdhsa_user_sgpr_count 6
		.amdhsa_user_sgpr_private_segment_buffer 1
		.amdhsa_user_sgpr_dispatch_ptr 0
		.amdhsa_user_sgpr_queue_ptr 0
		.amdhsa_user_sgpr_kernarg_segment_ptr 1
		.amdhsa_user_sgpr_dispatch_id 0
		.amdhsa_user_sgpr_flat_scratch_init 0
		.amdhsa_user_sgpr_private_segment_size 0
		.amdhsa_uses_dynamic_stack 0
		.amdhsa_system_sgpr_private_segment_wavefront_offset 0
		.amdhsa_system_sgpr_workgroup_id_x 1
		.amdhsa_system_sgpr_workgroup_id_y 0
		.amdhsa_system_sgpr_workgroup_id_z 0
		.amdhsa_system_sgpr_workgroup_info 0
		.amdhsa_system_vgpr_workitem_id 0
		.amdhsa_next_free_vgpr 7
		.amdhsa_next_free_sgpr 10
		.amdhsa_reserve_vcc 1
		.amdhsa_reserve_flat_scratch 0
		.amdhsa_float_round_mode_32 0
		.amdhsa_float_round_mode_16_64 0
		.amdhsa_float_denorm_mode_32 3
		.amdhsa_float_denorm_mode_16_64 3
		.amdhsa_dx10_clamp 1
		.amdhsa_ieee_mode 1
		.amdhsa_fp16_overflow 0
		.amdhsa_exception_fp_ieee_invalid_op 0
		.amdhsa_exception_fp_denorm_src 0
		.amdhsa_exception_fp_ieee_div_zero 0
		.amdhsa_exception_fp_ieee_overflow 0
		.amdhsa_exception_fp_ieee_underflow 0
		.amdhsa_exception_fp_ieee_inexact 0
		.amdhsa_exception_int_div_zero 0
	.end_amdhsa_kernel
	.section	.text._Z16warp_scan_kernelIiLj30ELj15EENSt9enable_ifIXsr10test_utilsE35device_test_enabled_for_warp_size_vIXT1_EEEvE4typeEPT_S4_S4_S3_,"axG",@progbits,_Z16warp_scan_kernelIiLj30ELj15EENSt9enable_ifIXsr10test_utilsE35device_test_enabled_for_warp_size_vIXT1_EEEvE4typeEPT_S4_S4_S3_,comdat
.Lfunc_end238:
	.size	_Z16warp_scan_kernelIiLj30ELj15EENSt9enable_ifIXsr10test_utilsE35device_test_enabled_for_warp_size_vIXT1_EEEvE4typeEPT_S4_S4_S3_, .Lfunc_end238-_Z16warp_scan_kernelIiLj30ELj15EENSt9enable_ifIXsr10test_utilsE35device_test_enabled_for_warp_size_vIXT1_EEEvE4typeEPT_S4_S4_S3_
                                        ; -- End function
	.set _Z16warp_scan_kernelIiLj30ELj15EENSt9enable_ifIXsr10test_utilsE35device_test_enabled_for_warp_size_vIXT1_EEEvE4typeEPT_S4_S4_S3_.num_vgpr, 7
	.set _Z16warp_scan_kernelIiLj30ELj15EENSt9enable_ifIXsr10test_utilsE35device_test_enabled_for_warp_size_vIXT1_EEEvE4typeEPT_S4_S4_S3_.num_agpr, 0
	.set _Z16warp_scan_kernelIiLj30ELj15EENSt9enable_ifIXsr10test_utilsE35device_test_enabled_for_warp_size_vIXT1_EEEvE4typeEPT_S4_S4_S3_.numbered_sgpr, 10
	.set _Z16warp_scan_kernelIiLj30ELj15EENSt9enable_ifIXsr10test_utilsE35device_test_enabled_for_warp_size_vIXT1_EEEvE4typeEPT_S4_S4_S3_.num_named_barrier, 0
	.set _Z16warp_scan_kernelIiLj30ELj15EENSt9enable_ifIXsr10test_utilsE35device_test_enabled_for_warp_size_vIXT1_EEEvE4typeEPT_S4_S4_S3_.private_seg_size, 0
	.set _Z16warp_scan_kernelIiLj30ELj15EENSt9enable_ifIXsr10test_utilsE35device_test_enabled_for_warp_size_vIXT1_EEEvE4typeEPT_S4_S4_S3_.uses_vcc, 1
	.set _Z16warp_scan_kernelIiLj30ELj15EENSt9enable_ifIXsr10test_utilsE35device_test_enabled_for_warp_size_vIXT1_EEEvE4typeEPT_S4_S4_S3_.uses_flat_scratch, 0
	.set _Z16warp_scan_kernelIiLj30ELj15EENSt9enable_ifIXsr10test_utilsE35device_test_enabled_for_warp_size_vIXT1_EEEvE4typeEPT_S4_S4_S3_.has_dyn_sized_stack, 0
	.set _Z16warp_scan_kernelIiLj30ELj15EENSt9enable_ifIXsr10test_utilsE35device_test_enabled_for_warp_size_vIXT1_EEEvE4typeEPT_S4_S4_S3_.has_recursion, 0
	.set _Z16warp_scan_kernelIiLj30ELj15EENSt9enable_ifIXsr10test_utilsE35device_test_enabled_for_warp_size_vIXT1_EEEvE4typeEPT_S4_S4_S3_.has_indirect_call, 0
	.section	.AMDGPU.csdata,"",@progbits
; Kernel info:
; codeLenInByte = 464
; TotalNumSgprs: 14
; NumVgprs: 7
; ScratchSize: 0
; MemoryBound: 0
; FloatMode: 240
; IeeeMode: 1
; LDSByteSize: 120 bytes/workgroup (compile time only)
; SGPRBlocks: 1
; VGPRBlocks: 1
; NumSGPRsForWavesPerEU: 14
; NumVGPRsForWavesPerEU: 7
; Occupancy: 10
; WaveLimiterHint : 0
; COMPUTE_PGM_RSRC2:SCRATCH_EN: 0
; COMPUTE_PGM_RSRC2:USER_SGPR: 6
; COMPUTE_PGM_RSRC2:TRAP_HANDLER: 0
; COMPUTE_PGM_RSRC2:TGID_X_EN: 1
; COMPUTE_PGM_RSRC2:TGID_Y_EN: 0
; COMPUTE_PGM_RSRC2:TGID_Z_EN: 0
; COMPUTE_PGM_RSRC2:TIDIG_COMP_CNT: 0
	.section	.text._Z16warp_scan_kernelIiLj60ELj15EENSt9enable_ifIXsr10test_utilsE35device_test_enabled_for_warp_size_vIXT1_EEEvE4typeEPT_S4_S4_S3_,"axG",@progbits,_Z16warp_scan_kernelIiLj60ELj15EENSt9enable_ifIXsr10test_utilsE35device_test_enabled_for_warp_size_vIXT1_EEEvE4typeEPT_S4_S4_S3_,comdat
	.protected	_Z16warp_scan_kernelIiLj60ELj15EENSt9enable_ifIXsr10test_utilsE35device_test_enabled_for_warp_size_vIXT1_EEEvE4typeEPT_S4_S4_S3_ ; -- Begin function _Z16warp_scan_kernelIiLj60ELj15EENSt9enable_ifIXsr10test_utilsE35device_test_enabled_for_warp_size_vIXT1_EEEvE4typeEPT_S4_S4_S3_
	.globl	_Z16warp_scan_kernelIiLj60ELj15EENSt9enable_ifIXsr10test_utilsE35device_test_enabled_for_warp_size_vIXT1_EEEvE4typeEPT_S4_S4_S3_
	.p2align	8
	.type	_Z16warp_scan_kernelIiLj60ELj15EENSt9enable_ifIXsr10test_utilsE35device_test_enabled_for_warp_size_vIXT1_EEEvE4typeEPT_S4_S4_S3_,@function
_Z16warp_scan_kernelIiLj60ELj15EENSt9enable_ifIXsr10test_utilsE35device_test_enabled_for_warp_size_vIXT1_EEEvE4typeEPT_S4_S4_S3_: ; @_Z16warp_scan_kernelIiLj60ELj15EENSt9enable_ifIXsr10test_utilsE35device_test_enabled_for_warp_size_vIXT1_EEEvE4typeEPT_S4_S4_S3_
; %bb.0:
	s_load_dword s7, s[4:5], 0x2c
	s_load_dwordx4 s[0:3], s[4:5], 0x0
	v_mov_b32_e32 v2, 0
	s_waitcnt lgkmcnt(0)
	s_and_b32 s7, s7, 0xffff
	s_mul_i32 s6, s6, s7
	v_add_u32_e32 v1, s6, v0
	v_lshlrev_b64 v[1:2], 2, v[1:2]
	v_mov_b32_e32 v4, s1
	v_add_co_u32_e32 v3, vcc, s0, v1
	v_addc_co_u32_e32 v4, vcc, v4, v2, vcc
	global_load_dword v3, v[3:4], off
	v_mbcnt_lo_u32_b32 v4, -1, 0
	s_mov_b32 s0, 0x11111112
	v_mbcnt_hi_u32_b32 v4, -1, v4
	v_mul_hi_u32 v5, v4, s0
	v_mul_u32_u24_e32 v0, 0x1112, v0
	v_lshrrev_b32_e32 v0, 16, v0
	v_mul_u32_u24_e32 v5, 15, v5
	v_sub_u32_e32 v5, v4, v5
	v_lshlrev_b32_e32 v4, 2, v5
	v_mad_u32_u24 v4, v0, 60, v4
	v_cmp_ne_u32_e32 vcc, 0, v5
	v_add_u32_e32 v0, -4, v4
	s_waitcnt vmcnt(0)
	ds_write_b32 v4, v3
	; wave barrier
	s_and_saveexec_b64 s[0:1], vcc
	s_cbranch_execz .LBB239_2
; %bb.1:
	ds_read_b32 v6, v0
	s_waitcnt lgkmcnt(0)
	v_add_u32_e32 v3, v6, v3
.LBB239_2:
	s_or_b64 exec, exec, s[0:1]
	; wave barrier
	s_and_saveexec_b64 s[0:1], vcc
; %bb.3:
	ds_write_b32 v4, v3
; %bb.4:
	s_or_b64 exec, exec, s[0:1]
	v_cmp_lt_u32_e64 s[0:1], 1, v5
	; wave barrier
	s_and_saveexec_b64 s[6:7], s[0:1]
	s_cbranch_execz .LBB239_6
; %bb.5:
	v_add_u32_e32 v6, -8, v4
	ds_read_b32 v6, v6
	s_waitcnt lgkmcnt(0)
	v_add_u32_e32 v3, v6, v3
.LBB239_6:
	s_or_b64 exec, exec, s[6:7]
	; wave barrier
	s_and_saveexec_b64 s[6:7], s[0:1]
; %bb.7:
	ds_write_b32 v4, v3
; %bb.8:
	s_or_b64 exec, exec, s[6:7]
	v_cmp_lt_u32_e64 s[0:1], 3, v5
	; wave barrier
	s_and_saveexec_b64 s[6:7], s[0:1]
	s_cbranch_execz .LBB239_10
; %bb.9:
	v_add_u32_e32 v6, -16, v4
	ds_read_b32 v6, v6
	s_waitcnt lgkmcnt(0)
	v_add_u32_e32 v3, v6, v3
.LBB239_10:
	s_or_b64 exec, exec, s[6:7]
	; wave barrier
	s_and_saveexec_b64 s[6:7], s[0:1]
; %bb.11:
	ds_write_b32 v4, v3
; %bb.12:
	s_or_b64 exec, exec, s[6:7]
	s_load_dwordx2 s[6:7], s[4:5], 0x10
	v_cmp_lt_u32_e64 s[0:1], 7, v5
	; wave barrier
	s_and_saveexec_b64 s[8:9], s[0:1]
	s_cbranch_execz .LBB239_14
; %bb.13:
	v_subrev_u32_e32 v5, 32, v4
	ds_read_b32 v5, v5
	s_waitcnt lgkmcnt(0)
	v_add_u32_e32 v3, v5, v3
.LBB239_14:
	s_or_b64 exec, exec, s[8:9]
	; wave barrier
	s_and_saveexec_b64 s[8:9], s[0:1]
; %bb.15:
	ds_write_b32 v4, v3
; %bb.16:
	s_or_b64 exec, exec, s[8:9]
	s_load_dword s4, s[4:5], 0x18
	; wave barrier
	s_waitcnt lgkmcnt(0)
	v_mov_b32_e32 v4, s4
	s_and_saveexec_b64 s[0:1], vcc
	s_cbranch_execz .LBB239_18
; %bb.17:
	ds_read_b32 v0, v0
	s_waitcnt lgkmcnt(0)
	v_add_u32_e32 v4, s4, v0
.LBB239_18:
	s_or_b64 exec, exec, s[0:1]
	v_add_u32_e32 v0, s4, v3
	v_mov_b32_e32 v3, s3
	v_add_co_u32_e32 v5, vcc, s2, v1
	v_addc_co_u32_e32 v6, vcc, v3, v2, vcc
	global_store_dword v[5:6], v0, off
	v_mov_b32_e32 v3, s7
	v_add_co_u32_e32 v0, vcc, s6, v1
	v_addc_co_u32_e32 v1, vcc, v3, v2, vcc
	global_store_dword v[0:1], v4, off
	s_endpgm
	.section	.rodata,"a",@progbits
	.p2align	6, 0x0
	.amdhsa_kernel _Z16warp_scan_kernelIiLj60ELj15EENSt9enable_ifIXsr10test_utilsE35device_test_enabled_for_warp_size_vIXT1_EEEvE4typeEPT_S4_S4_S3_
		.amdhsa_group_segment_fixed_size 240
		.amdhsa_private_segment_fixed_size 0
		.amdhsa_kernarg_size 288
		.amdhsa_user_sgpr_count 6
		.amdhsa_user_sgpr_private_segment_buffer 1
		.amdhsa_user_sgpr_dispatch_ptr 0
		.amdhsa_user_sgpr_queue_ptr 0
		.amdhsa_user_sgpr_kernarg_segment_ptr 1
		.amdhsa_user_sgpr_dispatch_id 0
		.amdhsa_user_sgpr_flat_scratch_init 0
		.amdhsa_user_sgpr_private_segment_size 0
		.amdhsa_uses_dynamic_stack 0
		.amdhsa_system_sgpr_private_segment_wavefront_offset 0
		.amdhsa_system_sgpr_workgroup_id_x 1
		.amdhsa_system_sgpr_workgroup_id_y 0
		.amdhsa_system_sgpr_workgroup_id_z 0
		.amdhsa_system_sgpr_workgroup_info 0
		.amdhsa_system_vgpr_workitem_id 0
		.amdhsa_next_free_vgpr 7
		.amdhsa_next_free_sgpr 10
		.amdhsa_reserve_vcc 1
		.amdhsa_reserve_flat_scratch 0
		.amdhsa_float_round_mode_32 0
		.amdhsa_float_round_mode_16_64 0
		.amdhsa_float_denorm_mode_32 3
		.amdhsa_float_denorm_mode_16_64 3
		.amdhsa_dx10_clamp 1
		.amdhsa_ieee_mode 1
		.amdhsa_fp16_overflow 0
		.amdhsa_exception_fp_ieee_invalid_op 0
		.amdhsa_exception_fp_denorm_src 0
		.amdhsa_exception_fp_ieee_div_zero 0
		.amdhsa_exception_fp_ieee_overflow 0
		.amdhsa_exception_fp_ieee_underflow 0
		.amdhsa_exception_fp_ieee_inexact 0
		.amdhsa_exception_int_div_zero 0
	.end_amdhsa_kernel
	.section	.text._Z16warp_scan_kernelIiLj60ELj15EENSt9enable_ifIXsr10test_utilsE35device_test_enabled_for_warp_size_vIXT1_EEEvE4typeEPT_S4_S4_S3_,"axG",@progbits,_Z16warp_scan_kernelIiLj60ELj15EENSt9enable_ifIXsr10test_utilsE35device_test_enabled_for_warp_size_vIXT1_EEEvE4typeEPT_S4_S4_S3_,comdat
.Lfunc_end239:
	.size	_Z16warp_scan_kernelIiLj60ELj15EENSt9enable_ifIXsr10test_utilsE35device_test_enabled_for_warp_size_vIXT1_EEEvE4typeEPT_S4_S4_S3_, .Lfunc_end239-_Z16warp_scan_kernelIiLj60ELj15EENSt9enable_ifIXsr10test_utilsE35device_test_enabled_for_warp_size_vIXT1_EEEvE4typeEPT_S4_S4_S3_
                                        ; -- End function
	.set _Z16warp_scan_kernelIiLj60ELj15EENSt9enable_ifIXsr10test_utilsE35device_test_enabled_for_warp_size_vIXT1_EEEvE4typeEPT_S4_S4_S3_.num_vgpr, 7
	.set _Z16warp_scan_kernelIiLj60ELj15EENSt9enable_ifIXsr10test_utilsE35device_test_enabled_for_warp_size_vIXT1_EEEvE4typeEPT_S4_S4_S3_.num_agpr, 0
	.set _Z16warp_scan_kernelIiLj60ELj15EENSt9enable_ifIXsr10test_utilsE35device_test_enabled_for_warp_size_vIXT1_EEEvE4typeEPT_S4_S4_S3_.numbered_sgpr, 10
	.set _Z16warp_scan_kernelIiLj60ELj15EENSt9enable_ifIXsr10test_utilsE35device_test_enabled_for_warp_size_vIXT1_EEEvE4typeEPT_S4_S4_S3_.num_named_barrier, 0
	.set _Z16warp_scan_kernelIiLj60ELj15EENSt9enable_ifIXsr10test_utilsE35device_test_enabled_for_warp_size_vIXT1_EEEvE4typeEPT_S4_S4_S3_.private_seg_size, 0
	.set _Z16warp_scan_kernelIiLj60ELj15EENSt9enable_ifIXsr10test_utilsE35device_test_enabled_for_warp_size_vIXT1_EEEvE4typeEPT_S4_S4_S3_.uses_vcc, 1
	.set _Z16warp_scan_kernelIiLj60ELj15EENSt9enable_ifIXsr10test_utilsE35device_test_enabled_for_warp_size_vIXT1_EEEvE4typeEPT_S4_S4_S3_.uses_flat_scratch, 0
	.set _Z16warp_scan_kernelIiLj60ELj15EENSt9enable_ifIXsr10test_utilsE35device_test_enabled_for_warp_size_vIXT1_EEEvE4typeEPT_S4_S4_S3_.has_dyn_sized_stack, 0
	.set _Z16warp_scan_kernelIiLj60ELj15EENSt9enable_ifIXsr10test_utilsE35device_test_enabled_for_warp_size_vIXT1_EEEvE4typeEPT_S4_S4_S3_.has_recursion, 0
	.set _Z16warp_scan_kernelIiLj60ELj15EENSt9enable_ifIXsr10test_utilsE35device_test_enabled_for_warp_size_vIXT1_EEEvE4typeEPT_S4_S4_S3_.has_indirect_call, 0
	.section	.AMDGPU.csdata,"",@progbits
; Kernel info:
; codeLenInByte = 464
; TotalNumSgprs: 14
; NumVgprs: 7
; ScratchSize: 0
; MemoryBound: 0
; FloatMode: 240
; IeeeMode: 1
; LDSByteSize: 240 bytes/workgroup (compile time only)
; SGPRBlocks: 1
; VGPRBlocks: 1
; NumSGPRsForWavesPerEU: 14
; NumVGPRsForWavesPerEU: 7
; Occupancy: 10
; WaveLimiterHint : 0
; COMPUTE_PGM_RSRC2:SCRATCH_EN: 0
; COMPUTE_PGM_RSRC2:USER_SGPR: 6
; COMPUTE_PGM_RSRC2:TRAP_HANDLER: 0
; COMPUTE_PGM_RSRC2:TGID_X_EN: 1
; COMPUTE_PGM_RSRC2:TGID_Y_EN: 0
; COMPUTE_PGM_RSRC2:TGID_Z_EN: 0
; COMPUTE_PGM_RSRC2:TIDIG_COMP_CNT: 0
	.section	.text._Z16warp_scan_kernelIiLj28ELj7EENSt9enable_ifIXsr10test_utilsE35device_test_enabled_for_warp_size_vIXT1_EEEvE4typeEPT_S4_S4_S3_,"axG",@progbits,_Z16warp_scan_kernelIiLj28ELj7EENSt9enable_ifIXsr10test_utilsE35device_test_enabled_for_warp_size_vIXT1_EEEvE4typeEPT_S4_S4_S3_,comdat
	.protected	_Z16warp_scan_kernelIiLj28ELj7EENSt9enable_ifIXsr10test_utilsE35device_test_enabled_for_warp_size_vIXT1_EEEvE4typeEPT_S4_S4_S3_ ; -- Begin function _Z16warp_scan_kernelIiLj28ELj7EENSt9enable_ifIXsr10test_utilsE35device_test_enabled_for_warp_size_vIXT1_EEEvE4typeEPT_S4_S4_S3_
	.globl	_Z16warp_scan_kernelIiLj28ELj7EENSt9enable_ifIXsr10test_utilsE35device_test_enabled_for_warp_size_vIXT1_EEEvE4typeEPT_S4_S4_S3_
	.p2align	8
	.type	_Z16warp_scan_kernelIiLj28ELj7EENSt9enable_ifIXsr10test_utilsE35device_test_enabled_for_warp_size_vIXT1_EEEvE4typeEPT_S4_S4_S3_,@function
_Z16warp_scan_kernelIiLj28ELj7EENSt9enable_ifIXsr10test_utilsE35device_test_enabled_for_warp_size_vIXT1_EEEvE4typeEPT_S4_S4_S3_: ; @_Z16warp_scan_kernelIiLj28ELj7EENSt9enable_ifIXsr10test_utilsE35device_test_enabled_for_warp_size_vIXT1_EEEvE4typeEPT_S4_S4_S3_
; %bb.0:
	s_load_dword s7, s[4:5], 0x2c
	s_load_dwordx4 s[0:3], s[4:5], 0x0
	v_mov_b32_e32 v2, 0
	s_waitcnt lgkmcnt(0)
	s_and_b32 s7, s7, 0xffff
	s_mul_i32 s6, s6, s7
	v_add_u32_e32 v1, s6, v0
	v_lshlrev_b64 v[1:2], 2, v[1:2]
	v_mov_b32_e32 v4, s1
	v_add_co_u32_e32 v3, vcc, s0, v1
	v_addc_co_u32_e32 v4, vcc, v4, v2, vcc
	global_load_dword v3, v[3:4], off
	v_mbcnt_lo_u32_b32 v4, -1, 0
	s_mov_b32 s0, 0x24924925
	v_mbcnt_hi_u32_b32 v4, -1, v4
	v_mul_hi_u32 v5, v4, s0
	v_mul_u32_u24_e32 v0, 0x2493, v0
	v_lshrrev_b32_e32 v0, 16, v0
	v_mul_u32_u24_e32 v5, 7, v5
	v_sub_u32_e32 v5, v4, v5
	v_lshlrev_b32_e32 v4, 2, v5
	v_mad_u32_u24 v4, v0, 28, v4
	v_cmp_ne_u32_e32 vcc, 0, v5
	v_add_u32_e32 v0, -4, v4
	s_waitcnt vmcnt(0)
	ds_write_b32 v4, v3
	; wave barrier
	s_and_saveexec_b64 s[0:1], vcc
	s_cbranch_execz .LBB240_2
; %bb.1:
	ds_read_b32 v6, v0
	s_waitcnt lgkmcnt(0)
	v_add_u32_e32 v3, v6, v3
.LBB240_2:
	s_or_b64 exec, exec, s[0:1]
	; wave barrier
	s_and_saveexec_b64 s[0:1], vcc
; %bb.3:
	ds_write_b32 v4, v3
; %bb.4:
	s_or_b64 exec, exec, s[0:1]
	v_cmp_lt_u32_e64 s[0:1], 1, v5
	; wave barrier
	s_and_saveexec_b64 s[6:7], s[0:1]
	s_cbranch_execz .LBB240_6
; %bb.5:
	v_add_u32_e32 v6, -8, v4
	ds_read_b32 v6, v6
	s_waitcnt lgkmcnt(0)
	v_add_u32_e32 v3, v6, v3
.LBB240_6:
	s_or_b64 exec, exec, s[6:7]
	; wave barrier
	s_and_saveexec_b64 s[6:7], s[0:1]
; %bb.7:
	ds_write_b32 v4, v3
; %bb.8:
	s_or_b64 exec, exec, s[6:7]
	s_load_dwordx2 s[6:7], s[4:5], 0x10
	v_cmp_lt_u32_e64 s[0:1], 3, v5
	; wave barrier
	s_and_saveexec_b64 s[8:9], s[0:1]
	s_cbranch_execz .LBB240_10
; %bb.9:
	v_add_u32_e32 v5, -16, v4
	ds_read_b32 v5, v5
	s_waitcnt lgkmcnt(0)
	v_add_u32_e32 v3, v5, v3
.LBB240_10:
	s_or_b64 exec, exec, s[8:9]
	; wave barrier
	s_and_saveexec_b64 s[8:9], s[0:1]
; %bb.11:
	ds_write_b32 v4, v3
; %bb.12:
	s_or_b64 exec, exec, s[8:9]
	s_load_dword s4, s[4:5], 0x18
	; wave barrier
	s_waitcnt lgkmcnt(0)
	v_mov_b32_e32 v4, s4
	s_and_saveexec_b64 s[0:1], vcc
	s_cbranch_execz .LBB240_14
; %bb.13:
	ds_read_b32 v0, v0
	s_waitcnt lgkmcnt(0)
	v_add_u32_e32 v4, s4, v0
.LBB240_14:
	s_or_b64 exec, exec, s[0:1]
	v_add_u32_e32 v0, s4, v3
	v_mov_b32_e32 v3, s3
	v_add_co_u32_e32 v5, vcc, s2, v1
	v_addc_co_u32_e32 v6, vcc, v3, v2, vcc
	global_store_dword v[5:6], v0, off
	v_mov_b32_e32 v3, s7
	v_add_co_u32_e32 v0, vcc, s6, v1
	v_addc_co_u32_e32 v1, vcc, v3, v2, vcc
	global_store_dword v[0:1], v4, off
	s_endpgm
	.section	.rodata,"a",@progbits
	.p2align	6, 0x0
	.amdhsa_kernel _Z16warp_scan_kernelIiLj28ELj7EENSt9enable_ifIXsr10test_utilsE35device_test_enabled_for_warp_size_vIXT1_EEEvE4typeEPT_S4_S4_S3_
		.amdhsa_group_segment_fixed_size 112
		.amdhsa_private_segment_fixed_size 0
		.amdhsa_kernarg_size 288
		.amdhsa_user_sgpr_count 6
		.amdhsa_user_sgpr_private_segment_buffer 1
		.amdhsa_user_sgpr_dispatch_ptr 0
		.amdhsa_user_sgpr_queue_ptr 0
		.amdhsa_user_sgpr_kernarg_segment_ptr 1
		.amdhsa_user_sgpr_dispatch_id 0
		.amdhsa_user_sgpr_flat_scratch_init 0
		.amdhsa_user_sgpr_private_segment_size 0
		.amdhsa_uses_dynamic_stack 0
		.amdhsa_system_sgpr_private_segment_wavefront_offset 0
		.amdhsa_system_sgpr_workgroup_id_x 1
		.amdhsa_system_sgpr_workgroup_id_y 0
		.amdhsa_system_sgpr_workgroup_id_z 0
		.amdhsa_system_sgpr_workgroup_info 0
		.amdhsa_system_vgpr_workitem_id 0
		.amdhsa_next_free_vgpr 7
		.amdhsa_next_free_sgpr 10
		.amdhsa_reserve_vcc 1
		.amdhsa_reserve_flat_scratch 0
		.amdhsa_float_round_mode_32 0
		.amdhsa_float_round_mode_16_64 0
		.amdhsa_float_denorm_mode_32 3
		.amdhsa_float_denorm_mode_16_64 3
		.amdhsa_dx10_clamp 1
		.amdhsa_ieee_mode 1
		.amdhsa_fp16_overflow 0
		.amdhsa_exception_fp_ieee_invalid_op 0
		.amdhsa_exception_fp_denorm_src 0
		.amdhsa_exception_fp_ieee_div_zero 0
		.amdhsa_exception_fp_ieee_overflow 0
		.amdhsa_exception_fp_ieee_underflow 0
		.amdhsa_exception_fp_ieee_inexact 0
		.amdhsa_exception_int_div_zero 0
	.end_amdhsa_kernel
	.section	.text._Z16warp_scan_kernelIiLj28ELj7EENSt9enable_ifIXsr10test_utilsE35device_test_enabled_for_warp_size_vIXT1_EEEvE4typeEPT_S4_S4_S3_,"axG",@progbits,_Z16warp_scan_kernelIiLj28ELj7EENSt9enable_ifIXsr10test_utilsE35device_test_enabled_for_warp_size_vIXT1_EEEvE4typeEPT_S4_S4_S3_,comdat
.Lfunc_end240:
	.size	_Z16warp_scan_kernelIiLj28ELj7EENSt9enable_ifIXsr10test_utilsE35device_test_enabled_for_warp_size_vIXT1_EEEvE4typeEPT_S4_S4_S3_, .Lfunc_end240-_Z16warp_scan_kernelIiLj28ELj7EENSt9enable_ifIXsr10test_utilsE35device_test_enabled_for_warp_size_vIXT1_EEEvE4typeEPT_S4_S4_S3_
                                        ; -- End function
	.set _Z16warp_scan_kernelIiLj28ELj7EENSt9enable_ifIXsr10test_utilsE35device_test_enabled_for_warp_size_vIXT1_EEEvE4typeEPT_S4_S4_S3_.num_vgpr, 7
	.set _Z16warp_scan_kernelIiLj28ELj7EENSt9enable_ifIXsr10test_utilsE35device_test_enabled_for_warp_size_vIXT1_EEEvE4typeEPT_S4_S4_S3_.num_agpr, 0
	.set _Z16warp_scan_kernelIiLj28ELj7EENSt9enable_ifIXsr10test_utilsE35device_test_enabled_for_warp_size_vIXT1_EEEvE4typeEPT_S4_S4_S3_.numbered_sgpr, 10
	.set _Z16warp_scan_kernelIiLj28ELj7EENSt9enable_ifIXsr10test_utilsE35device_test_enabled_for_warp_size_vIXT1_EEEvE4typeEPT_S4_S4_S3_.num_named_barrier, 0
	.set _Z16warp_scan_kernelIiLj28ELj7EENSt9enable_ifIXsr10test_utilsE35device_test_enabled_for_warp_size_vIXT1_EEEvE4typeEPT_S4_S4_S3_.private_seg_size, 0
	.set _Z16warp_scan_kernelIiLj28ELj7EENSt9enable_ifIXsr10test_utilsE35device_test_enabled_for_warp_size_vIXT1_EEEvE4typeEPT_S4_S4_S3_.uses_vcc, 1
	.set _Z16warp_scan_kernelIiLj28ELj7EENSt9enable_ifIXsr10test_utilsE35device_test_enabled_for_warp_size_vIXT1_EEEvE4typeEPT_S4_S4_S3_.uses_flat_scratch, 0
	.set _Z16warp_scan_kernelIiLj28ELj7EENSt9enable_ifIXsr10test_utilsE35device_test_enabled_for_warp_size_vIXT1_EEEvE4typeEPT_S4_S4_S3_.has_dyn_sized_stack, 0
	.set _Z16warp_scan_kernelIiLj28ELj7EENSt9enable_ifIXsr10test_utilsE35device_test_enabled_for_warp_size_vIXT1_EEEvE4typeEPT_S4_S4_S3_.has_recursion, 0
	.set _Z16warp_scan_kernelIiLj28ELj7EENSt9enable_ifIXsr10test_utilsE35device_test_enabled_for_warp_size_vIXT1_EEEvE4typeEPT_S4_S4_S3_.has_indirect_call, 0
	.section	.AMDGPU.csdata,"",@progbits
; Kernel info:
; codeLenInByte = 408
; TotalNumSgprs: 14
; NumVgprs: 7
; ScratchSize: 0
; MemoryBound: 0
; FloatMode: 240
; IeeeMode: 1
; LDSByteSize: 112 bytes/workgroup (compile time only)
; SGPRBlocks: 1
; VGPRBlocks: 1
; NumSGPRsForWavesPerEU: 14
; NumVGPRsForWavesPerEU: 7
; Occupancy: 10
; WaveLimiterHint : 0
; COMPUTE_PGM_RSRC2:SCRATCH_EN: 0
; COMPUTE_PGM_RSRC2:USER_SGPR: 6
; COMPUTE_PGM_RSRC2:TRAP_HANDLER: 0
; COMPUTE_PGM_RSRC2:TGID_X_EN: 1
; COMPUTE_PGM_RSRC2:TGID_Y_EN: 0
; COMPUTE_PGM_RSRC2:TGID_Z_EN: 0
; COMPUTE_PGM_RSRC2:TIDIG_COMP_CNT: 0
	.section	.text._Z16warp_scan_kernelIiLj63ELj7EENSt9enable_ifIXsr10test_utilsE35device_test_enabled_for_warp_size_vIXT1_EEEvE4typeEPT_S4_S4_S3_,"axG",@progbits,_Z16warp_scan_kernelIiLj63ELj7EENSt9enable_ifIXsr10test_utilsE35device_test_enabled_for_warp_size_vIXT1_EEEvE4typeEPT_S4_S4_S3_,comdat
	.protected	_Z16warp_scan_kernelIiLj63ELj7EENSt9enable_ifIXsr10test_utilsE35device_test_enabled_for_warp_size_vIXT1_EEEvE4typeEPT_S4_S4_S3_ ; -- Begin function _Z16warp_scan_kernelIiLj63ELj7EENSt9enable_ifIXsr10test_utilsE35device_test_enabled_for_warp_size_vIXT1_EEEvE4typeEPT_S4_S4_S3_
	.globl	_Z16warp_scan_kernelIiLj63ELj7EENSt9enable_ifIXsr10test_utilsE35device_test_enabled_for_warp_size_vIXT1_EEEvE4typeEPT_S4_S4_S3_
	.p2align	8
	.type	_Z16warp_scan_kernelIiLj63ELj7EENSt9enable_ifIXsr10test_utilsE35device_test_enabled_for_warp_size_vIXT1_EEEvE4typeEPT_S4_S4_S3_,@function
_Z16warp_scan_kernelIiLj63ELj7EENSt9enable_ifIXsr10test_utilsE35device_test_enabled_for_warp_size_vIXT1_EEEvE4typeEPT_S4_S4_S3_: ; @_Z16warp_scan_kernelIiLj63ELj7EENSt9enable_ifIXsr10test_utilsE35device_test_enabled_for_warp_size_vIXT1_EEEvE4typeEPT_S4_S4_S3_
; %bb.0:
	s_load_dword s7, s[4:5], 0x2c
	s_load_dwordx4 s[0:3], s[4:5], 0x0
	v_mov_b32_e32 v2, 0
	s_waitcnt lgkmcnt(0)
	s_and_b32 s7, s7, 0xffff
	s_mul_i32 s6, s6, s7
	v_add_u32_e32 v1, s6, v0
	v_lshlrev_b64 v[1:2], 2, v[1:2]
	v_mov_b32_e32 v4, s1
	v_add_co_u32_e32 v3, vcc, s0, v1
	v_addc_co_u32_e32 v4, vcc, v4, v2, vcc
	global_load_dword v3, v[3:4], off
	v_mbcnt_lo_u32_b32 v4, -1, 0
	s_mov_b32 s0, 0x24924925
	v_mbcnt_hi_u32_b32 v4, -1, v4
	v_mul_hi_u32 v5, v4, s0
	v_mul_u32_u24_e32 v0, 0x2493, v0
	v_lshrrev_b32_e32 v0, 16, v0
	v_mul_u32_u24_e32 v5, 7, v5
	v_sub_u32_e32 v5, v4, v5
	v_lshlrev_b32_e32 v4, 2, v5
	v_mad_u32_u24 v4, v0, 28, v4
	v_cmp_ne_u32_e32 vcc, 0, v5
	v_add_u32_e32 v0, -4, v4
	s_waitcnt vmcnt(0)
	ds_write_b32 v4, v3
	; wave barrier
	s_and_saveexec_b64 s[0:1], vcc
	s_cbranch_execz .LBB241_2
; %bb.1:
	ds_read_b32 v6, v0
	s_waitcnt lgkmcnt(0)
	v_add_u32_e32 v3, v6, v3
.LBB241_2:
	s_or_b64 exec, exec, s[0:1]
	; wave barrier
	s_and_saveexec_b64 s[0:1], vcc
; %bb.3:
	ds_write_b32 v4, v3
; %bb.4:
	s_or_b64 exec, exec, s[0:1]
	v_cmp_lt_u32_e64 s[0:1], 1, v5
	; wave barrier
	s_and_saveexec_b64 s[6:7], s[0:1]
	s_cbranch_execz .LBB241_6
; %bb.5:
	v_add_u32_e32 v6, -8, v4
	ds_read_b32 v6, v6
	s_waitcnt lgkmcnt(0)
	v_add_u32_e32 v3, v6, v3
.LBB241_6:
	s_or_b64 exec, exec, s[6:7]
	; wave barrier
	s_and_saveexec_b64 s[6:7], s[0:1]
; %bb.7:
	ds_write_b32 v4, v3
; %bb.8:
	s_or_b64 exec, exec, s[6:7]
	s_load_dwordx2 s[6:7], s[4:5], 0x10
	v_cmp_lt_u32_e64 s[0:1], 3, v5
	; wave barrier
	s_and_saveexec_b64 s[8:9], s[0:1]
	s_cbranch_execz .LBB241_10
; %bb.9:
	v_add_u32_e32 v5, -16, v4
	ds_read_b32 v5, v5
	s_waitcnt lgkmcnt(0)
	v_add_u32_e32 v3, v5, v3
.LBB241_10:
	s_or_b64 exec, exec, s[8:9]
	; wave barrier
	s_and_saveexec_b64 s[8:9], s[0:1]
; %bb.11:
	ds_write_b32 v4, v3
; %bb.12:
	s_or_b64 exec, exec, s[8:9]
	s_load_dword s4, s[4:5], 0x18
	; wave barrier
	s_waitcnt lgkmcnt(0)
	v_mov_b32_e32 v4, s4
	s_and_saveexec_b64 s[0:1], vcc
	s_cbranch_execz .LBB241_14
; %bb.13:
	ds_read_b32 v0, v0
	s_waitcnt lgkmcnt(0)
	v_add_u32_e32 v4, s4, v0
.LBB241_14:
	s_or_b64 exec, exec, s[0:1]
	v_add_u32_e32 v0, s4, v3
	v_mov_b32_e32 v3, s3
	v_add_co_u32_e32 v5, vcc, s2, v1
	v_addc_co_u32_e32 v6, vcc, v3, v2, vcc
	global_store_dword v[5:6], v0, off
	v_mov_b32_e32 v3, s7
	v_add_co_u32_e32 v0, vcc, s6, v1
	v_addc_co_u32_e32 v1, vcc, v3, v2, vcc
	global_store_dword v[0:1], v4, off
	s_endpgm
	.section	.rodata,"a",@progbits
	.p2align	6, 0x0
	.amdhsa_kernel _Z16warp_scan_kernelIiLj63ELj7EENSt9enable_ifIXsr10test_utilsE35device_test_enabled_for_warp_size_vIXT1_EEEvE4typeEPT_S4_S4_S3_
		.amdhsa_group_segment_fixed_size 252
		.amdhsa_private_segment_fixed_size 0
		.amdhsa_kernarg_size 288
		.amdhsa_user_sgpr_count 6
		.amdhsa_user_sgpr_private_segment_buffer 1
		.amdhsa_user_sgpr_dispatch_ptr 0
		.amdhsa_user_sgpr_queue_ptr 0
		.amdhsa_user_sgpr_kernarg_segment_ptr 1
		.amdhsa_user_sgpr_dispatch_id 0
		.amdhsa_user_sgpr_flat_scratch_init 0
		.amdhsa_user_sgpr_private_segment_size 0
		.amdhsa_uses_dynamic_stack 0
		.amdhsa_system_sgpr_private_segment_wavefront_offset 0
		.amdhsa_system_sgpr_workgroup_id_x 1
		.amdhsa_system_sgpr_workgroup_id_y 0
		.amdhsa_system_sgpr_workgroup_id_z 0
		.amdhsa_system_sgpr_workgroup_info 0
		.amdhsa_system_vgpr_workitem_id 0
		.amdhsa_next_free_vgpr 7
		.amdhsa_next_free_sgpr 10
		.amdhsa_reserve_vcc 1
		.amdhsa_reserve_flat_scratch 0
		.amdhsa_float_round_mode_32 0
		.amdhsa_float_round_mode_16_64 0
		.amdhsa_float_denorm_mode_32 3
		.amdhsa_float_denorm_mode_16_64 3
		.amdhsa_dx10_clamp 1
		.amdhsa_ieee_mode 1
		.amdhsa_fp16_overflow 0
		.amdhsa_exception_fp_ieee_invalid_op 0
		.amdhsa_exception_fp_denorm_src 0
		.amdhsa_exception_fp_ieee_div_zero 0
		.amdhsa_exception_fp_ieee_overflow 0
		.amdhsa_exception_fp_ieee_underflow 0
		.amdhsa_exception_fp_ieee_inexact 0
		.amdhsa_exception_int_div_zero 0
	.end_amdhsa_kernel
	.section	.text._Z16warp_scan_kernelIiLj63ELj7EENSt9enable_ifIXsr10test_utilsE35device_test_enabled_for_warp_size_vIXT1_EEEvE4typeEPT_S4_S4_S3_,"axG",@progbits,_Z16warp_scan_kernelIiLj63ELj7EENSt9enable_ifIXsr10test_utilsE35device_test_enabled_for_warp_size_vIXT1_EEEvE4typeEPT_S4_S4_S3_,comdat
.Lfunc_end241:
	.size	_Z16warp_scan_kernelIiLj63ELj7EENSt9enable_ifIXsr10test_utilsE35device_test_enabled_for_warp_size_vIXT1_EEEvE4typeEPT_S4_S4_S3_, .Lfunc_end241-_Z16warp_scan_kernelIiLj63ELj7EENSt9enable_ifIXsr10test_utilsE35device_test_enabled_for_warp_size_vIXT1_EEEvE4typeEPT_S4_S4_S3_
                                        ; -- End function
	.set _Z16warp_scan_kernelIiLj63ELj7EENSt9enable_ifIXsr10test_utilsE35device_test_enabled_for_warp_size_vIXT1_EEEvE4typeEPT_S4_S4_S3_.num_vgpr, 7
	.set _Z16warp_scan_kernelIiLj63ELj7EENSt9enable_ifIXsr10test_utilsE35device_test_enabled_for_warp_size_vIXT1_EEEvE4typeEPT_S4_S4_S3_.num_agpr, 0
	.set _Z16warp_scan_kernelIiLj63ELj7EENSt9enable_ifIXsr10test_utilsE35device_test_enabled_for_warp_size_vIXT1_EEEvE4typeEPT_S4_S4_S3_.numbered_sgpr, 10
	.set _Z16warp_scan_kernelIiLj63ELj7EENSt9enable_ifIXsr10test_utilsE35device_test_enabled_for_warp_size_vIXT1_EEEvE4typeEPT_S4_S4_S3_.num_named_barrier, 0
	.set _Z16warp_scan_kernelIiLj63ELj7EENSt9enable_ifIXsr10test_utilsE35device_test_enabled_for_warp_size_vIXT1_EEEvE4typeEPT_S4_S4_S3_.private_seg_size, 0
	.set _Z16warp_scan_kernelIiLj63ELj7EENSt9enable_ifIXsr10test_utilsE35device_test_enabled_for_warp_size_vIXT1_EEEvE4typeEPT_S4_S4_S3_.uses_vcc, 1
	.set _Z16warp_scan_kernelIiLj63ELj7EENSt9enable_ifIXsr10test_utilsE35device_test_enabled_for_warp_size_vIXT1_EEEvE4typeEPT_S4_S4_S3_.uses_flat_scratch, 0
	.set _Z16warp_scan_kernelIiLj63ELj7EENSt9enable_ifIXsr10test_utilsE35device_test_enabled_for_warp_size_vIXT1_EEEvE4typeEPT_S4_S4_S3_.has_dyn_sized_stack, 0
	.set _Z16warp_scan_kernelIiLj63ELj7EENSt9enable_ifIXsr10test_utilsE35device_test_enabled_for_warp_size_vIXT1_EEEvE4typeEPT_S4_S4_S3_.has_recursion, 0
	.set _Z16warp_scan_kernelIiLj63ELj7EENSt9enable_ifIXsr10test_utilsE35device_test_enabled_for_warp_size_vIXT1_EEEvE4typeEPT_S4_S4_S3_.has_indirect_call, 0
	.section	.AMDGPU.csdata,"",@progbits
; Kernel info:
; codeLenInByte = 408
; TotalNumSgprs: 14
; NumVgprs: 7
; ScratchSize: 0
; MemoryBound: 0
; FloatMode: 240
; IeeeMode: 1
; LDSByteSize: 252 bytes/workgroup (compile time only)
; SGPRBlocks: 1
; VGPRBlocks: 1
; NumSGPRsForWavesPerEU: 14
; NumVGPRsForWavesPerEU: 7
; Occupancy: 10
; WaveLimiterHint : 0
; COMPUTE_PGM_RSRC2:SCRATCH_EN: 0
; COMPUTE_PGM_RSRC2:USER_SGPR: 6
; COMPUTE_PGM_RSRC2:TRAP_HANDLER: 0
; COMPUTE_PGM_RSRC2:TGID_X_EN: 1
; COMPUTE_PGM_RSRC2:TGID_Y_EN: 0
; COMPUTE_PGM_RSRC2:TGID_Z_EN: 0
; COMPUTE_PGM_RSRC2:TIDIG_COMP_CNT: 0
	.section	.text._Z16warp_scan_kernelIiLj30ELj3EENSt9enable_ifIXsr10test_utilsE35device_test_enabled_for_warp_size_vIXT1_EEEvE4typeEPT_S4_S4_S3_,"axG",@progbits,_Z16warp_scan_kernelIiLj30ELj3EENSt9enable_ifIXsr10test_utilsE35device_test_enabled_for_warp_size_vIXT1_EEEvE4typeEPT_S4_S4_S3_,comdat
	.protected	_Z16warp_scan_kernelIiLj30ELj3EENSt9enable_ifIXsr10test_utilsE35device_test_enabled_for_warp_size_vIXT1_EEEvE4typeEPT_S4_S4_S3_ ; -- Begin function _Z16warp_scan_kernelIiLj30ELj3EENSt9enable_ifIXsr10test_utilsE35device_test_enabled_for_warp_size_vIXT1_EEEvE4typeEPT_S4_S4_S3_
	.globl	_Z16warp_scan_kernelIiLj30ELj3EENSt9enable_ifIXsr10test_utilsE35device_test_enabled_for_warp_size_vIXT1_EEEvE4typeEPT_S4_S4_S3_
	.p2align	8
	.type	_Z16warp_scan_kernelIiLj30ELj3EENSt9enable_ifIXsr10test_utilsE35device_test_enabled_for_warp_size_vIXT1_EEEvE4typeEPT_S4_S4_S3_,@function
_Z16warp_scan_kernelIiLj30ELj3EENSt9enable_ifIXsr10test_utilsE35device_test_enabled_for_warp_size_vIXT1_EEEvE4typeEPT_S4_S4_S3_: ; @_Z16warp_scan_kernelIiLj30ELj3EENSt9enable_ifIXsr10test_utilsE35device_test_enabled_for_warp_size_vIXT1_EEEvE4typeEPT_S4_S4_S3_
; %bb.0:
	s_load_dword s7, s[4:5], 0x2c
	s_load_dwordx4 s[0:3], s[4:5], 0x0
	v_mov_b32_e32 v2, 0
	s_waitcnt lgkmcnt(0)
	s_and_b32 s7, s7, 0xffff
	s_mul_i32 s6, s6, s7
	v_add_u32_e32 v1, s6, v0
	v_lshlrev_b64 v[1:2], 2, v[1:2]
	v_mov_b32_e32 v4, s1
	v_add_co_u32_e32 v3, vcc, s0, v1
	v_addc_co_u32_e32 v4, vcc, v4, v2, vcc
	global_load_dword v3, v[3:4], off
	v_mbcnt_lo_u32_b32 v4, -1, 0
	s_mov_b32 s0, 0x55555556
	v_mbcnt_hi_u32_b32 v4, -1, v4
	v_mul_hi_u32 v5, v4, s0
	v_mul_u32_u24_e32 v0, 0x5556, v0
	v_lshrrev_b32_e32 v6, 16, v0
	v_mul_u32_u24_e32 v0, 3, v5
	v_sub_u32_e32 v5, v4, v0
	v_lshlrev_b32_e32 v0, 2, v5
	v_mad_u32_u24 v4, v6, 12, v0
	v_cmp_ne_u32_e32 vcc, 0, v5
	v_add_u32_e32 v0, -4, v4
	s_waitcnt vmcnt(0)
	ds_write_b32 v4, v3
	; wave barrier
	s_and_saveexec_b64 s[0:1], vcc
	s_cbranch_execz .LBB242_2
; %bb.1:
	ds_read_b32 v7, v0
	s_waitcnt lgkmcnt(0)
	v_add_u32_e32 v3, v7, v3
.LBB242_2:
	s_or_b64 exec, exec, s[0:1]
	s_load_dwordx2 s[6:7], s[4:5], 0x10
	v_mul_u32_u24_e32 v6, 12, v6
	; wave barrier
	s_and_saveexec_b64 s[0:1], vcc
; %bb.3:
	ds_write_b32 v4, v3
; %bb.4:
	s_or_b64 exec, exec, s[0:1]
	; wave barrier
	ds_read_b32 v6, v6
	v_cmp_lt_u32_e64 s[0:1], 1, v5
	; wave barrier
	s_waitcnt lgkmcnt(0)
	v_cndmask_b32_e64 v5, 0, v6, s[0:1]
	v_add_u32_e32 v3, v5, v3
	s_and_saveexec_b64 s[8:9], s[0:1]
; %bb.5:
	ds_write_b32 v4, v3
; %bb.6:
	s_or_b64 exec, exec, s[8:9]
	s_load_dword s4, s[4:5], 0x18
	; wave barrier
	s_waitcnt lgkmcnt(0)
	v_mov_b32_e32 v4, s4
	s_and_saveexec_b64 s[0:1], vcc
	s_cbranch_execz .LBB242_8
; %bb.7:
	ds_read_b32 v0, v0
	s_waitcnt lgkmcnt(0)
	v_add_u32_e32 v4, s4, v0
.LBB242_8:
	s_or_b64 exec, exec, s[0:1]
	v_add_u32_e32 v0, s4, v3
	v_mov_b32_e32 v3, s3
	v_add_co_u32_e32 v5, vcc, s2, v1
	v_addc_co_u32_e32 v6, vcc, v3, v2, vcc
	global_store_dword v[5:6], v0, off
	v_mov_b32_e32 v3, s7
	v_add_co_u32_e32 v0, vcc, s6, v1
	v_addc_co_u32_e32 v1, vcc, v3, v2, vcc
	global_store_dword v[0:1], v4, off
	s_endpgm
	.section	.rodata,"a",@progbits
	.p2align	6, 0x0
	.amdhsa_kernel _Z16warp_scan_kernelIiLj30ELj3EENSt9enable_ifIXsr10test_utilsE35device_test_enabled_for_warp_size_vIXT1_EEEvE4typeEPT_S4_S4_S3_
		.amdhsa_group_segment_fixed_size 120
		.amdhsa_private_segment_fixed_size 0
		.amdhsa_kernarg_size 288
		.amdhsa_user_sgpr_count 6
		.amdhsa_user_sgpr_private_segment_buffer 1
		.amdhsa_user_sgpr_dispatch_ptr 0
		.amdhsa_user_sgpr_queue_ptr 0
		.amdhsa_user_sgpr_kernarg_segment_ptr 1
		.amdhsa_user_sgpr_dispatch_id 0
		.amdhsa_user_sgpr_flat_scratch_init 0
		.amdhsa_user_sgpr_private_segment_size 0
		.amdhsa_uses_dynamic_stack 0
		.amdhsa_system_sgpr_private_segment_wavefront_offset 0
		.amdhsa_system_sgpr_workgroup_id_x 1
		.amdhsa_system_sgpr_workgroup_id_y 0
		.amdhsa_system_sgpr_workgroup_id_z 0
		.amdhsa_system_sgpr_workgroup_info 0
		.amdhsa_system_vgpr_workitem_id 0
		.amdhsa_next_free_vgpr 8
		.amdhsa_next_free_sgpr 10
		.amdhsa_reserve_vcc 1
		.amdhsa_reserve_flat_scratch 0
		.amdhsa_float_round_mode_32 0
		.amdhsa_float_round_mode_16_64 0
		.amdhsa_float_denorm_mode_32 3
		.amdhsa_float_denorm_mode_16_64 3
		.amdhsa_dx10_clamp 1
		.amdhsa_ieee_mode 1
		.amdhsa_fp16_overflow 0
		.amdhsa_exception_fp_ieee_invalid_op 0
		.amdhsa_exception_fp_denorm_src 0
		.amdhsa_exception_fp_ieee_div_zero 0
		.amdhsa_exception_fp_ieee_overflow 0
		.amdhsa_exception_fp_ieee_underflow 0
		.amdhsa_exception_fp_ieee_inexact 0
		.amdhsa_exception_int_div_zero 0
	.end_amdhsa_kernel
	.section	.text._Z16warp_scan_kernelIiLj30ELj3EENSt9enable_ifIXsr10test_utilsE35device_test_enabled_for_warp_size_vIXT1_EEEvE4typeEPT_S4_S4_S3_,"axG",@progbits,_Z16warp_scan_kernelIiLj30ELj3EENSt9enable_ifIXsr10test_utilsE35device_test_enabled_for_warp_size_vIXT1_EEEvE4typeEPT_S4_S4_S3_,comdat
.Lfunc_end242:
	.size	_Z16warp_scan_kernelIiLj30ELj3EENSt9enable_ifIXsr10test_utilsE35device_test_enabled_for_warp_size_vIXT1_EEEvE4typeEPT_S4_S4_S3_, .Lfunc_end242-_Z16warp_scan_kernelIiLj30ELj3EENSt9enable_ifIXsr10test_utilsE35device_test_enabled_for_warp_size_vIXT1_EEEvE4typeEPT_S4_S4_S3_
                                        ; -- End function
	.set _Z16warp_scan_kernelIiLj30ELj3EENSt9enable_ifIXsr10test_utilsE35device_test_enabled_for_warp_size_vIXT1_EEEvE4typeEPT_S4_S4_S3_.num_vgpr, 8
	.set _Z16warp_scan_kernelIiLj30ELj3EENSt9enable_ifIXsr10test_utilsE35device_test_enabled_for_warp_size_vIXT1_EEEvE4typeEPT_S4_S4_S3_.num_agpr, 0
	.set _Z16warp_scan_kernelIiLj30ELj3EENSt9enable_ifIXsr10test_utilsE35device_test_enabled_for_warp_size_vIXT1_EEEvE4typeEPT_S4_S4_S3_.numbered_sgpr, 10
	.set _Z16warp_scan_kernelIiLj30ELj3EENSt9enable_ifIXsr10test_utilsE35device_test_enabled_for_warp_size_vIXT1_EEEvE4typeEPT_S4_S4_S3_.num_named_barrier, 0
	.set _Z16warp_scan_kernelIiLj30ELj3EENSt9enable_ifIXsr10test_utilsE35device_test_enabled_for_warp_size_vIXT1_EEEvE4typeEPT_S4_S4_S3_.private_seg_size, 0
	.set _Z16warp_scan_kernelIiLj30ELj3EENSt9enable_ifIXsr10test_utilsE35device_test_enabled_for_warp_size_vIXT1_EEEvE4typeEPT_S4_S4_S3_.uses_vcc, 1
	.set _Z16warp_scan_kernelIiLj30ELj3EENSt9enable_ifIXsr10test_utilsE35device_test_enabled_for_warp_size_vIXT1_EEEvE4typeEPT_S4_S4_S3_.uses_flat_scratch, 0
	.set _Z16warp_scan_kernelIiLj30ELj3EENSt9enable_ifIXsr10test_utilsE35device_test_enabled_for_warp_size_vIXT1_EEEvE4typeEPT_S4_S4_S3_.has_dyn_sized_stack, 0
	.set _Z16warp_scan_kernelIiLj30ELj3EENSt9enable_ifIXsr10test_utilsE35device_test_enabled_for_warp_size_vIXT1_EEEvE4typeEPT_S4_S4_S3_.has_recursion, 0
	.set _Z16warp_scan_kernelIiLj30ELj3EENSt9enable_ifIXsr10test_utilsE35device_test_enabled_for_warp_size_vIXT1_EEEvE4typeEPT_S4_S4_S3_.has_indirect_call, 0
	.section	.AMDGPU.csdata,"",@progbits
; Kernel info:
; codeLenInByte = 348
; TotalNumSgprs: 14
; NumVgprs: 8
; ScratchSize: 0
; MemoryBound: 0
; FloatMode: 240
; IeeeMode: 1
; LDSByteSize: 120 bytes/workgroup (compile time only)
; SGPRBlocks: 1
; VGPRBlocks: 1
; NumSGPRsForWavesPerEU: 14
; NumVGPRsForWavesPerEU: 8
; Occupancy: 10
; WaveLimiterHint : 0
; COMPUTE_PGM_RSRC2:SCRATCH_EN: 0
; COMPUTE_PGM_RSRC2:USER_SGPR: 6
; COMPUTE_PGM_RSRC2:TRAP_HANDLER: 0
; COMPUTE_PGM_RSRC2:TGID_X_EN: 1
; COMPUTE_PGM_RSRC2:TGID_Y_EN: 0
; COMPUTE_PGM_RSRC2:TGID_Z_EN: 0
; COMPUTE_PGM_RSRC2:TIDIG_COMP_CNT: 0
	.section	.text._Z16warp_scan_kernelIiLj63ELj3EENSt9enable_ifIXsr10test_utilsE35device_test_enabled_for_warp_size_vIXT1_EEEvE4typeEPT_S4_S4_S3_,"axG",@progbits,_Z16warp_scan_kernelIiLj63ELj3EENSt9enable_ifIXsr10test_utilsE35device_test_enabled_for_warp_size_vIXT1_EEEvE4typeEPT_S4_S4_S3_,comdat
	.protected	_Z16warp_scan_kernelIiLj63ELj3EENSt9enable_ifIXsr10test_utilsE35device_test_enabled_for_warp_size_vIXT1_EEEvE4typeEPT_S4_S4_S3_ ; -- Begin function _Z16warp_scan_kernelIiLj63ELj3EENSt9enable_ifIXsr10test_utilsE35device_test_enabled_for_warp_size_vIXT1_EEEvE4typeEPT_S4_S4_S3_
	.globl	_Z16warp_scan_kernelIiLj63ELj3EENSt9enable_ifIXsr10test_utilsE35device_test_enabled_for_warp_size_vIXT1_EEEvE4typeEPT_S4_S4_S3_
	.p2align	8
	.type	_Z16warp_scan_kernelIiLj63ELj3EENSt9enable_ifIXsr10test_utilsE35device_test_enabled_for_warp_size_vIXT1_EEEvE4typeEPT_S4_S4_S3_,@function
_Z16warp_scan_kernelIiLj63ELj3EENSt9enable_ifIXsr10test_utilsE35device_test_enabled_for_warp_size_vIXT1_EEEvE4typeEPT_S4_S4_S3_: ; @_Z16warp_scan_kernelIiLj63ELj3EENSt9enable_ifIXsr10test_utilsE35device_test_enabled_for_warp_size_vIXT1_EEEvE4typeEPT_S4_S4_S3_
; %bb.0:
	s_load_dword s7, s[4:5], 0x2c
	s_load_dwordx4 s[0:3], s[4:5], 0x0
	v_mov_b32_e32 v2, 0
	s_waitcnt lgkmcnt(0)
	s_and_b32 s7, s7, 0xffff
	s_mul_i32 s6, s6, s7
	v_add_u32_e32 v1, s6, v0
	v_lshlrev_b64 v[1:2], 2, v[1:2]
	v_mov_b32_e32 v4, s1
	v_add_co_u32_e32 v3, vcc, s0, v1
	v_addc_co_u32_e32 v4, vcc, v4, v2, vcc
	global_load_dword v3, v[3:4], off
	v_mbcnt_lo_u32_b32 v4, -1, 0
	s_mov_b32 s0, 0x55555556
	v_mbcnt_hi_u32_b32 v4, -1, v4
	v_mul_hi_u32 v5, v4, s0
	v_mul_u32_u24_e32 v0, 0x5556, v0
	v_lshrrev_b32_e32 v6, 16, v0
	v_mul_u32_u24_e32 v0, 3, v5
	v_sub_u32_e32 v5, v4, v0
	v_lshlrev_b32_e32 v0, 2, v5
	v_mad_u32_u24 v4, v6, 12, v0
	v_cmp_ne_u32_e32 vcc, 0, v5
	v_add_u32_e32 v0, -4, v4
	s_waitcnt vmcnt(0)
	ds_write_b32 v4, v3
	; wave barrier
	s_and_saveexec_b64 s[0:1], vcc
	s_cbranch_execz .LBB243_2
; %bb.1:
	ds_read_b32 v7, v0
	s_waitcnt lgkmcnt(0)
	v_add_u32_e32 v3, v7, v3
.LBB243_2:
	s_or_b64 exec, exec, s[0:1]
	s_load_dwordx2 s[6:7], s[4:5], 0x10
	v_mul_u32_u24_e32 v6, 12, v6
	; wave barrier
	s_and_saveexec_b64 s[0:1], vcc
; %bb.3:
	ds_write_b32 v4, v3
; %bb.4:
	s_or_b64 exec, exec, s[0:1]
	; wave barrier
	ds_read_b32 v6, v6
	v_cmp_lt_u32_e64 s[0:1], 1, v5
	; wave barrier
	s_waitcnt lgkmcnt(0)
	v_cndmask_b32_e64 v5, 0, v6, s[0:1]
	v_add_u32_e32 v3, v5, v3
	s_and_saveexec_b64 s[8:9], s[0:1]
; %bb.5:
	ds_write_b32 v4, v3
; %bb.6:
	s_or_b64 exec, exec, s[8:9]
	s_load_dword s4, s[4:5], 0x18
	; wave barrier
	s_waitcnt lgkmcnt(0)
	v_mov_b32_e32 v4, s4
	s_and_saveexec_b64 s[0:1], vcc
	s_cbranch_execz .LBB243_8
; %bb.7:
	ds_read_b32 v0, v0
	s_waitcnt lgkmcnt(0)
	v_add_u32_e32 v4, s4, v0
.LBB243_8:
	s_or_b64 exec, exec, s[0:1]
	v_add_u32_e32 v0, s4, v3
	v_mov_b32_e32 v3, s3
	v_add_co_u32_e32 v5, vcc, s2, v1
	v_addc_co_u32_e32 v6, vcc, v3, v2, vcc
	global_store_dword v[5:6], v0, off
	v_mov_b32_e32 v3, s7
	v_add_co_u32_e32 v0, vcc, s6, v1
	v_addc_co_u32_e32 v1, vcc, v3, v2, vcc
	global_store_dword v[0:1], v4, off
	s_endpgm
	.section	.rodata,"a",@progbits
	.p2align	6, 0x0
	.amdhsa_kernel _Z16warp_scan_kernelIiLj63ELj3EENSt9enable_ifIXsr10test_utilsE35device_test_enabled_for_warp_size_vIXT1_EEEvE4typeEPT_S4_S4_S3_
		.amdhsa_group_segment_fixed_size 252
		.amdhsa_private_segment_fixed_size 0
		.amdhsa_kernarg_size 288
		.amdhsa_user_sgpr_count 6
		.amdhsa_user_sgpr_private_segment_buffer 1
		.amdhsa_user_sgpr_dispatch_ptr 0
		.amdhsa_user_sgpr_queue_ptr 0
		.amdhsa_user_sgpr_kernarg_segment_ptr 1
		.amdhsa_user_sgpr_dispatch_id 0
		.amdhsa_user_sgpr_flat_scratch_init 0
		.amdhsa_user_sgpr_private_segment_size 0
		.amdhsa_uses_dynamic_stack 0
		.amdhsa_system_sgpr_private_segment_wavefront_offset 0
		.amdhsa_system_sgpr_workgroup_id_x 1
		.amdhsa_system_sgpr_workgroup_id_y 0
		.amdhsa_system_sgpr_workgroup_id_z 0
		.amdhsa_system_sgpr_workgroup_info 0
		.amdhsa_system_vgpr_workitem_id 0
		.amdhsa_next_free_vgpr 8
		.amdhsa_next_free_sgpr 10
		.amdhsa_reserve_vcc 1
		.amdhsa_reserve_flat_scratch 0
		.amdhsa_float_round_mode_32 0
		.amdhsa_float_round_mode_16_64 0
		.amdhsa_float_denorm_mode_32 3
		.amdhsa_float_denorm_mode_16_64 3
		.amdhsa_dx10_clamp 1
		.amdhsa_ieee_mode 1
		.amdhsa_fp16_overflow 0
		.amdhsa_exception_fp_ieee_invalid_op 0
		.amdhsa_exception_fp_denorm_src 0
		.amdhsa_exception_fp_ieee_div_zero 0
		.amdhsa_exception_fp_ieee_overflow 0
		.amdhsa_exception_fp_ieee_underflow 0
		.amdhsa_exception_fp_ieee_inexact 0
		.amdhsa_exception_int_div_zero 0
	.end_amdhsa_kernel
	.section	.text._Z16warp_scan_kernelIiLj63ELj3EENSt9enable_ifIXsr10test_utilsE35device_test_enabled_for_warp_size_vIXT1_EEEvE4typeEPT_S4_S4_S3_,"axG",@progbits,_Z16warp_scan_kernelIiLj63ELj3EENSt9enable_ifIXsr10test_utilsE35device_test_enabled_for_warp_size_vIXT1_EEEvE4typeEPT_S4_S4_S3_,comdat
.Lfunc_end243:
	.size	_Z16warp_scan_kernelIiLj63ELj3EENSt9enable_ifIXsr10test_utilsE35device_test_enabled_for_warp_size_vIXT1_EEEvE4typeEPT_S4_S4_S3_, .Lfunc_end243-_Z16warp_scan_kernelIiLj63ELj3EENSt9enable_ifIXsr10test_utilsE35device_test_enabled_for_warp_size_vIXT1_EEEvE4typeEPT_S4_S4_S3_
                                        ; -- End function
	.set _Z16warp_scan_kernelIiLj63ELj3EENSt9enable_ifIXsr10test_utilsE35device_test_enabled_for_warp_size_vIXT1_EEEvE4typeEPT_S4_S4_S3_.num_vgpr, 8
	.set _Z16warp_scan_kernelIiLj63ELj3EENSt9enable_ifIXsr10test_utilsE35device_test_enabled_for_warp_size_vIXT1_EEEvE4typeEPT_S4_S4_S3_.num_agpr, 0
	.set _Z16warp_scan_kernelIiLj63ELj3EENSt9enable_ifIXsr10test_utilsE35device_test_enabled_for_warp_size_vIXT1_EEEvE4typeEPT_S4_S4_S3_.numbered_sgpr, 10
	.set _Z16warp_scan_kernelIiLj63ELj3EENSt9enable_ifIXsr10test_utilsE35device_test_enabled_for_warp_size_vIXT1_EEEvE4typeEPT_S4_S4_S3_.num_named_barrier, 0
	.set _Z16warp_scan_kernelIiLj63ELj3EENSt9enable_ifIXsr10test_utilsE35device_test_enabled_for_warp_size_vIXT1_EEEvE4typeEPT_S4_S4_S3_.private_seg_size, 0
	.set _Z16warp_scan_kernelIiLj63ELj3EENSt9enable_ifIXsr10test_utilsE35device_test_enabled_for_warp_size_vIXT1_EEEvE4typeEPT_S4_S4_S3_.uses_vcc, 1
	.set _Z16warp_scan_kernelIiLj63ELj3EENSt9enable_ifIXsr10test_utilsE35device_test_enabled_for_warp_size_vIXT1_EEEvE4typeEPT_S4_S4_S3_.uses_flat_scratch, 0
	.set _Z16warp_scan_kernelIiLj63ELj3EENSt9enable_ifIXsr10test_utilsE35device_test_enabled_for_warp_size_vIXT1_EEEvE4typeEPT_S4_S4_S3_.has_dyn_sized_stack, 0
	.set _Z16warp_scan_kernelIiLj63ELj3EENSt9enable_ifIXsr10test_utilsE35device_test_enabled_for_warp_size_vIXT1_EEEvE4typeEPT_S4_S4_S3_.has_recursion, 0
	.set _Z16warp_scan_kernelIiLj63ELj3EENSt9enable_ifIXsr10test_utilsE35device_test_enabled_for_warp_size_vIXT1_EEEvE4typeEPT_S4_S4_S3_.has_indirect_call, 0
	.section	.AMDGPU.csdata,"",@progbits
; Kernel info:
; codeLenInByte = 348
; TotalNumSgprs: 14
; NumVgprs: 8
; ScratchSize: 0
; MemoryBound: 0
; FloatMode: 240
; IeeeMode: 1
; LDSByteSize: 252 bytes/workgroup (compile time only)
; SGPRBlocks: 1
; VGPRBlocks: 1
; NumSGPRsForWavesPerEU: 14
; NumVGPRsForWavesPerEU: 8
; Occupancy: 10
; WaveLimiterHint : 0
; COMPUTE_PGM_RSRC2:SCRATCH_EN: 0
; COMPUTE_PGM_RSRC2:USER_SGPR: 6
; COMPUTE_PGM_RSRC2:TRAP_HANDLER: 0
; COMPUTE_PGM_RSRC2:TGID_X_EN: 1
; COMPUTE_PGM_RSRC2:TGID_Y_EN: 0
; COMPUTE_PGM_RSRC2:TGID_Z_EN: 0
; COMPUTE_PGM_RSRC2:TIDIG_COMP_CNT: 0
	.section	.text._Z16warp_scan_kernelI12hip_bfloat16Lj256ELj64EENSt9enable_ifIXsr10test_utilsE35device_test_enabled_for_warp_size_vIXT1_EEEvE4typeEPT_S5_S5_S4_,"axG",@progbits,_Z16warp_scan_kernelI12hip_bfloat16Lj256ELj64EENSt9enable_ifIXsr10test_utilsE35device_test_enabled_for_warp_size_vIXT1_EEEvE4typeEPT_S5_S5_S4_,comdat
	.protected	_Z16warp_scan_kernelI12hip_bfloat16Lj256ELj64EENSt9enable_ifIXsr10test_utilsE35device_test_enabled_for_warp_size_vIXT1_EEEvE4typeEPT_S5_S5_S4_ ; -- Begin function _Z16warp_scan_kernelI12hip_bfloat16Lj256ELj64EENSt9enable_ifIXsr10test_utilsE35device_test_enabled_for_warp_size_vIXT1_EEEvE4typeEPT_S5_S5_S4_
	.globl	_Z16warp_scan_kernelI12hip_bfloat16Lj256ELj64EENSt9enable_ifIXsr10test_utilsE35device_test_enabled_for_warp_size_vIXT1_EEEvE4typeEPT_S5_S5_S4_
	.p2align	8
	.type	_Z16warp_scan_kernelI12hip_bfloat16Lj256ELj64EENSt9enable_ifIXsr10test_utilsE35device_test_enabled_for_warp_size_vIXT1_EEEvE4typeEPT_S5_S5_S4_,@function
_Z16warp_scan_kernelI12hip_bfloat16Lj256ELj64EENSt9enable_ifIXsr10test_utilsE35device_test_enabled_for_warp_size_vIXT1_EEEvE4typeEPT_S5_S5_S4_: ; @_Z16warp_scan_kernelI12hip_bfloat16Lj256ELj64EENSt9enable_ifIXsr10test_utilsE35device_test_enabled_for_warp_size_vIXT1_EEEvE4typeEPT_S5_S5_S4_
; %bb.0:
	s_load_dword s7, s[4:5], 0x2c
	s_load_dwordx4 s[0:3], s[4:5], 0x0
	v_mov_b32_e32 v1, 0
                                        ; implicit-def: $vgpr6
	s_waitcnt lgkmcnt(0)
	s_and_b32 s7, s7, 0xffff
	s_mul_i32 s6, s6, s7
	v_add_u32_e32 v0, s6, v0
	v_lshlrev_b64 v[0:1], 1, v[0:1]
	v_mov_b32_e32 v3, s1
	v_add_co_u32_e32 v2, vcc, s0, v0
	v_addc_co_u32_e32 v3, vcc, v3, v1, vcc
	global_load_ushort v4, v[2:3], off
	s_mov_b32 s0, 0x7f800000
	s_waitcnt vmcnt(0)
	v_lshlrev_b32_e32 v5, 16, v4
	v_mov_b32_dpp v2, v4 row_shr:1 row_mask:0xf bank_mask:0xf
	v_lshlrev_b32_e32 v2, 16, v2
	v_add_f32_e32 v2, v5, v2
	v_and_b32_e32 v3, 0x7f800000, v2
	v_cmp_ne_u32_e32 vcc, s0, v3
	s_and_saveexec_b64 s[0:1], vcc
	s_xor_b64 s[0:1], exec, s[0:1]
; %bb.1:
	v_bfe_u32 v3, v2, 16, 1
	s_movk_i32 s6, 0x7fff
	v_add3_u32 v6, v2, v3, s6
                                        ; implicit-def: $vgpr2
; %bb.2:
	s_andn2_saveexec_b64 s[0:1], s[0:1]
; %bb.3:
	v_mov_b32_e32 v3, 0
	v_or_b32_e32 v6, 0x10000, v2
	v_cmp_eq_u32_sdwa vcc, v2, v3 src0_sel:WORD_0 src1_sel:DWORD
	v_cndmask_b32_e32 v6, v6, v2, vcc
; %bb.4:
	s_or_b64 exec, exec, s[0:1]
	v_mbcnt_lo_u32_b32 v2, -1, 0
	v_mbcnt_hi_u32_b32 v2, -1, v2
	v_and_b32_e32 v3, 15, v2
	v_and_b32_e32 v7, 0xffff0000, v6
	v_lshrrev_b32_e32 v6, 16, v6
	v_cmp_eq_u32_e32 vcc, 0, v3
	v_cndmask_b32_e32 v4, v6, v4, vcc
	v_cndmask_b32_e32 v5, v7, v5, vcc
	s_mov_b32 s0, 0x7f800000
	v_mov_b32_dpp v6, v4 row_shr:2 row_mask:0xf bank_mask:0xf
	v_lshlrev_b32_e32 v6, 16, v6
	v_add_f32_e32 v6, v5, v6
	v_and_b32_e32 v7, 0x7f800000, v6
	v_cmp_ne_u32_e32 vcc, s0, v7
                                        ; implicit-def: $vgpr7
	s_and_saveexec_b64 s[0:1], vcc
	s_xor_b64 s[0:1], exec, s[0:1]
; %bb.5:
	v_bfe_u32 v7, v6, 16, 1
	s_movk_i32 s6, 0x7fff
	v_add3_u32 v7, v6, v7, s6
                                        ; implicit-def: $vgpr6
; %bb.6:
	s_andn2_saveexec_b64 s[0:1], s[0:1]
; %bb.7:
	v_mov_b32_e32 v7, 0
	v_or_b32_e32 v8, 0x10000, v6
	v_cmp_eq_u32_sdwa vcc, v6, v7 src0_sel:WORD_0 src1_sel:DWORD
	v_cndmask_b32_e32 v7, v8, v6, vcc
; %bb.8:
	s_or_b64 exec, exec, s[0:1]
	v_and_b32_e32 v6, 0xffff0000, v7
	v_lshrrev_b32_e32 v7, 16, v7
	v_cmp_lt_u32_e32 vcc, 1, v3
	v_cndmask_b32_e32 v4, v4, v7, vcc
	v_cndmask_b32_e32 v5, v5, v6, vcc
	s_mov_b32 s0, 0x7f800000
	v_mov_b32_dpp v6, v4 row_shr:4 row_mask:0xf bank_mask:0xf
	v_lshlrev_b32_e32 v6, 16, v6
	v_add_f32_e32 v6, v5, v6
	v_and_b32_e32 v7, 0x7f800000, v6
	v_cmp_ne_u32_e32 vcc, s0, v7
                                        ; implicit-def: $vgpr7
	s_and_saveexec_b64 s[0:1], vcc
	s_xor_b64 s[0:1], exec, s[0:1]
; %bb.9:
	v_bfe_u32 v7, v6, 16, 1
	s_movk_i32 s6, 0x7fff
	v_add3_u32 v7, v6, v7, s6
                                        ; implicit-def: $vgpr6
; %bb.10:
	s_andn2_saveexec_b64 s[0:1], s[0:1]
; %bb.11:
	v_mov_b32_e32 v7, 0
	v_or_b32_e32 v8, 0x10000, v6
	v_cmp_eq_u32_sdwa vcc, v6, v7 src0_sel:WORD_0 src1_sel:DWORD
	v_cndmask_b32_e32 v7, v8, v6, vcc
; %bb.12:
	s_or_b64 exec, exec, s[0:1]
	v_and_b32_e32 v6, 0xffff0000, v7
	v_lshrrev_b32_e32 v7, 16, v7
	v_cmp_lt_u32_e32 vcc, 3, v3
	;; [unrolled: 28-line block ×3, first 2 shown]
	v_cndmask_b32_e32 v4, v4, v7, vcc
	v_cndmask_b32_e32 v3, v5, v6, vcc
	s_mov_b32 s0, 0x7f800000
	v_mov_b32_dpp v5, v4 row_bcast:15 row_mask:0xf bank_mask:0xf
	v_lshlrev_b32_e32 v5, 16, v5
	v_add_f32_e32 v5, v3, v5
	v_and_b32_e32 v6, 0x7f800000, v5
	v_cmp_ne_u32_e32 vcc, s0, v6
                                        ; implicit-def: $vgpr6
	s_and_saveexec_b64 s[0:1], vcc
	s_xor_b64 s[0:1], exec, s[0:1]
; %bb.17:
	v_bfe_u32 v6, v5, 16, 1
	s_movk_i32 s6, 0x7fff
	v_add3_u32 v6, v5, v6, s6
                                        ; implicit-def: $vgpr5
; %bb.18:
	s_andn2_saveexec_b64 s[0:1], s[0:1]
; %bb.19:
	v_mov_b32_e32 v6, 0
	v_or_b32_e32 v7, 0x10000, v5
	v_cmp_eq_u32_sdwa vcc, v5, v6 src0_sel:WORD_0 src1_sel:DWORD
	v_cndmask_b32_e32 v6, v7, v5, vcc
; %bb.20:
	s_or_b64 exec, exec, s[0:1]
	v_and_b32_e32 v5, 16, v2
	v_and_b32_e32 v7, 0xffff0000, v6
	v_lshrrev_b32_e32 v6, 16, v6
	v_cmp_eq_u32_e32 vcc, 0, v5
	v_cndmask_b32_e32 v5, v7, v3, vcc
	v_cndmask_b32_e32 v3, v6, v4, vcc
	s_mov_b32 s0, 0x7f800000
	s_nop 0
	v_mov_b32_dpp v4, v3 row_bcast:31 row_mask:0xf bank_mask:0xf
	v_lshlrev_b32_e32 v4, 16, v4
	v_add_f32_e32 v5, v5, v4
	v_and_b32_e32 v4, 0x7f800000, v5
	v_cmp_ne_u32_e32 vcc, s0, v4
                                        ; implicit-def: $vgpr4
	s_and_saveexec_b64 s[0:1], vcc
	s_xor_b64 s[0:1], exec, s[0:1]
; %bb.21:
	v_bfe_u32 v4, v5, 16, 1
	s_movk_i32 s6, 0x7fff
	v_add3_u32 v4, v5, v4, s6
                                        ; implicit-def: $vgpr5
; %bb.22:
	s_andn2_saveexec_b64 s[0:1], s[0:1]
; %bb.23:
	v_mov_b32_e32 v4, 0
	v_or_b32_e32 v6, 0x10000, v5
	v_cmp_eq_u32_sdwa vcc, v5, v4 src0_sel:WORD_0 src1_sel:DWORD
	v_cndmask_b32_e32 v4, v6, v5, vcc
; %bb.24:
	s_or_b64 exec, exec, s[0:1]
	s_load_dword s8, s[4:5], 0x18
	v_cmp_lt_u32_e32 vcc, 31, v2
	v_cndmask_b32_sdwa v3, v3, v4, vcc dst_sel:WORD_1 dst_unused:UNUSED_PAD src0_sel:DWORD src1_sel:WORD_1
	s_mov_b32 s0, 0x7f800000
                                        ; implicit-def: $vgpr5
	s_waitcnt lgkmcnt(0)
	s_lshl_b32 s1, s8, 16
	v_add_f32_e32 v3, s1, v3
	v_and_b32_e32 v4, 0x7f800000, v3
	v_cmp_ne_u32_e32 vcc, s0, v4
	v_bfe_u32 v4, v3, 16, 1
	s_and_saveexec_b64 s[0:1], vcc
	s_xor_b64 s[0:1], exec, s[0:1]
; %bb.25:
	s_movk_i32 s6, 0x7fff
	v_add3_u32 v5, v3, v4, s6
; %bb.26:
	s_or_saveexec_b64 s[6:7], s[0:1]
	s_load_dwordx2 s[4:5], s[4:5], 0x10
	s_xor_b64 exec, exec, s[6:7]
; %bb.27:
	v_mov_b32_e32 v5, 0
	v_or_b32_e32 v6, 0x10000, v3
	v_cmp_eq_u32_sdwa s[0:1], v3, v5 src0_sel:WORD_0 src1_sel:DWORD
	v_cndmask_b32_e64 v5, v6, v3, s[0:1]
; %bb.28:
	s_or_b64 exec, exec, s[6:7]
	v_add_u32_e32 v6, -1, v2
	v_and_b32_e32 v7, 64, v2
	v_cmp_lt_i32_e64 s[0:1], v6, v7
	v_cndmask_b32_e64 v6, v6, v2, s[0:1]
	v_lshrrev_b32_e32 v5, 16, v5
	v_lshlrev_b32_e32 v6, 2, v6
	ds_bpermute_b32 v5, v6, v5
                                        ; implicit-def: $vgpr6
	s_and_saveexec_b64 s[0:1], vcc
	s_xor_b64 s[0:1], exec, s[0:1]
; %bb.29:
	s_movk_i32 s6, 0x7fff
	v_add3_u32 v6, v3, v4, s6
                                        ; implicit-def: $vgpr3
; %bb.30:
	s_andn2_saveexec_b64 s[0:1], s[0:1]
; %bb.31:
	v_mov_b32_e32 v4, 0
	v_or_b32_e32 v6, 0x10000, v3
	v_cmp_eq_u32_sdwa vcc, v3, v4 src0_sel:WORD_0 src1_sel:DWORD
	v_cndmask_b32_e32 v6, v6, v3, vcc
; %bb.32:
	s_or_b64 exec, exec, s[0:1]
	v_mov_b32_e32 v3, s8
	v_cmp_eq_u32_e32 vcc, 0, v2
	s_waitcnt lgkmcnt(0)
	v_cndmask_b32_e32 v4, v5, v3, vcc
	v_mov_b32_e32 v3, s3
	v_add_co_u32_e32 v2, vcc, s2, v0
	v_addc_co_u32_e32 v3, vcc, v3, v1, vcc
	global_store_short_d16_hi v[2:3], v6, off
	v_mov_b32_e32 v2, s5
	v_add_co_u32_e32 v0, vcc, s4, v0
	v_addc_co_u32_e32 v1, vcc, v2, v1, vcc
	global_store_short v[0:1], v4, off
	s_endpgm
	.section	.rodata,"a",@progbits
	.p2align	6, 0x0
	.amdhsa_kernel _Z16warp_scan_kernelI12hip_bfloat16Lj256ELj64EENSt9enable_ifIXsr10test_utilsE35device_test_enabled_for_warp_size_vIXT1_EEEvE4typeEPT_S5_S5_S4_
		.amdhsa_group_segment_fixed_size 0
		.amdhsa_private_segment_fixed_size 0
		.amdhsa_kernarg_size 288
		.amdhsa_user_sgpr_count 6
		.amdhsa_user_sgpr_private_segment_buffer 1
		.amdhsa_user_sgpr_dispatch_ptr 0
		.amdhsa_user_sgpr_queue_ptr 0
		.amdhsa_user_sgpr_kernarg_segment_ptr 1
		.amdhsa_user_sgpr_dispatch_id 0
		.amdhsa_user_sgpr_flat_scratch_init 0
		.amdhsa_user_sgpr_private_segment_size 0
		.amdhsa_uses_dynamic_stack 0
		.amdhsa_system_sgpr_private_segment_wavefront_offset 0
		.amdhsa_system_sgpr_workgroup_id_x 1
		.amdhsa_system_sgpr_workgroup_id_y 0
		.amdhsa_system_sgpr_workgroup_id_z 0
		.amdhsa_system_sgpr_workgroup_info 0
		.amdhsa_system_vgpr_workitem_id 0
		.amdhsa_next_free_vgpr 9
		.amdhsa_next_free_sgpr 9
		.amdhsa_reserve_vcc 1
		.amdhsa_reserve_flat_scratch 0
		.amdhsa_float_round_mode_32 0
		.amdhsa_float_round_mode_16_64 0
		.amdhsa_float_denorm_mode_32 3
		.amdhsa_float_denorm_mode_16_64 3
		.amdhsa_dx10_clamp 1
		.amdhsa_ieee_mode 1
		.amdhsa_fp16_overflow 0
		.amdhsa_exception_fp_ieee_invalid_op 0
		.amdhsa_exception_fp_denorm_src 0
		.amdhsa_exception_fp_ieee_div_zero 0
		.amdhsa_exception_fp_ieee_overflow 0
		.amdhsa_exception_fp_ieee_underflow 0
		.amdhsa_exception_fp_ieee_inexact 0
		.amdhsa_exception_int_div_zero 0
	.end_amdhsa_kernel
	.section	.text._Z16warp_scan_kernelI12hip_bfloat16Lj256ELj64EENSt9enable_ifIXsr10test_utilsE35device_test_enabled_for_warp_size_vIXT1_EEEvE4typeEPT_S5_S5_S4_,"axG",@progbits,_Z16warp_scan_kernelI12hip_bfloat16Lj256ELj64EENSt9enable_ifIXsr10test_utilsE35device_test_enabled_for_warp_size_vIXT1_EEEvE4typeEPT_S5_S5_S4_,comdat
.Lfunc_end244:
	.size	_Z16warp_scan_kernelI12hip_bfloat16Lj256ELj64EENSt9enable_ifIXsr10test_utilsE35device_test_enabled_for_warp_size_vIXT1_EEEvE4typeEPT_S5_S5_S4_, .Lfunc_end244-_Z16warp_scan_kernelI12hip_bfloat16Lj256ELj64EENSt9enable_ifIXsr10test_utilsE35device_test_enabled_for_warp_size_vIXT1_EEEvE4typeEPT_S5_S5_S4_
                                        ; -- End function
	.set _Z16warp_scan_kernelI12hip_bfloat16Lj256ELj64EENSt9enable_ifIXsr10test_utilsE35device_test_enabled_for_warp_size_vIXT1_EEEvE4typeEPT_S5_S5_S4_.num_vgpr, 9
	.set _Z16warp_scan_kernelI12hip_bfloat16Lj256ELj64EENSt9enable_ifIXsr10test_utilsE35device_test_enabled_for_warp_size_vIXT1_EEEvE4typeEPT_S5_S5_S4_.num_agpr, 0
	.set _Z16warp_scan_kernelI12hip_bfloat16Lj256ELj64EENSt9enable_ifIXsr10test_utilsE35device_test_enabled_for_warp_size_vIXT1_EEEvE4typeEPT_S5_S5_S4_.numbered_sgpr, 9
	.set _Z16warp_scan_kernelI12hip_bfloat16Lj256ELj64EENSt9enable_ifIXsr10test_utilsE35device_test_enabled_for_warp_size_vIXT1_EEEvE4typeEPT_S5_S5_S4_.num_named_barrier, 0
	.set _Z16warp_scan_kernelI12hip_bfloat16Lj256ELj64EENSt9enable_ifIXsr10test_utilsE35device_test_enabled_for_warp_size_vIXT1_EEEvE4typeEPT_S5_S5_S4_.private_seg_size, 0
	.set _Z16warp_scan_kernelI12hip_bfloat16Lj256ELj64EENSt9enable_ifIXsr10test_utilsE35device_test_enabled_for_warp_size_vIXT1_EEEvE4typeEPT_S5_S5_S4_.uses_vcc, 1
	.set _Z16warp_scan_kernelI12hip_bfloat16Lj256ELj64EENSt9enable_ifIXsr10test_utilsE35device_test_enabled_for_warp_size_vIXT1_EEEvE4typeEPT_S5_S5_S4_.uses_flat_scratch, 0
	.set _Z16warp_scan_kernelI12hip_bfloat16Lj256ELj64EENSt9enable_ifIXsr10test_utilsE35device_test_enabled_for_warp_size_vIXT1_EEEvE4typeEPT_S5_S5_S4_.has_dyn_sized_stack, 0
	.set _Z16warp_scan_kernelI12hip_bfloat16Lj256ELj64EENSt9enable_ifIXsr10test_utilsE35device_test_enabled_for_warp_size_vIXT1_EEEvE4typeEPT_S5_S5_S4_.has_recursion, 0
	.set _Z16warp_scan_kernelI12hip_bfloat16Lj256ELj64EENSt9enable_ifIXsr10test_utilsE35device_test_enabled_for_warp_size_vIXT1_EEEvE4typeEPT_S5_S5_S4_.has_indirect_call, 0
	.section	.AMDGPU.csdata,"",@progbits
; Kernel info:
; codeLenInByte = 1080
; TotalNumSgprs: 13
; NumVgprs: 9
; ScratchSize: 0
; MemoryBound: 0
; FloatMode: 240
; IeeeMode: 1
; LDSByteSize: 0 bytes/workgroup (compile time only)
; SGPRBlocks: 1
; VGPRBlocks: 2
; NumSGPRsForWavesPerEU: 13
; NumVGPRsForWavesPerEU: 9
; Occupancy: 10
; WaveLimiterHint : 0
; COMPUTE_PGM_RSRC2:SCRATCH_EN: 0
; COMPUTE_PGM_RSRC2:USER_SGPR: 6
; COMPUTE_PGM_RSRC2:TRAP_HANDLER: 0
; COMPUTE_PGM_RSRC2:TGID_X_EN: 1
; COMPUTE_PGM_RSRC2:TGID_Y_EN: 0
; COMPUTE_PGM_RSRC2:TGID_Z_EN: 0
; COMPUTE_PGM_RSRC2:TIDIG_COMP_CNT: 0
	.section	.text._Z16warp_scan_kernelI12hip_bfloat16Lj128ELj32EENSt9enable_ifIXsr10test_utilsE35device_test_enabled_for_warp_size_vIXT1_EEEvE4typeEPT_S5_S5_S4_,"axG",@progbits,_Z16warp_scan_kernelI12hip_bfloat16Lj128ELj32EENSt9enable_ifIXsr10test_utilsE35device_test_enabled_for_warp_size_vIXT1_EEEvE4typeEPT_S5_S5_S4_,comdat
	.protected	_Z16warp_scan_kernelI12hip_bfloat16Lj128ELj32EENSt9enable_ifIXsr10test_utilsE35device_test_enabled_for_warp_size_vIXT1_EEEvE4typeEPT_S5_S5_S4_ ; -- Begin function _Z16warp_scan_kernelI12hip_bfloat16Lj128ELj32EENSt9enable_ifIXsr10test_utilsE35device_test_enabled_for_warp_size_vIXT1_EEEvE4typeEPT_S5_S5_S4_
	.globl	_Z16warp_scan_kernelI12hip_bfloat16Lj128ELj32EENSt9enable_ifIXsr10test_utilsE35device_test_enabled_for_warp_size_vIXT1_EEEvE4typeEPT_S5_S5_S4_
	.p2align	8
	.type	_Z16warp_scan_kernelI12hip_bfloat16Lj128ELj32EENSt9enable_ifIXsr10test_utilsE35device_test_enabled_for_warp_size_vIXT1_EEEvE4typeEPT_S5_S5_S4_,@function
_Z16warp_scan_kernelI12hip_bfloat16Lj128ELj32EENSt9enable_ifIXsr10test_utilsE35device_test_enabled_for_warp_size_vIXT1_EEEvE4typeEPT_S5_S5_S4_: ; @_Z16warp_scan_kernelI12hip_bfloat16Lj128ELj32EENSt9enable_ifIXsr10test_utilsE35device_test_enabled_for_warp_size_vIXT1_EEEvE4typeEPT_S5_S5_S4_
; %bb.0:
	s_load_dword s7, s[4:5], 0x2c
	s_load_dwordx4 s[0:3], s[4:5], 0x0
	v_mov_b32_e32 v1, 0
                                        ; implicit-def: $vgpr6
	s_waitcnt lgkmcnt(0)
	s_and_b32 s7, s7, 0xffff
	s_mul_i32 s6, s6, s7
	v_add_u32_e32 v0, s6, v0
	v_lshlrev_b64 v[0:1], 1, v[0:1]
	v_mov_b32_e32 v3, s1
	v_add_co_u32_e32 v2, vcc, s0, v0
	v_addc_co_u32_e32 v3, vcc, v3, v1, vcc
	global_load_ushort v4, v[2:3], off
	s_mov_b32 s0, 0x7f800000
	s_waitcnt vmcnt(0)
	v_lshlrev_b32_e32 v5, 16, v4
	v_mov_b32_dpp v2, v4 row_shr:1 row_mask:0xf bank_mask:0xf
	v_lshlrev_b32_e32 v2, 16, v2
	v_add_f32_e32 v2, v5, v2
	v_and_b32_e32 v3, 0x7f800000, v2
	v_cmp_ne_u32_e32 vcc, s0, v3
	s_and_saveexec_b64 s[0:1], vcc
	s_xor_b64 s[0:1], exec, s[0:1]
; %bb.1:
	v_bfe_u32 v3, v2, 16, 1
	s_movk_i32 s6, 0x7fff
	v_add3_u32 v6, v2, v3, s6
                                        ; implicit-def: $vgpr2
; %bb.2:
	s_andn2_saveexec_b64 s[0:1], s[0:1]
; %bb.3:
	v_mov_b32_e32 v3, 0
	v_or_b32_e32 v6, 0x10000, v2
	v_cmp_eq_u32_sdwa vcc, v2, v3 src0_sel:WORD_0 src1_sel:DWORD
	v_cndmask_b32_e32 v6, v6, v2, vcc
; %bb.4:
	s_or_b64 exec, exec, s[0:1]
	v_mbcnt_lo_u32_b32 v2, -1, 0
	v_mbcnt_hi_u32_b32 v2, -1, v2
	v_and_b32_e32 v3, 15, v2
	v_and_b32_e32 v7, 0xffff0000, v6
	v_lshrrev_b32_e32 v6, 16, v6
	v_cmp_eq_u32_e32 vcc, 0, v3
	v_cndmask_b32_e32 v4, v6, v4, vcc
	v_cndmask_b32_e32 v5, v7, v5, vcc
	s_mov_b32 s0, 0x7f800000
	v_mov_b32_dpp v6, v4 row_shr:2 row_mask:0xf bank_mask:0xf
	v_lshlrev_b32_e32 v6, 16, v6
	v_add_f32_e32 v6, v5, v6
	v_and_b32_e32 v7, 0x7f800000, v6
	v_cmp_ne_u32_e32 vcc, s0, v7
                                        ; implicit-def: $vgpr7
	s_and_saveexec_b64 s[0:1], vcc
	s_xor_b64 s[0:1], exec, s[0:1]
; %bb.5:
	v_bfe_u32 v7, v6, 16, 1
	s_movk_i32 s6, 0x7fff
	v_add3_u32 v7, v6, v7, s6
                                        ; implicit-def: $vgpr6
; %bb.6:
	s_andn2_saveexec_b64 s[0:1], s[0:1]
; %bb.7:
	v_mov_b32_e32 v7, 0
	v_or_b32_e32 v8, 0x10000, v6
	v_cmp_eq_u32_sdwa vcc, v6, v7 src0_sel:WORD_0 src1_sel:DWORD
	v_cndmask_b32_e32 v7, v8, v6, vcc
; %bb.8:
	s_or_b64 exec, exec, s[0:1]
	v_and_b32_e32 v6, 0xffff0000, v7
	v_lshrrev_b32_e32 v7, 16, v7
	v_cmp_lt_u32_e32 vcc, 1, v3
	v_cndmask_b32_e32 v4, v4, v7, vcc
	v_cndmask_b32_e32 v5, v5, v6, vcc
	s_mov_b32 s0, 0x7f800000
	v_mov_b32_dpp v6, v4 row_shr:4 row_mask:0xf bank_mask:0xf
	v_lshlrev_b32_e32 v6, 16, v6
	v_add_f32_e32 v6, v5, v6
	v_and_b32_e32 v7, 0x7f800000, v6
	v_cmp_ne_u32_e32 vcc, s0, v7
                                        ; implicit-def: $vgpr7
	s_and_saveexec_b64 s[0:1], vcc
	s_xor_b64 s[0:1], exec, s[0:1]
; %bb.9:
	v_bfe_u32 v7, v6, 16, 1
	s_movk_i32 s6, 0x7fff
	v_add3_u32 v7, v6, v7, s6
                                        ; implicit-def: $vgpr6
; %bb.10:
	s_andn2_saveexec_b64 s[0:1], s[0:1]
; %bb.11:
	v_mov_b32_e32 v7, 0
	v_or_b32_e32 v8, 0x10000, v6
	v_cmp_eq_u32_sdwa vcc, v6, v7 src0_sel:WORD_0 src1_sel:DWORD
	v_cndmask_b32_e32 v7, v8, v6, vcc
; %bb.12:
	s_or_b64 exec, exec, s[0:1]
	v_and_b32_e32 v6, 0xffff0000, v7
	v_lshrrev_b32_e32 v7, 16, v7
	v_cmp_lt_u32_e32 vcc, 3, v3
	;; [unrolled: 28-line block ×3, first 2 shown]
	v_cndmask_b32_e32 v3, v4, v7, vcc
	v_cndmask_b32_e32 v5, v5, v6, vcc
	s_mov_b32 s0, 0x7f800000
	v_mov_b32_dpp v4, v3 row_bcast:15 row_mask:0xf bank_mask:0xf
	v_lshlrev_b32_e32 v4, 16, v4
	v_add_f32_e32 v4, v5, v4
	v_and_b32_e32 v5, 0x7f800000, v4
	v_cmp_ne_u32_e32 vcc, s0, v5
                                        ; implicit-def: $vgpr5
	s_and_saveexec_b64 s[0:1], vcc
	s_xor_b64 s[0:1], exec, s[0:1]
; %bb.17:
	v_bfe_u32 v5, v4, 16, 1
	s_movk_i32 s6, 0x7fff
	v_add3_u32 v5, v4, v5, s6
                                        ; implicit-def: $vgpr4
; %bb.18:
	s_andn2_saveexec_b64 s[0:1], s[0:1]
; %bb.19:
	v_mov_b32_e32 v5, 0
	v_or_b32_e32 v6, 0x10000, v4
	v_cmp_eq_u32_sdwa vcc, v4, v5 src0_sel:WORD_0 src1_sel:DWORD
	v_cndmask_b32_e32 v5, v6, v4, vcc
; %bb.20:
	s_or_b64 exec, exec, s[0:1]
	s_load_dword s8, s[4:5], 0x18
	v_and_b32_e32 v4, 16, v2
	v_cmp_eq_u32_e32 vcc, 0, v4
	v_cndmask_b32_sdwa v3, v5, v3, vcc dst_sel:WORD_1 dst_unused:UNUSED_PAD src0_sel:WORD_1 src1_sel:DWORD
                                        ; implicit-def: $vgpr5
	s_waitcnt lgkmcnt(0)
	s_lshl_b32 s0, s8, 16
	v_add_f32_e32 v3, s0, v3
	s_mov_b32 s0, 0x7f800000
	v_and_b32_e32 v4, 0x7f800000, v3
	v_cmp_ne_u32_e32 vcc, s0, v4
	v_bfe_u32 v4, v3, 16, 1
	s_and_saveexec_b64 s[0:1], vcc
	s_xor_b64 s[0:1], exec, s[0:1]
; %bb.21:
	s_movk_i32 s6, 0x7fff
	v_add3_u32 v5, v3, v4, s6
; %bb.22:
	s_or_saveexec_b64 s[6:7], s[0:1]
	s_load_dwordx2 s[4:5], s[4:5], 0x10
	s_xor_b64 exec, exec, s[6:7]
; %bb.23:
	v_mov_b32_e32 v5, 0
	v_or_b32_e32 v6, 0x10000, v3
	v_cmp_eq_u32_sdwa s[0:1], v3, v5 src0_sel:WORD_0 src1_sel:DWORD
	v_cndmask_b32_e64 v5, v6, v3, s[0:1]
; %bb.24:
	s_or_b64 exec, exec, s[6:7]
	v_add_u32_e32 v6, -1, v2
	v_and_b32_e32 v7, 0x60, v2
	v_cmp_lt_i32_e64 s[0:1], v6, v7
	v_cndmask_b32_e64 v6, v6, v2, s[0:1]
	v_lshrrev_b32_e32 v5, 16, v5
	v_lshlrev_b32_e32 v6, 2, v6
	ds_bpermute_b32 v5, v6, v5
                                        ; implicit-def: $vgpr6
	s_and_saveexec_b64 s[0:1], vcc
	s_xor_b64 s[0:1], exec, s[0:1]
; %bb.25:
	s_movk_i32 s6, 0x7fff
	v_add3_u32 v6, v3, v4, s6
                                        ; implicit-def: $vgpr3
; %bb.26:
	s_andn2_saveexec_b64 s[0:1], s[0:1]
; %bb.27:
	v_mov_b32_e32 v4, 0
	v_or_b32_e32 v6, 0x10000, v3
	v_cmp_eq_u32_sdwa vcc, v3, v4 src0_sel:WORD_0 src1_sel:DWORD
	v_cndmask_b32_e32 v6, v6, v3, vcc
; %bb.28:
	s_or_b64 exec, exec, s[0:1]
	v_and_b32_e32 v2, 31, v2
	v_mov_b32_e32 v3, s8
	v_cmp_eq_u32_e32 vcc, 0, v2
	s_waitcnt lgkmcnt(0)
	v_cndmask_b32_e32 v4, v5, v3, vcc
	v_mov_b32_e32 v3, s3
	v_add_co_u32_e32 v2, vcc, s2, v0
	v_addc_co_u32_e32 v3, vcc, v3, v1, vcc
	global_store_short_d16_hi v[2:3], v6, off
	v_mov_b32_e32 v2, s5
	v_add_co_u32_e32 v0, vcc, s4, v0
	v_addc_co_u32_e32 v1, vcc, v2, v1, vcc
	global_store_short v[0:1], v4, off
	s_endpgm
	.section	.rodata,"a",@progbits
	.p2align	6, 0x0
	.amdhsa_kernel _Z16warp_scan_kernelI12hip_bfloat16Lj128ELj32EENSt9enable_ifIXsr10test_utilsE35device_test_enabled_for_warp_size_vIXT1_EEEvE4typeEPT_S5_S5_S4_
		.amdhsa_group_segment_fixed_size 0
		.amdhsa_private_segment_fixed_size 0
		.amdhsa_kernarg_size 288
		.amdhsa_user_sgpr_count 6
		.amdhsa_user_sgpr_private_segment_buffer 1
		.amdhsa_user_sgpr_dispatch_ptr 0
		.amdhsa_user_sgpr_queue_ptr 0
		.amdhsa_user_sgpr_kernarg_segment_ptr 1
		.amdhsa_user_sgpr_dispatch_id 0
		.amdhsa_user_sgpr_flat_scratch_init 0
		.amdhsa_user_sgpr_private_segment_size 0
		.amdhsa_uses_dynamic_stack 0
		.amdhsa_system_sgpr_private_segment_wavefront_offset 0
		.amdhsa_system_sgpr_workgroup_id_x 1
		.amdhsa_system_sgpr_workgroup_id_y 0
		.amdhsa_system_sgpr_workgroup_id_z 0
		.amdhsa_system_sgpr_workgroup_info 0
		.amdhsa_system_vgpr_workitem_id 0
		.amdhsa_next_free_vgpr 9
		.amdhsa_next_free_sgpr 9
		.amdhsa_reserve_vcc 1
		.amdhsa_reserve_flat_scratch 0
		.amdhsa_float_round_mode_32 0
		.amdhsa_float_round_mode_16_64 0
		.amdhsa_float_denorm_mode_32 3
		.amdhsa_float_denorm_mode_16_64 3
		.amdhsa_dx10_clamp 1
		.amdhsa_ieee_mode 1
		.amdhsa_fp16_overflow 0
		.amdhsa_exception_fp_ieee_invalid_op 0
		.amdhsa_exception_fp_denorm_src 0
		.amdhsa_exception_fp_ieee_div_zero 0
		.amdhsa_exception_fp_ieee_overflow 0
		.amdhsa_exception_fp_ieee_underflow 0
		.amdhsa_exception_fp_ieee_inexact 0
		.amdhsa_exception_int_div_zero 0
	.end_amdhsa_kernel
	.section	.text._Z16warp_scan_kernelI12hip_bfloat16Lj128ELj32EENSt9enable_ifIXsr10test_utilsE35device_test_enabled_for_warp_size_vIXT1_EEEvE4typeEPT_S5_S5_S4_,"axG",@progbits,_Z16warp_scan_kernelI12hip_bfloat16Lj128ELj32EENSt9enable_ifIXsr10test_utilsE35device_test_enabled_for_warp_size_vIXT1_EEEvE4typeEPT_S5_S5_S4_,comdat
.Lfunc_end245:
	.size	_Z16warp_scan_kernelI12hip_bfloat16Lj128ELj32EENSt9enable_ifIXsr10test_utilsE35device_test_enabled_for_warp_size_vIXT1_EEEvE4typeEPT_S5_S5_S4_, .Lfunc_end245-_Z16warp_scan_kernelI12hip_bfloat16Lj128ELj32EENSt9enable_ifIXsr10test_utilsE35device_test_enabled_for_warp_size_vIXT1_EEEvE4typeEPT_S5_S5_S4_
                                        ; -- End function
	.set _Z16warp_scan_kernelI12hip_bfloat16Lj128ELj32EENSt9enable_ifIXsr10test_utilsE35device_test_enabled_for_warp_size_vIXT1_EEEvE4typeEPT_S5_S5_S4_.num_vgpr, 9
	.set _Z16warp_scan_kernelI12hip_bfloat16Lj128ELj32EENSt9enable_ifIXsr10test_utilsE35device_test_enabled_for_warp_size_vIXT1_EEEvE4typeEPT_S5_S5_S4_.num_agpr, 0
	.set _Z16warp_scan_kernelI12hip_bfloat16Lj128ELj32EENSt9enable_ifIXsr10test_utilsE35device_test_enabled_for_warp_size_vIXT1_EEEvE4typeEPT_S5_S5_S4_.numbered_sgpr, 9
	.set _Z16warp_scan_kernelI12hip_bfloat16Lj128ELj32EENSt9enable_ifIXsr10test_utilsE35device_test_enabled_for_warp_size_vIXT1_EEEvE4typeEPT_S5_S5_S4_.num_named_barrier, 0
	.set _Z16warp_scan_kernelI12hip_bfloat16Lj128ELj32EENSt9enable_ifIXsr10test_utilsE35device_test_enabled_for_warp_size_vIXT1_EEEvE4typeEPT_S5_S5_S4_.private_seg_size, 0
	.set _Z16warp_scan_kernelI12hip_bfloat16Lj128ELj32EENSt9enable_ifIXsr10test_utilsE35device_test_enabled_for_warp_size_vIXT1_EEEvE4typeEPT_S5_S5_S4_.uses_vcc, 1
	.set _Z16warp_scan_kernelI12hip_bfloat16Lj128ELj32EENSt9enable_ifIXsr10test_utilsE35device_test_enabled_for_warp_size_vIXT1_EEEvE4typeEPT_S5_S5_S4_.uses_flat_scratch, 0
	.set _Z16warp_scan_kernelI12hip_bfloat16Lj128ELj32EENSt9enable_ifIXsr10test_utilsE35device_test_enabled_for_warp_size_vIXT1_EEEvE4typeEPT_S5_S5_S4_.has_dyn_sized_stack, 0
	.set _Z16warp_scan_kernelI12hip_bfloat16Lj128ELj32EENSt9enable_ifIXsr10test_utilsE35device_test_enabled_for_warp_size_vIXT1_EEEvE4typeEPT_S5_S5_S4_.has_recursion, 0
	.set _Z16warp_scan_kernelI12hip_bfloat16Lj128ELj32EENSt9enable_ifIXsr10test_utilsE35device_test_enabled_for_warp_size_vIXT1_EEEvE4typeEPT_S5_S5_S4_.has_indirect_call, 0
	.section	.AMDGPU.csdata,"",@progbits
; Kernel info:
; codeLenInByte = 964
; TotalNumSgprs: 13
; NumVgprs: 9
; ScratchSize: 0
; MemoryBound: 0
; FloatMode: 240
; IeeeMode: 1
; LDSByteSize: 0 bytes/workgroup (compile time only)
; SGPRBlocks: 1
; VGPRBlocks: 2
; NumSGPRsForWavesPerEU: 13
; NumVGPRsForWavesPerEU: 9
; Occupancy: 10
; WaveLimiterHint : 0
; COMPUTE_PGM_RSRC2:SCRATCH_EN: 0
; COMPUTE_PGM_RSRC2:USER_SGPR: 6
; COMPUTE_PGM_RSRC2:TRAP_HANDLER: 0
; COMPUTE_PGM_RSRC2:TGID_X_EN: 1
; COMPUTE_PGM_RSRC2:TGID_Y_EN: 0
; COMPUTE_PGM_RSRC2:TGID_Z_EN: 0
; COMPUTE_PGM_RSRC2:TIDIG_COMP_CNT: 0
	.section	.text._Z16warp_scan_kernelI12hip_bfloat16Lj64ELj16EENSt9enable_ifIXsr10test_utilsE35device_test_enabled_for_warp_size_vIXT1_EEEvE4typeEPT_S5_S5_S4_,"axG",@progbits,_Z16warp_scan_kernelI12hip_bfloat16Lj64ELj16EENSt9enable_ifIXsr10test_utilsE35device_test_enabled_for_warp_size_vIXT1_EEEvE4typeEPT_S5_S5_S4_,comdat
	.protected	_Z16warp_scan_kernelI12hip_bfloat16Lj64ELj16EENSt9enable_ifIXsr10test_utilsE35device_test_enabled_for_warp_size_vIXT1_EEEvE4typeEPT_S5_S5_S4_ ; -- Begin function _Z16warp_scan_kernelI12hip_bfloat16Lj64ELj16EENSt9enable_ifIXsr10test_utilsE35device_test_enabled_for_warp_size_vIXT1_EEEvE4typeEPT_S5_S5_S4_
	.globl	_Z16warp_scan_kernelI12hip_bfloat16Lj64ELj16EENSt9enable_ifIXsr10test_utilsE35device_test_enabled_for_warp_size_vIXT1_EEEvE4typeEPT_S5_S5_S4_
	.p2align	8
	.type	_Z16warp_scan_kernelI12hip_bfloat16Lj64ELj16EENSt9enable_ifIXsr10test_utilsE35device_test_enabled_for_warp_size_vIXT1_EEEvE4typeEPT_S5_S5_S4_,@function
_Z16warp_scan_kernelI12hip_bfloat16Lj64ELj16EENSt9enable_ifIXsr10test_utilsE35device_test_enabled_for_warp_size_vIXT1_EEEvE4typeEPT_S5_S5_S4_: ; @_Z16warp_scan_kernelI12hip_bfloat16Lj64ELj16EENSt9enable_ifIXsr10test_utilsE35device_test_enabled_for_warp_size_vIXT1_EEEvE4typeEPT_S5_S5_S4_
; %bb.0:
	s_load_dword s0, s[4:5], 0x2c
	s_load_dwordx4 s[8:11], s[4:5], 0x0
	v_mov_b32_e32 v1, 0
                                        ; implicit-def: $vgpr6
	s_waitcnt lgkmcnt(0)
	s_and_b32 s0, s0, 0xffff
	s_mul_i32 s6, s6, s0
	v_add_u32_e32 v0, s6, v0
	v_lshlrev_b64 v[0:1], 1, v[0:1]
	v_mov_b32_e32 v3, s9
	v_add_co_u32_e32 v2, vcc, s8, v0
	v_addc_co_u32_e32 v3, vcc, v3, v1, vcc
	global_load_ushort v4, v[2:3], off
	s_mov_b32 s0, 0x7f800000
	s_waitcnt vmcnt(0)
	v_lshlrev_b32_e32 v5, 16, v4
	v_mov_b32_dpp v2, v4 row_shr:1 row_mask:0xf bank_mask:0xf
	v_lshlrev_b32_e32 v2, 16, v2
	v_add_f32_e32 v2, v5, v2
	v_and_b32_e32 v3, 0x7f800000, v2
	v_cmp_ne_u32_e32 vcc, s0, v3
	s_and_saveexec_b64 s[0:1], vcc
	s_xor_b64 s[0:1], exec, s[0:1]
; %bb.1:
	v_bfe_u32 v3, v2, 16, 1
	s_movk_i32 s2, 0x7fff
	v_add3_u32 v6, v2, v3, s2
                                        ; implicit-def: $vgpr2
; %bb.2:
	s_andn2_saveexec_b64 s[0:1], s[0:1]
; %bb.3:
	v_mov_b32_e32 v3, 0
	v_or_b32_e32 v6, 0x10000, v2
	v_cmp_eq_u32_sdwa vcc, v2, v3 src0_sel:WORD_0 src1_sel:DWORD
	v_cndmask_b32_e32 v6, v6, v2, vcc
; %bb.4:
	s_or_b64 exec, exec, s[0:1]
	v_mbcnt_lo_u32_b32 v2, -1, 0
	v_mbcnt_hi_u32_b32 v2, -1, v2
	v_and_b32_e32 v3, 15, v2
	v_and_b32_e32 v7, 0xffff0000, v6
	v_lshrrev_b32_e32 v6, 16, v6
	v_cmp_eq_u32_e64 s[0:1], 0, v3
	v_cndmask_b32_e64 v4, v6, v4, s[0:1]
	v_cndmask_b32_e64 v5, v7, v5, s[0:1]
	s_mov_b32 s2, 0x7f800000
	v_mov_b32_dpp v6, v4 row_shr:2 row_mask:0xf bank_mask:0xf
	v_lshlrev_b32_e32 v6, 16, v6
	v_add_f32_e32 v6, v5, v6
	v_and_b32_e32 v7, 0x7f800000, v6
	v_cmp_ne_u32_e32 vcc, s2, v7
                                        ; implicit-def: $vgpr7
	s_and_saveexec_b64 s[2:3], vcc
	s_xor_b64 s[2:3], exec, s[2:3]
; %bb.5:
	v_bfe_u32 v7, v6, 16, 1
	s_movk_i32 s6, 0x7fff
	v_add3_u32 v7, v6, v7, s6
                                        ; implicit-def: $vgpr6
; %bb.6:
	s_andn2_saveexec_b64 s[2:3], s[2:3]
; %bb.7:
	v_mov_b32_e32 v7, 0
	v_or_b32_e32 v8, 0x10000, v6
	v_cmp_eq_u32_sdwa vcc, v6, v7 src0_sel:WORD_0 src1_sel:DWORD
	v_cndmask_b32_e32 v7, v8, v6, vcc
; %bb.8:
	s_or_b64 exec, exec, s[2:3]
	v_and_b32_e32 v6, 0xffff0000, v7
	v_lshrrev_b32_e32 v7, 16, v7
	v_cmp_lt_u32_e32 vcc, 1, v3
	v_cndmask_b32_e32 v4, v4, v7, vcc
	v_cndmask_b32_e32 v5, v5, v6, vcc
	s_mov_b32 s2, 0x7f800000
	v_mov_b32_dpp v6, v4 row_shr:4 row_mask:0xf bank_mask:0xf
	v_lshlrev_b32_e32 v6, 16, v6
	v_add_f32_e32 v6, v5, v6
	v_and_b32_e32 v7, 0x7f800000, v6
	v_cmp_ne_u32_e32 vcc, s2, v7
                                        ; implicit-def: $vgpr7
	s_and_saveexec_b64 s[2:3], vcc
	s_xor_b64 s[2:3], exec, s[2:3]
; %bb.9:
	v_bfe_u32 v7, v6, 16, 1
	s_movk_i32 s6, 0x7fff
	v_add3_u32 v7, v6, v7, s6
                                        ; implicit-def: $vgpr6
; %bb.10:
	s_andn2_saveexec_b64 s[2:3], s[2:3]
; %bb.11:
	v_mov_b32_e32 v7, 0
	v_or_b32_e32 v8, 0x10000, v6
	v_cmp_eq_u32_sdwa vcc, v6, v7 src0_sel:WORD_0 src1_sel:DWORD
	v_cndmask_b32_e32 v7, v8, v6, vcc
; %bb.12:
	s_or_b64 exec, exec, s[2:3]
	v_and_b32_e32 v6, 0xffff0000, v7
	v_lshrrev_b32_e32 v7, 16, v7
	v_cmp_lt_u32_e32 vcc, 3, v3
	v_cndmask_b32_e32 v4, v4, v7, vcc
	v_cndmask_b32_e32 v5, v5, v6, vcc
	s_mov_b32 s2, 0x7f800000
	v_mov_b32_dpp v6, v4 row_shr:8 row_mask:0xf bank_mask:0xf
	v_lshlrev_b32_e32 v6, 16, v6
	v_add_f32_e32 v6, v5, v6
	v_and_b32_e32 v5, 0x7f800000, v6
	v_cmp_ne_u32_e32 vcc, s2, v5
                                        ; implicit-def: $vgpr5
	s_and_saveexec_b64 s[2:3], vcc
	s_xor_b64 s[2:3], exec, s[2:3]
; %bb.13:
	v_bfe_u32 v5, v6, 16, 1
	s_movk_i32 s6, 0x7fff
	v_add3_u32 v5, v6, v5, s6
                                        ; implicit-def: $vgpr6
; %bb.14:
	s_andn2_saveexec_b64 s[2:3], s[2:3]
; %bb.15:
	v_mov_b32_e32 v5, 0
	v_or_b32_e32 v7, 0x10000, v6
	v_cmp_eq_u32_sdwa vcc, v6, v5 src0_sel:WORD_0 src1_sel:DWORD
	v_cndmask_b32_e32 v5, v7, v6, vcc
; %bb.16:
	s_or_b64 exec, exec, s[2:3]
	s_load_dword s8, s[4:5], 0x18
	v_cmp_lt_u32_e32 vcc, 7, v3
	v_cndmask_b32_sdwa v3, v4, v5, vcc dst_sel:WORD_1 dst_unused:UNUSED_PAD src0_sel:DWORD src1_sel:WORD_1
	s_mov_b32 s2, 0x7f800000
                                        ; implicit-def: $vgpr5
	s_waitcnt lgkmcnt(0)
	s_lshl_b32 s3, s8, 16
	v_add_f32_e32 v3, s3, v3
	v_and_b32_e32 v4, 0x7f800000, v3
	v_cmp_ne_u32_e32 vcc, s2, v4
	v_bfe_u32 v4, v3, 16, 1
	s_and_saveexec_b64 s[2:3], vcc
	s_xor_b64 s[2:3], exec, s[2:3]
; %bb.17:
	s_movk_i32 s6, 0x7fff
	v_add3_u32 v5, v3, v4, s6
; %bb.18:
	s_or_saveexec_b64 s[6:7], s[2:3]
	s_load_dwordx2 s[4:5], s[4:5], 0x10
	s_xor_b64 exec, exec, s[6:7]
; %bb.19:
	v_mov_b32_e32 v5, 0
	v_or_b32_e32 v6, 0x10000, v3
	v_cmp_eq_u32_sdwa s[2:3], v3, v5 src0_sel:WORD_0 src1_sel:DWORD
	v_cndmask_b32_e64 v5, v6, v3, s[2:3]
; %bb.20:
	s_or_b64 exec, exec, s[6:7]
	v_add_u32_e32 v6, -1, v2
	v_and_b32_e32 v7, 0x70, v2
	v_cmp_lt_i32_e64 s[2:3], v6, v7
	v_cndmask_b32_e64 v2, v6, v2, s[2:3]
	v_lshrrev_b32_e32 v5, 16, v5
	v_lshlrev_b32_e32 v2, 2, v2
	ds_bpermute_b32 v2, v2, v5
                                        ; implicit-def: $vgpr5
	s_and_saveexec_b64 s[2:3], vcc
	s_xor_b64 s[2:3], exec, s[2:3]
; %bb.21:
	s_movk_i32 s6, 0x7fff
	v_add3_u32 v5, v3, v4, s6
                                        ; implicit-def: $vgpr3
; %bb.22:
	s_andn2_saveexec_b64 s[2:3], s[2:3]
; %bb.23:
	v_mov_b32_e32 v4, 0
	v_or_b32_e32 v5, 0x10000, v3
	v_cmp_eq_u32_sdwa vcc, v3, v4 src0_sel:WORD_0 src1_sel:DWORD
	v_cndmask_b32_e32 v5, v5, v3, vcc
; %bb.24:
	s_or_b64 exec, exec, s[2:3]
	v_mov_b32_e32 v3, s8
	s_waitcnt lgkmcnt(0)
	v_cndmask_b32_e64 v4, v2, v3, s[0:1]
	v_mov_b32_e32 v3, s11
	v_add_co_u32_e32 v2, vcc, s10, v0
	v_addc_co_u32_e32 v3, vcc, v3, v1, vcc
	global_store_short_d16_hi v[2:3], v5, off
	v_mov_b32_e32 v2, s5
	v_add_co_u32_e32 v0, vcc, s4, v0
	v_addc_co_u32_e32 v1, vcc, v2, v1, vcc
	global_store_short v[0:1], v4, off
	s_endpgm
	.section	.rodata,"a",@progbits
	.p2align	6, 0x0
	.amdhsa_kernel _Z16warp_scan_kernelI12hip_bfloat16Lj64ELj16EENSt9enable_ifIXsr10test_utilsE35device_test_enabled_for_warp_size_vIXT1_EEEvE4typeEPT_S5_S5_S4_
		.amdhsa_group_segment_fixed_size 0
		.amdhsa_private_segment_fixed_size 0
		.amdhsa_kernarg_size 288
		.amdhsa_user_sgpr_count 6
		.amdhsa_user_sgpr_private_segment_buffer 1
		.amdhsa_user_sgpr_dispatch_ptr 0
		.amdhsa_user_sgpr_queue_ptr 0
		.amdhsa_user_sgpr_kernarg_segment_ptr 1
		.amdhsa_user_sgpr_dispatch_id 0
		.amdhsa_user_sgpr_flat_scratch_init 0
		.amdhsa_user_sgpr_private_segment_size 0
		.amdhsa_uses_dynamic_stack 0
		.amdhsa_system_sgpr_private_segment_wavefront_offset 0
		.amdhsa_system_sgpr_workgroup_id_x 1
		.amdhsa_system_sgpr_workgroup_id_y 0
		.amdhsa_system_sgpr_workgroup_id_z 0
		.amdhsa_system_sgpr_workgroup_info 0
		.amdhsa_system_vgpr_workitem_id 0
		.amdhsa_next_free_vgpr 9
		.amdhsa_next_free_sgpr 12
		.amdhsa_reserve_vcc 1
		.amdhsa_reserve_flat_scratch 0
		.amdhsa_float_round_mode_32 0
		.amdhsa_float_round_mode_16_64 0
		.amdhsa_float_denorm_mode_32 3
		.amdhsa_float_denorm_mode_16_64 3
		.amdhsa_dx10_clamp 1
		.amdhsa_ieee_mode 1
		.amdhsa_fp16_overflow 0
		.amdhsa_exception_fp_ieee_invalid_op 0
		.amdhsa_exception_fp_denorm_src 0
		.amdhsa_exception_fp_ieee_div_zero 0
		.amdhsa_exception_fp_ieee_overflow 0
		.amdhsa_exception_fp_ieee_underflow 0
		.amdhsa_exception_fp_ieee_inexact 0
		.amdhsa_exception_int_div_zero 0
	.end_amdhsa_kernel
	.section	.text._Z16warp_scan_kernelI12hip_bfloat16Lj64ELj16EENSt9enable_ifIXsr10test_utilsE35device_test_enabled_for_warp_size_vIXT1_EEEvE4typeEPT_S5_S5_S4_,"axG",@progbits,_Z16warp_scan_kernelI12hip_bfloat16Lj64ELj16EENSt9enable_ifIXsr10test_utilsE35device_test_enabled_for_warp_size_vIXT1_EEEvE4typeEPT_S5_S5_S4_,comdat
.Lfunc_end246:
	.size	_Z16warp_scan_kernelI12hip_bfloat16Lj64ELj16EENSt9enable_ifIXsr10test_utilsE35device_test_enabled_for_warp_size_vIXT1_EEEvE4typeEPT_S5_S5_S4_, .Lfunc_end246-_Z16warp_scan_kernelI12hip_bfloat16Lj64ELj16EENSt9enable_ifIXsr10test_utilsE35device_test_enabled_for_warp_size_vIXT1_EEEvE4typeEPT_S5_S5_S4_
                                        ; -- End function
	.set _Z16warp_scan_kernelI12hip_bfloat16Lj64ELj16EENSt9enable_ifIXsr10test_utilsE35device_test_enabled_for_warp_size_vIXT1_EEEvE4typeEPT_S5_S5_S4_.num_vgpr, 9
	.set _Z16warp_scan_kernelI12hip_bfloat16Lj64ELj16EENSt9enable_ifIXsr10test_utilsE35device_test_enabled_for_warp_size_vIXT1_EEEvE4typeEPT_S5_S5_S4_.num_agpr, 0
	.set _Z16warp_scan_kernelI12hip_bfloat16Lj64ELj16EENSt9enable_ifIXsr10test_utilsE35device_test_enabled_for_warp_size_vIXT1_EEEvE4typeEPT_S5_S5_S4_.numbered_sgpr, 12
	.set _Z16warp_scan_kernelI12hip_bfloat16Lj64ELj16EENSt9enable_ifIXsr10test_utilsE35device_test_enabled_for_warp_size_vIXT1_EEEvE4typeEPT_S5_S5_S4_.num_named_barrier, 0
	.set _Z16warp_scan_kernelI12hip_bfloat16Lj64ELj16EENSt9enable_ifIXsr10test_utilsE35device_test_enabled_for_warp_size_vIXT1_EEEvE4typeEPT_S5_S5_S4_.private_seg_size, 0
	.set _Z16warp_scan_kernelI12hip_bfloat16Lj64ELj16EENSt9enable_ifIXsr10test_utilsE35device_test_enabled_for_warp_size_vIXT1_EEEvE4typeEPT_S5_S5_S4_.uses_vcc, 1
	.set _Z16warp_scan_kernelI12hip_bfloat16Lj64ELj16EENSt9enable_ifIXsr10test_utilsE35device_test_enabled_for_warp_size_vIXT1_EEEvE4typeEPT_S5_S5_S4_.uses_flat_scratch, 0
	.set _Z16warp_scan_kernelI12hip_bfloat16Lj64ELj16EENSt9enable_ifIXsr10test_utilsE35device_test_enabled_for_warp_size_vIXT1_EEEvE4typeEPT_S5_S5_S4_.has_dyn_sized_stack, 0
	.set _Z16warp_scan_kernelI12hip_bfloat16Lj64ELj16EENSt9enable_ifIXsr10test_utilsE35device_test_enabled_for_warp_size_vIXT1_EEEvE4typeEPT_S5_S5_S4_.has_recursion, 0
	.set _Z16warp_scan_kernelI12hip_bfloat16Lj64ELj16EENSt9enable_ifIXsr10test_utilsE35device_test_enabled_for_warp_size_vIXT1_EEEvE4typeEPT_S5_S5_S4_.has_indirect_call, 0
	.section	.AMDGPU.csdata,"",@progbits
; Kernel info:
; codeLenInByte = 848
; TotalNumSgprs: 16
; NumVgprs: 9
; ScratchSize: 0
; MemoryBound: 0
; FloatMode: 240
; IeeeMode: 1
; LDSByteSize: 0 bytes/workgroup (compile time only)
; SGPRBlocks: 1
; VGPRBlocks: 2
; NumSGPRsForWavesPerEU: 16
; NumVGPRsForWavesPerEU: 9
; Occupancy: 10
; WaveLimiterHint : 0
; COMPUTE_PGM_RSRC2:SCRATCH_EN: 0
; COMPUTE_PGM_RSRC2:USER_SGPR: 6
; COMPUTE_PGM_RSRC2:TRAP_HANDLER: 0
; COMPUTE_PGM_RSRC2:TGID_X_EN: 1
; COMPUTE_PGM_RSRC2:TGID_Y_EN: 0
; COMPUTE_PGM_RSRC2:TGID_Z_EN: 0
; COMPUTE_PGM_RSRC2:TIDIG_COMP_CNT: 0
	.section	.text._Z16warp_scan_kernelI12hip_bfloat16Lj32ELj8EENSt9enable_ifIXsr10test_utilsE35device_test_enabled_for_warp_size_vIXT1_EEEvE4typeEPT_S5_S5_S4_,"axG",@progbits,_Z16warp_scan_kernelI12hip_bfloat16Lj32ELj8EENSt9enable_ifIXsr10test_utilsE35device_test_enabled_for_warp_size_vIXT1_EEEvE4typeEPT_S5_S5_S4_,comdat
	.protected	_Z16warp_scan_kernelI12hip_bfloat16Lj32ELj8EENSt9enable_ifIXsr10test_utilsE35device_test_enabled_for_warp_size_vIXT1_EEEvE4typeEPT_S5_S5_S4_ ; -- Begin function _Z16warp_scan_kernelI12hip_bfloat16Lj32ELj8EENSt9enable_ifIXsr10test_utilsE35device_test_enabled_for_warp_size_vIXT1_EEEvE4typeEPT_S5_S5_S4_
	.globl	_Z16warp_scan_kernelI12hip_bfloat16Lj32ELj8EENSt9enable_ifIXsr10test_utilsE35device_test_enabled_for_warp_size_vIXT1_EEEvE4typeEPT_S5_S5_S4_
	.p2align	8
	.type	_Z16warp_scan_kernelI12hip_bfloat16Lj32ELj8EENSt9enable_ifIXsr10test_utilsE35device_test_enabled_for_warp_size_vIXT1_EEEvE4typeEPT_S5_S5_S4_,@function
_Z16warp_scan_kernelI12hip_bfloat16Lj32ELj8EENSt9enable_ifIXsr10test_utilsE35device_test_enabled_for_warp_size_vIXT1_EEEvE4typeEPT_S5_S5_S4_: ; @_Z16warp_scan_kernelI12hip_bfloat16Lj32ELj8EENSt9enable_ifIXsr10test_utilsE35device_test_enabled_for_warp_size_vIXT1_EEEvE4typeEPT_S5_S5_S4_
; %bb.0:
	s_load_dword s0, s[4:5], 0x2c
	s_load_dwordx4 s[8:11], s[4:5], 0x0
	v_mov_b32_e32 v1, 0
                                        ; implicit-def: $vgpr6
	s_waitcnt lgkmcnt(0)
	s_and_b32 s0, s0, 0xffff
	s_mul_i32 s6, s6, s0
	v_add_u32_e32 v0, s6, v0
	v_lshlrev_b64 v[0:1], 1, v[0:1]
	v_mov_b32_e32 v3, s9
	v_add_co_u32_e32 v2, vcc, s8, v0
	v_addc_co_u32_e32 v3, vcc, v3, v1, vcc
	global_load_ushort v4, v[2:3], off
	s_mov_b32 s0, 0x7f800000
	s_waitcnt vmcnt(0)
	v_lshlrev_b32_e32 v5, 16, v4
	v_mov_b32_dpp v2, v4 row_shr:1 row_mask:0xf bank_mask:0xf
	v_lshlrev_b32_e32 v2, 16, v2
	v_add_f32_e32 v2, v5, v2
	v_and_b32_e32 v3, 0x7f800000, v2
	v_cmp_ne_u32_e32 vcc, s0, v3
	s_and_saveexec_b64 s[0:1], vcc
	s_xor_b64 s[0:1], exec, s[0:1]
; %bb.1:
	v_bfe_u32 v3, v2, 16, 1
	s_movk_i32 s2, 0x7fff
	v_add3_u32 v6, v2, v3, s2
                                        ; implicit-def: $vgpr2
; %bb.2:
	s_andn2_saveexec_b64 s[0:1], s[0:1]
; %bb.3:
	v_mov_b32_e32 v3, 0
	v_or_b32_e32 v6, 0x10000, v2
	v_cmp_eq_u32_sdwa vcc, v2, v3 src0_sel:WORD_0 src1_sel:DWORD
	v_cndmask_b32_e32 v6, v6, v2, vcc
; %bb.4:
	s_or_b64 exec, exec, s[0:1]
	v_mbcnt_lo_u32_b32 v2, -1, 0
	v_mbcnt_hi_u32_b32 v2, -1, v2
	v_and_b32_e32 v3, 7, v2
	v_and_b32_e32 v7, 0xffff0000, v6
	v_lshrrev_b32_e32 v6, 16, v6
	v_cmp_eq_u32_e64 s[0:1], 0, v3
	v_cndmask_b32_e64 v4, v6, v4, s[0:1]
	v_cndmask_b32_e64 v5, v7, v5, s[0:1]
	s_mov_b32 s2, 0x7f800000
	v_mov_b32_dpp v6, v4 row_shr:2 row_mask:0xf bank_mask:0xf
	v_lshlrev_b32_e32 v6, 16, v6
	v_add_f32_e32 v6, v5, v6
	v_and_b32_e32 v7, 0x7f800000, v6
	v_cmp_ne_u32_e32 vcc, s2, v7
                                        ; implicit-def: $vgpr7
	s_and_saveexec_b64 s[2:3], vcc
	s_xor_b64 s[2:3], exec, s[2:3]
; %bb.5:
	v_bfe_u32 v7, v6, 16, 1
	s_movk_i32 s6, 0x7fff
	v_add3_u32 v7, v6, v7, s6
                                        ; implicit-def: $vgpr6
; %bb.6:
	s_andn2_saveexec_b64 s[2:3], s[2:3]
; %bb.7:
	v_mov_b32_e32 v7, 0
	v_or_b32_e32 v8, 0x10000, v6
	v_cmp_eq_u32_sdwa vcc, v6, v7 src0_sel:WORD_0 src1_sel:DWORD
	v_cndmask_b32_e32 v7, v8, v6, vcc
; %bb.8:
	s_or_b64 exec, exec, s[2:3]
	v_and_b32_e32 v6, 0xffff0000, v7
	v_lshrrev_b32_e32 v7, 16, v7
	v_cmp_lt_u32_e32 vcc, 1, v3
	v_cndmask_b32_e32 v4, v4, v7, vcc
	v_cndmask_b32_e32 v5, v5, v6, vcc
	s_mov_b32 s2, 0x7f800000
	v_mov_b32_dpp v6, v4 row_shr:4 row_mask:0xf bank_mask:0xf
	v_lshlrev_b32_e32 v6, 16, v6
	v_add_f32_e32 v6, v5, v6
	v_and_b32_e32 v5, 0x7f800000, v6
	v_cmp_ne_u32_e32 vcc, s2, v5
                                        ; implicit-def: $vgpr5
	s_and_saveexec_b64 s[2:3], vcc
	s_xor_b64 s[2:3], exec, s[2:3]
; %bb.9:
	v_bfe_u32 v5, v6, 16, 1
	s_movk_i32 s6, 0x7fff
	v_add3_u32 v5, v6, v5, s6
                                        ; implicit-def: $vgpr6
; %bb.10:
	s_andn2_saveexec_b64 s[2:3], s[2:3]
; %bb.11:
	v_mov_b32_e32 v5, 0
	v_or_b32_e32 v7, 0x10000, v6
	v_cmp_eq_u32_sdwa vcc, v6, v5 src0_sel:WORD_0 src1_sel:DWORD
	v_cndmask_b32_e32 v5, v7, v6, vcc
; %bb.12:
	s_or_b64 exec, exec, s[2:3]
	s_load_dword s8, s[4:5], 0x18
	v_cmp_lt_u32_e32 vcc, 3, v3
	v_cndmask_b32_sdwa v3, v4, v5, vcc dst_sel:WORD_1 dst_unused:UNUSED_PAD src0_sel:DWORD src1_sel:WORD_1
	s_mov_b32 s2, 0x7f800000
                                        ; implicit-def: $vgpr5
	s_waitcnt lgkmcnt(0)
	s_lshl_b32 s3, s8, 16
	v_add_f32_e32 v3, s3, v3
	v_and_b32_e32 v4, 0x7f800000, v3
	v_cmp_ne_u32_e32 vcc, s2, v4
	v_bfe_u32 v4, v3, 16, 1
	s_and_saveexec_b64 s[2:3], vcc
	s_xor_b64 s[2:3], exec, s[2:3]
; %bb.13:
	s_movk_i32 s6, 0x7fff
	v_add3_u32 v5, v3, v4, s6
; %bb.14:
	s_or_saveexec_b64 s[6:7], s[2:3]
	s_load_dwordx2 s[4:5], s[4:5], 0x10
	s_xor_b64 exec, exec, s[6:7]
; %bb.15:
	v_mov_b32_e32 v5, 0
	v_or_b32_e32 v6, 0x10000, v3
	v_cmp_eq_u32_sdwa s[2:3], v3, v5 src0_sel:WORD_0 src1_sel:DWORD
	v_cndmask_b32_e64 v5, v6, v3, s[2:3]
; %bb.16:
	s_or_b64 exec, exec, s[6:7]
	v_add_u32_e32 v6, -1, v2
	v_and_b32_e32 v7, 0x78, v2
	v_cmp_lt_i32_e64 s[2:3], v6, v7
	v_cndmask_b32_e64 v2, v6, v2, s[2:3]
	v_lshrrev_b32_e32 v5, 16, v5
	v_lshlrev_b32_e32 v2, 2, v2
	ds_bpermute_b32 v2, v2, v5
                                        ; implicit-def: $vgpr5
	s_and_saveexec_b64 s[2:3], vcc
	s_xor_b64 s[2:3], exec, s[2:3]
; %bb.17:
	s_movk_i32 s6, 0x7fff
	v_add3_u32 v5, v3, v4, s6
                                        ; implicit-def: $vgpr3
; %bb.18:
	s_andn2_saveexec_b64 s[2:3], s[2:3]
; %bb.19:
	v_mov_b32_e32 v4, 0
	v_or_b32_e32 v5, 0x10000, v3
	v_cmp_eq_u32_sdwa vcc, v3, v4 src0_sel:WORD_0 src1_sel:DWORD
	v_cndmask_b32_e32 v5, v5, v3, vcc
; %bb.20:
	s_or_b64 exec, exec, s[2:3]
	v_mov_b32_e32 v3, s8
	s_waitcnt lgkmcnt(0)
	v_cndmask_b32_e64 v4, v2, v3, s[0:1]
	v_mov_b32_e32 v3, s11
	v_add_co_u32_e32 v2, vcc, s10, v0
	v_addc_co_u32_e32 v3, vcc, v3, v1, vcc
	global_store_short_d16_hi v[2:3], v5, off
	v_mov_b32_e32 v2, s5
	v_add_co_u32_e32 v0, vcc, s4, v0
	v_addc_co_u32_e32 v1, vcc, v2, v1, vcc
	global_store_short v[0:1], v4, off
	s_endpgm
	.section	.rodata,"a",@progbits
	.p2align	6, 0x0
	.amdhsa_kernel _Z16warp_scan_kernelI12hip_bfloat16Lj32ELj8EENSt9enable_ifIXsr10test_utilsE35device_test_enabled_for_warp_size_vIXT1_EEEvE4typeEPT_S5_S5_S4_
		.amdhsa_group_segment_fixed_size 0
		.amdhsa_private_segment_fixed_size 0
		.amdhsa_kernarg_size 288
		.amdhsa_user_sgpr_count 6
		.amdhsa_user_sgpr_private_segment_buffer 1
		.amdhsa_user_sgpr_dispatch_ptr 0
		.amdhsa_user_sgpr_queue_ptr 0
		.amdhsa_user_sgpr_kernarg_segment_ptr 1
		.amdhsa_user_sgpr_dispatch_id 0
		.amdhsa_user_sgpr_flat_scratch_init 0
		.amdhsa_user_sgpr_private_segment_size 0
		.amdhsa_uses_dynamic_stack 0
		.amdhsa_system_sgpr_private_segment_wavefront_offset 0
		.amdhsa_system_sgpr_workgroup_id_x 1
		.amdhsa_system_sgpr_workgroup_id_y 0
		.amdhsa_system_sgpr_workgroup_id_z 0
		.amdhsa_system_sgpr_workgroup_info 0
		.amdhsa_system_vgpr_workitem_id 0
		.amdhsa_next_free_vgpr 9
		.amdhsa_next_free_sgpr 12
		.amdhsa_reserve_vcc 1
		.amdhsa_reserve_flat_scratch 0
		.amdhsa_float_round_mode_32 0
		.amdhsa_float_round_mode_16_64 0
		.amdhsa_float_denorm_mode_32 3
		.amdhsa_float_denorm_mode_16_64 3
		.amdhsa_dx10_clamp 1
		.amdhsa_ieee_mode 1
		.amdhsa_fp16_overflow 0
		.amdhsa_exception_fp_ieee_invalid_op 0
		.amdhsa_exception_fp_denorm_src 0
		.amdhsa_exception_fp_ieee_div_zero 0
		.amdhsa_exception_fp_ieee_overflow 0
		.amdhsa_exception_fp_ieee_underflow 0
		.amdhsa_exception_fp_ieee_inexact 0
		.amdhsa_exception_int_div_zero 0
	.end_amdhsa_kernel
	.section	.text._Z16warp_scan_kernelI12hip_bfloat16Lj32ELj8EENSt9enable_ifIXsr10test_utilsE35device_test_enabled_for_warp_size_vIXT1_EEEvE4typeEPT_S5_S5_S4_,"axG",@progbits,_Z16warp_scan_kernelI12hip_bfloat16Lj32ELj8EENSt9enable_ifIXsr10test_utilsE35device_test_enabled_for_warp_size_vIXT1_EEEvE4typeEPT_S5_S5_S4_,comdat
.Lfunc_end247:
	.size	_Z16warp_scan_kernelI12hip_bfloat16Lj32ELj8EENSt9enable_ifIXsr10test_utilsE35device_test_enabled_for_warp_size_vIXT1_EEEvE4typeEPT_S5_S5_S4_, .Lfunc_end247-_Z16warp_scan_kernelI12hip_bfloat16Lj32ELj8EENSt9enable_ifIXsr10test_utilsE35device_test_enabled_for_warp_size_vIXT1_EEEvE4typeEPT_S5_S5_S4_
                                        ; -- End function
	.set _Z16warp_scan_kernelI12hip_bfloat16Lj32ELj8EENSt9enable_ifIXsr10test_utilsE35device_test_enabled_for_warp_size_vIXT1_EEEvE4typeEPT_S5_S5_S4_.num_vgpr, 9
	.set _Z16warp_scan_kernelI12hip_bfloat16Lj32ELj8EENSt9enable_ifIXsr10test_utilsE35device_test_enabled_for_warp_size_vIXT1_EEEvE4typeEPT_S5_S5_S4_.num_agpr, 0
	.set _Z16warp_scan_kernelI12hip_bfloat16Lj32ELj8EENSt9enable_ifIXsr10test_utilsE35device_test_enabled_for_warp_size_vIXT1_EEEvE4typeEPT_S5_S5_S4_.numbered_sgpr, 12
	.set _Z16warp_scan_kernelI12hip_bfloat16Lj32ELj8EENSt9enable_ifIXsr10test_utilsE35device_test_enabled_for_warp_size_vIXT1_EEEvE4typeEPT_S5_S5_S4_.num_named_barrier, 0
	.set _Z16warp_scan_kernelI12hip_bfloat16Lj32ELj8EENSt9enable_ifIXsr10test_utilsE35device_test_enabled_for_warp_size_vIXT1_EEEvE4typeEPT_S5_S5_S4_.private_seg_size, 0
	.set _Z16warp_scan_kernelI12hip_bfloat16Lj32ELj8EENSt9enable_ifIXsr10test_utilsE35device_test_enabled_for_warp_size_vIXT1_EEEvE4typeEPT_S5_S5_S4_.uses_vcc, 1
	.set _Z16warp_scan_kernelI12hip_bfloat16Lj32ELj8EENSt9enable_ifIXsr10test_utilsE35device_test_enabled_for_warp_size_vIXT1_EEEvE4typeEPT_S5_S5_S4_.uses_flat_scratch, 0
	.set _Z16warp_scan_kernelI12hip_bfloat16Lj32ELj8EENSt9enable_ifIXsr10test_utilsE35device_test_enabled_for_warp_size_vIXT1_EEEvE4typeEPT_S5_S5_S4_.has_dyn_sized_stack, 0
	.set _Z16warp_scan_kernelI12hip_bfloat16Lj32ELj8EENSt9enable_ifIXsr10test_utilsE35device_test_enabled_for_warp_size_vIXT1_EEEvE4typeEPT_S5_S5_S4_.has_recursion, 0
	.set _Z16warp_scan_kernelI12hip_bfloat16Lj32ELj8EENSt9enable_ifIXsr10test_utilsE35device_test_enabled_for_warp_size_vIXT1_EEEvE4typeEPT_S5_S5_S4_.has_indirect_call, 0
	.section	.AMDGPU.csdata,"",@progbits
; Kernel info:
; codeLenInByte = 728
; TotalNumSgprs: 16
; NumVgprs: 9
; ScratchSize: 0
; MemoryBound: 0
; FloatMode: 240
; IeeeMode: 1
; LDSByteSize: 0 bytes/workgroup (compile time only)
; SGPRBlocks: 1
; VGPRBlocks: 2
; NumSGPRsForWavesPerEU: 16
; NumVGPRsForWavesPerEU: 9
; Occupancy: 10
; WaveLimiterHint : 0
; COMPUTE_PGM_RSRC2:SCRATCH_EN: 0
; COMPUTE_PGM_RSRC2:USER_SGPR: 6
; COMPUTE_PGM_RSRC2:TRAP_HANDLER: 0
; COMPUTE_PGM_RSRC2:TGID_X_EN: 1
; COMPUTE_PGM_RSRC2:TGID_Y_EN: 0
; COMPUTE_PGM_RSRC2:TGID_Z_EN: 0
; COMPUTE_PGM_RSRC2:TIDIG_COMP_CNT: 0
	.section	.text._Z16warp_scan_kernelI12hip_bfloat16Lj64ELj8EENSt9enable_ifIXsr10test_utilsE35device_test_enabled_for_warp_size_vIXT1_EEEvE4typeEPT_S5_S5_S4_,"axG",@progbits,_Z16warp_scan_kernelI12hip_bfloat16Lj64ELj8EENSt9enable_ifIXsr10test_utilsE35device_test_enabled_for_warp_size_vIXT1_EEEvE4typeEPT_S5_S5_S4_,comdat
	.protected	_Z16warp_scan_kernelI12hip_bfloat16Lj64ELj8EENSt9enable_ifIXsr10test_utilsE35device_test_enabled_for_warp_size_vIXT1_EEEvE4typeEPT_S5_S5_S4_ ; -- Begin function _Z16warp_scan_kernelI12hip_bfloat16Lj64ELj8EENSt9enable_ifIXsr10test_utilsE35device_test_enabled_for_warp_size_vIXT1_EEEvE4typeEPT_S5_S5_S4_
	.globl	_Z16warp_scan_kernelI12hip_bfloat16Lj64ELj8EENSt9enable_ifIXsr10test_utilsE35device_test_enabled_for_warp_size_vIXT1_EEEvE4typeEPT_S5_S5_S4_
	.p2align	8
	.type	_Z16warp_scan_kernelI12hip_bfloat16Lj64ELj8EENSt9enable_ifIXsr10test_utilsE35device_test_enabled_for_warp_size_vIXT1_EEEvE4typeEPT_S5_S5_S4_,@function
_Z16warp_scan_kernelI12hip_bfloat16Lj64ELj8EENSt9enable_ifIXsr10test_utilsE35device_test_enabled_for_warp_size_vIXT1_EEEvE4typeEPT_S5_S5_S4_: ; @_Z16warp_scan_kernelI12hip_bfloat16Lj64ELj8EENSt9enable_ifIXsr10test_utilsE35device_test_enabled_for_warp_size_vIXT1_EEEvE4typeEPT_S5_S5_S4_
; %bb.0:
	s_load_dword s0, s[4:5], 0x2c
	s_load_dwordx4 s[8:11], s[4:5], 0x0
	v_mov_b32_e32 v1, 0
                                        ; implicit-def: $vgpr6
	s_waitcnt lgkmcnt(0)
	s_and_b32 s0, s0, 0xffff
	s_mul_i32 s6, s6, s0
	v_add_u32_e32 v0, s6, v0
	v_lshlrev_b64 v[0:1], 1, v[0:1]
	v_mov_b32_e32 v3, s9
	v_add_co_u32_e32 v2, vcc, s8, v0
	v_addc_co_u32_e32 v3, vcc, v3, v1, vcc
	global_load_ushort v4, v[2:3], off
	s_mov_b32 s0, 0x7f800000
	s_waitcnt vmcnt(0)
	v_lshlrev_b32_e32 v5, 16, v4
	v_mov_b32_dpp v2, v4 row_shr:1 row_mask:0xf bank_mask:0xf
	v_lshlrev_b32_e32 v2, 16, v2
	v_add_f32_e32 v2, v5, v2
	v_and_b32_e32 v3, 0x7f800000, v2
	v_cmp_ne_u32_e32 vcc, s0, v3
	s_and_saveexec_b64 s[0:1], vcc
	s_xor_b64 s[0:1], exec, s[0:1]
; %bb.1:
	v_bfe_u32 v3, v2, 16, 1
	s_movk_i32 s2, 0x7fff
	v_add3_u32 v6, v2, v3, s2
                                        ; implicit-def: $vgpr2
; %bb.2:
	s_andn2_saveexec_b64 s[0:1], s[0:1]
; %bb.3:
	v_mov_b32_e32 v3, 0
	v_or_b32_e32 v6, 0x10000, v2
	v_cmp_eq_u32_sdwa vcc, v2, v3 src0_sel:WORD_0 src1_sel:DWORD
	v_cndmask_b32_e32 v6, v6, v2, vcc
; %bb.4:
	s_or_b64 exec, exec, s[0:1]
	v_mbcnt_lo_u32_b32 v2, -1, 0
	v_mbcnt_hi_u32_b32 v2, -1, v2
	v_and_b32_e32 v3, 7, v2
	v_and_b32_e32 v7, 0xffff0000, v6
	v_lshrrev_b32_e32 v6, 16, v6
	v_cmp_eq_u32_e64 s[0:1], 0, v3
	v_cndmask_b32_e64 v4, v6, v4, s[0:1]
	v_cndmask_b32_e64 v5, v7, v5, s[0:1]
	s_mov_b32 s2, 0x7f800000
	v_mov_b32_dpp v6, v4 row_shr:2 row_mask:0xf bank_mask:0xf
	v_lshlrev_b32_e32 v6, 16, v6
	v_add_f32_e32 v6, v5, v6
	v_and_b32_e32 v7, 0x7f800000, v6
	v_cmp_ne_u32_e32 vcc, s2, v7
                                        ; implicit-def: $vgpr7
	s_and_saveexec_b64 s[2:3], vcc
	s_xor_b64 s[2:3], exec, s[2:3]
; %bb.5:
	v_bfe_u32 v7, v6, 16, 1
	s_movk_i32 s6, 0x7fff
	v_add3_u32 v7, v6, v7, s6
                                        ; implicit-def: $vgpr6
; %bb.6:
	s_andn2_saveexec_b64 s[2:3], s[2:3]
; %bb.7:
	v_mov_b32_e32 v7, 0
	v_or_b32_e32 v8, 0x10000, v6
	v_cmp_eq_u32_sdwa vcc, v6, v7 src0_sel:WORD_0 src1_sel:DWORD
	v_cndmask_b32_e32 v7, v8, v6, vcc
; %bb.8:
	s_or_b64 exec, exec, s[2:3]
	v_and_b32_e32 v6, 0xffff0000, v7
	v_lshrrev_b32_e32 v7, 16, v7
	v_cmp_lt_u32_e32 vcc, 1, v3
	v_cndmask_b32_e32 v4, v4, v7, vcc
	v_cndmask_b32_e32 v5, v5, v6, vcc
	s_mov_b32 s2, 0x7f800000
	v_mov_b32_dpp v6, v4 row_shr:4 row_mask:0xf bank_mask:0xf
	v_lshlrev_b32_e32 v6, 16, v6
	v_add_f32_e32 v6, v5, v6
	v_and_b32_e32 v5, 0x7f800000, v6
	v_cmp_ne_u32_e32 vcc, s2, v5
                                        ; implicit-def: $vgpr5
	s_and_saveexec_b64 s[2:3], vcc
	s_xor_b64 s[2:3], exec, s[2:3]
; %bb.9:
	v_bfe_u32 v5, v6, 16, 1
	s_movk_i32 s6, 0x7fff
	v_add3_u32 v5, v6, v5, s6
                                        ; implicit-def: $vgpr6
; %bb.10:
	s_andn2_saveexec_b64 s[2:3], s[2:3]
; %bb.11:
	v_mov_b32_e32 v5, 0
	v_or_b32_e32 v7, 0x10000, v6
	v_cmp_eq_u32_sdwa vcc, v6, v5 src0_sel:WORD_0 src1_sel:DWORD
	v_cndmask_b32_e32 v5, v7, v6, vcc
; %bb.12:
	s_or_b64 exec, exec, s[2:3]
	s_load_dword s8, s[4:5], 0x18
	v_cmp_lt_u32_e32 vcc, 3, v3
	v_cndmask_b32_sdwa v3, v4, v5, vcc dst_sel:WORD_1 dst_unused:UNUSED_PAD src0_sel:DWORD src1_sel:WORD_1
	s_mov_b32 s2, 0x7f800000
                                        ; implicit-def: $vgpr5
	s_waitcnt lgkmcnt(0)
	s_lshl_b32 s3, s8, 16
	v_add_f32_e32 v3, s3, v3
	v_and_b32_e32 v4, 0x7f800000, v3
	v_cmp_ne_u32_e32 vcc, s2, v4
	v_bfe_u32 v4, v3, 16, 1
	s_and_saveexec_b64 s[2:3], vcc
	s_xor_b64 s[2:3], exec, s[2:3]
; %bb.13:
	s_movk_i32 s6, 0x7fff
	v_add3_u32 v5, v3, v4, s6
; %bb.14:
	s_or_saveexec_b64 s[6:7], s[2:3]
	s_load_dwordx2 s[4:5], s[4:5], 0x10
	s_xor_b64 exec, exec, s[6:7]
; %bb.15:
	v_mov_b32_e32 v5, 0
	v_or_b32_e32 v6, 0x10000, v3
	v_cmp_eq_u32_sdwa s[2:3], v3, v5 src0_sel:WORD_0 src1_sel:DWORD
	v_cndmask_b32_e64 v5, v6, v3, s[2:3]
; %bb.16:
	s_or_b64 exec, exec, s[6:7]
	v_add_u32_e32 v6, -1, v2
	v_and_b32_e32 v7, 0x78, v2
	v_cmp_lt_i32_e64 s[2:3], v6, v7
	v_cndmask_b32_e64 v2, v6, v2, s[2:3]
	v_lshrrev_b32_e32 v5, 16, v5
	v_lshlrev_b32_e32 v2, 2, v2
	ds_bpermute_b32 v2, v2, v5
                                        ; implicit-def: $vgpr5
	s_and_saveexec_b64 s[2:3], vcc
	s_xor_b64 s[2:3], exec, s[2:3]
; %bb.17:
	s_movk_i32 s6, 0x7fff
	v_add3_u32 v5, v3, v4, s6
                                        ; implicit-def: $vgpr3
; %bb.18:
	s_andn2_saveexec_b64 s[2:3], s[2:3]
; %bb.19:
	v_mov_b32_e32 v4, 0
	v_or_b32_e32 v5, 0x10000, v3
	v_cmp_eq_u32_sdwa vcc, v3, v4 src0_sel:WORD_0 src1_sel:DWORD
	v_cndmask_b32_e32 v5, v5, v3, vcc
; %bb.20:
	s_or_b64 exec, exec, s[2:3]
	v_mov_b32_e32 v3, s8
	s_waitcnt lgkmcnt(0)
	v_cndmask_b32_e64 v4, v2, v3, s[0:1]
	v_mov_b32_e32 v3, s11
	v_add_co_u32_e32 v2, vcc, s10, v0
	v_addc_co_u32_e32 v3, vcc, v3, v1, vcc
	global_store_short_d16_hi v[2:3], v5, off
	v_mov_b32_e32 v2, s5
	v_add_co_u32_e32 v0, vcc, s4, v0
	v_addc_co_u32_e32 v1, vcc, v2, v1, vcc
	global_store_short v[0:1], v4, off
	s_endpgm
	.section	.rodata,"a",@progbits
	.p2align	6, 0x0
	.amdhsa_kernel _Z16warp_scan_kernelI12hip_bfloat16Lj64ELj8EENSt9enable_ifIXsr10test_utilsE35device_test_enabled_for_warp_size_vIXT1_EEEvE4typeEPT_S5_S5_S4_
		.amdhsa_group_segment_fixed_size 0
		.amdhsa_private_segment_fixed_size 0
		.amdhsa_kernarg_size 288
		.amdhsa_user_sgpr_count 6
		.amdhsa_user_sgpr_private_segment_buffer 1
		.amdhsa_user_sgpr_dispatch_ptr 0
		.amdhsa_user_sgpr_queue_ptr 0
		.amdhsa_user_sgpr_kernarg_segment_ptr 1
		.amdhsa_user_sgpr_dispatch_id 0
		.amdhsa_user_sgpr_flat_scratch_init 0
		.amdhsa_user_sgpr_private_segment_size 0
		.amdhsa_uses_dynamic_stack 0
		.amdhsa_system_sgpr_private_segment_wavefront_offset 0
		.amdhsa_system_sgpr_workgroup_id_x 1
		.amdhsa_system_sgpr_workgroup_id_y 0
		.amdhsa_system_sgpr_workgroup_id_z 0
		.amdhsa_system_sgpr_workgroup_info 0
		.amdhsa_system_vgpr_workitem_id 0
		.amdhsa_next_free_vgpr 9
		.amdhsa_next_free_sgpr 12
		.amdhsa_reserve_vcc 1
		.amdhsa_reserve_flat_scratch 0
		.amdhsa_float_round_mode_32 0
		.amdhsa_float_round_mode_16_64 0
		.amdhsa_float_denorm_mode_32 3
		.amdhsa_float_denorm_mode_16_64 3
		.amdhsa_dx10_clamp 1
		.amdhsa_ieee_mode 1
		.amdhsa_fp16_overflow 0
		.amdhsa_exception_fp_ieee_invalid_op 0
		.amdhsa_exception_fp_denorm_src 0
		.amdhsa_exception_fp_ieee_div_zero 0
		.amdhsa_exception_fp_ieee_overflow 0
		.amdhsa_exception_fp_ieee_underflow 0
		.amdhsa_exception_fp_ieee_inexact 0
		.amdhsa_exception_int_div_zero 0
	.end_amdhsa_kernel
	.section	.text._Z16warp_scan_kernelI12hip_bfloat16Lj64ELj8EENSt9enable_ifIXsr10test_utilsE35device_test_enabled_for_warp_size_vIXT1_EEEvE4typeEPT_S5_S5_S4_,"axG",@progbits,_Z16warp_scan_kernelI12hip_bfloat16Lj64ELj8EENSt9enable_ifIXsr10test_utilsE35device_test_enabled_for_warp_size_vIXT1_EEEvE4typeEPT_S5_S5_S4_,comdat
.Lfunc_end248:
	.size	_Z16warp_scan_kernelI12hip_bfloat16Lj64ELj8EENSt9enable_ifIXsr10test_utilsE35device_test_enabled_for_warp_size_vIXT1_EEEvE4typeEPT_S5_S5_S4_, .Lfunc_end248-_Z16warp_scan_kernelI12hip_bfloat16Lj64ELj8EENSt9enable_ifIXsr10test_utilsE35device_test_enabled_for_warp_size_vIXT1_EEEvE4typeEPT_S5_S5_S4_
                                        ; -- End function
	.set _Z16warp_scan_kernelI12hip_bfloat16Lj64ELj8EENSt9enable_ifIXsr10test_utilsE35device_test_enabled_for_warp_size_vIXT1_EEEvE4typeEPT_S5_S5_S4_.num_vgpr, 9
	.set _Z16warp_scan_kernelI12hip_bfloat16Lj64ELj8EENSt9enable_ifIXsr10test_utilsE35device_test_enabled_for_warp_size_vIXT1_EEEvE4typeEPT_S5_S5_S4_.num_agpr, 0
	.set _Z16warp_scan_kernelI12hip_bfloat16Lj64ELj8EENSt9enable_ifIXsr10test_utilsE35device_test_enabled_for_warp_size_vIXT1_EEEvE4typeEPT_S5_S5_S4_.numbered_sgpr, 12
	.set _Z16warp_scan_kernelI12hip_bfloat16Lj64ELj8EENSt9enable_ifIXsr10test_utilsE35device_test_enabled_for_warp_size_vIXT1_EEEvE4typeEPT_S5_S5_S4_.num_named_barrier, 0
	.set _Z16warp_scan_kernelI12hip_bfloat16Lj64ELj8EENSt9enable_ifIXsr10test_utilsE35device_test_enabled_for_warp_size_vIXT1_EEEvE4typeEPT_S5_S5_S4_.private_seg_size, 0
	.set _Z16warp_scan_kernelI12hip_bfloat16Lj64ELj8EENSt9enable_ifIXsr10test_utilsE35device_test_enabled_for_warp_size_vIXT1_EEEvE4typeEPT_S5_S5_S4_.uses_vcc, 1
	.set _Z16warp_scan_kernelI12hip_bfloat16Lj64ELj8EENSt9enable_ifIXsr10test_utilsE35device_test_enabled_for_warp_size_vIXT1_EEEvE4typeEPT_S5_S5_S4_.uses_flat_scratch, 0
	.set _Z16warp_scan_kernelI12hip_bfloat16Lj64ELj8EENSt9enable_ifIXsr10test_utilsE35device_test_enabled_for_warp_size_vIXT1_EEEvE4typeEPT_S5_S5_S4_.has_dyn_sized_stack, 0
	.set _Z16warp_scan_kernelI12hip_bfloat16Lj64ELj8EENSt9enable_ifIXsr10test_utilsE35device_test_enabled_for_warp_size_vIXT1_EEEvE4typeEPT_S5_S5_S4_.has_recursion, 0
	.set _Z16warp_scan_kernelI12hip_bfloat16Lj64ELj8EENSt9enable_ifIXsr10test_utilsE35device_test_enabled_for_warp_size_vIXT1_EEEvE4typeEPT_S5_S5_S4_.has_indirect_call, 0
	.section	.AMDGPU.csdata,"",@progbits
; Kernel info:
; codeLenInByte = 728
; TotalNumSgprs: 16
; NumVgprs: 9
; ScratchSize: 0
; MemoryBound: 0
; FloatMode: 240
; IeeeMode: 1
; LDSByteSize: 0 bytes/workgroup (compile time only)
; SGPRBlocks: 1
; VGPRBlocks: 2
; NumSGPRsForWavesPerEU: 16
; NumVGPRsForWavesPerEU: 9
; Occupancy: 10
; WaveLimiterHint : 0
; COMPUTE_PGM_RSRC2:SCRATCH_EN: 0
; COMPUTE_PGM_RSRC2:USER_SGPR: 6
; COMPUTE_PGM_RSRC2:TRAP_HANDLER: 0
; COMPUTE_PGM_RSRC2:TGID_X_EN: 1
; COMPUTE_PGM_RSRC2:TGID_Y_EN: 0
; COMPUTE_PGM_RSRC2:TGID_Z_EN: 0
; COMPUTE_PGM_RSRC2:TIDIG_COMP_CNT: 0
	.section	.text._Z16warp_scan_kernelI12hip_bfloat16Lj32ELj4EENSt9enable_ifIXsr10test_utilsE35device_test_enabled_for_warp_size_vIXT1_EEEvE4typeEPT_S5_S5_S4_,"axG",@progbits,_Z16warp_scan_kernelI12hip_bfloat16Lj32ELj4EENSt9enable_ifIXsr10test_utilsE35device_test_enabled_for_warp_size_vIXT1_EEEvE4typeEPT_S5_S5_S4_,comdat
	.protected	_Z16warp_scan_kernelI12hip_bfloat16Lj32ELj4EENSt9enable_ifIXsr10test_utilsE35device_test_enabled_for_warp_size_vIXT1_EEEvE4typeEPT_S5_S5_S4_ ; -- Begin function _Z16warp_scan_kernelI12hip_bfloat16Lj32ELj4EENSt9enable_ifIXsr10test_utilsE35device_test_enabled_for_warp_size_vIXT1_EEEvE4typeEPT_S5_S5_S4_
	.globl	_Z16warp_scan_kernelI12hip_bfloat16Lj32ELj4EENSt9enable_ifIXsr10test_utilsE35device_test_enabled_for_warp_size_vIXT1_EEEvE4typeEPT_S5_S5_S4_
	.p2align	8
	.type	_Z16warp_scan_kernelI12hip_bfloat16Lj32ELj4EENSt9enable_ifIXsr10test_utilsE35device_test_enabled_for_warp_size_vIXT1_EEEvE4typeEPT_S5_S5_S4_,@function
_Z16warp_scan_kernelI12hip_bfloat16Lj32ELj4EENSt9enable_ifIXsr10test_utilsE35device_test_enabled_for_warp_size_vIXT1_EEEvE4typeEPT_S5_S5_S4_: ; @_Z16warp_scan_kernelI12hip_bfloat16Lj32ELj4EENSt9enable_ifIXsr10test_utilsE35device_test_enabled_for_warp_size_vIXT1_EEEvE4typeEPT_S5_S5_S4_
; %bb.0:
	s_load_dword s0, s[4:5], 0x2c
	s_load_dwordx4 s[8:11], s[4:5], 0x0
	v_mov_b32_e32 v1, 0
                                        ; implicit-def: $vgpr6
	s_waitcnt lgkmcnt(0)
	s_and_b32 s0, s0, 0xffff
	s_mul_i32 s6, s6, s0
	v_add_u32_e32 v0, s6, v0
	v_lshlrev_b64 v[0:1], 1, v[0:1]
	v_mov_b32_e32 v3, s9
	v_add_co_u32_e32 v2, vcc, s8, v0
	v_addc_co_u32_e32 v3, vcc, v3, v1, vcc
	global_load_ushort v3, v[2:3], off
	s_mov_b32 s0, 0x7f800000
	s_waitcnt vmcnt(0)
	v_lshlrev_b32_e32 v5, 16, v3
	v_mov_b32_dpp v2, v3 row_shr:1 row_mask:0xf bank_mask:0xf
	v_lshlrev_b32_e32 v2, 16, v2
	v_add_f32_e32 v2, v5, v2
	v_and_b32_e32 v4, 0x7f800000, v2
	v_cmp_ne_u32_e32 vcc, s0, v4
	s_and_saveexec_b64 s[0:1], vcc
	s_xor_b64 s[0:1], exec, s[0:1]
; %bb.1:
	v_bfe_u32 v4, v2, 16, 1
	s_movk_i32 s2, 0x7fff
	v_add3_u32 v6, v2, v4, s2
                                        ; implicit-def: $vgpr2
; %bb.2:
	s_andn2_saveexec_b64 s[0:1], s[0:1]
; %bb.3:
	v_mov_b32_e32 v4, 0
	v_or_b32_e32 v6, 0x10000, v2
	v_cmp_eq_u32_sdwa vcc, v2, v4 src0_sel:WORD_0 src1_sel:DWORD
	v_cndmask_b32_e32 v6, v6, v2, vcc
; %bb.4:
	s_or_b64 exec, exec, s[0:1]
	v_mbcnt_lo_u32_b32 v2, -1, 0
	v_mbcnt_hi_u32_b32 v2, -1, v2
	v_and_b32_e32 v4, 3, v2
	v_and_b32_e32 v7, 0xffff0000, v6
	v_lshrrev_b32_e32 v6, 16, v6
	v_cmp_eq_u32_e64 s[0:1], 0, v4
	v_cndmask_b32_e64 v3, v6, v3, s[0:1]
	v_cndmask_b32_e64 v5, v7, v5, s[0:1]
	s_mov_b32 s2, 0x7f800000
	v_mov_b32_dpp v6, v3 row_shr:2 row_mask:0xf bank_mask:0xf
	v_lshlrev_b32_e32 v6, 16, v6
	v_add_f32_e32 v6, v5, v6
	v_and_b32_e32 v5, 0x7f800000, v6
	v_cmp_ne_u32_e32 vcc, s2, v5
                                        ; implicit-def: $vgpr5
	s_and_saveexec_b64 s[2:3], vcc
	s_xor_b64 s[2:3], exec, s[2:3]
; %bb.5:
	v_bfe_u32 v5, v6, 16, 1
	s_movk_i32 s6, 0x7fff
	v_add3_u32 v5, v6, v5, s6
                                        ; implicit-def: $vgpr6
; %bb.6:
	s_andn2_saveexec_b64 s[2:3], s[2:3]
; %bb.7:
	v_mov_b32_e32 v5, 0
	v_or_b32_e32 v7, 0x10000, v6
	v_cmp_eq_u32_sdwa vcc, v6, v5 src0_sel:WORD_0 src1_sel:DWORD
	v_cndmask_b32_e32 v5, v7, v6, vcc
; %bb.8:
	s_or_b64 exec, exec, s[2:3]
	s_load_dword s8, s[4:5], 0x18
	v_cmp_lt_u32_e32 vcc, 1, v4
	v_cndmask_b32_sdwa v3, v3, v5, vcc dst_sel:WORD_1 dst_unused:UNUSED_PAD src0_sel:DWORD src1_sel:WORD_1
	s_mov_b32 s2, 0x7f800000
                                        ; implicit-def: $vgpr5
	s_waitcnt lgkmcnt(0)
	s_lshl_b32 s3, s8, 16
	v_add_f32_e32 v3, s3, v3
	v_and_b32_e32 v4, 0x7f800000, v3
	v_cmp_ne_u32_e32 vcc, s2, v4
	v_bfe_u32 v4, v3, 16, 1
	s_and_saveexec_b64 s[2:3], vcc
	s_xor_b64 s[2:3], exec, s[2:3]
; %bb.9:
	s_movk_i32 s6, 0x7fff
	v_add3_u32 v5, v3, v4, s6
; %bb.10:
	s_or_saveexec_b64 s[6:7], s[2:3]
	s_load_dwordx2 s[4:5], s[4:5], 0x10
	s_xor_b64 exec, exec, s[6:7]
; %bb.11:
	v_mov_b32_e32 v5, 0
	v_or_b32_e32 v6, 0x10000, v3
	v_cmp_eq_u32_sdwa s[2:3], v3, v5 src0_sel:WORD_0 src1_sel:DWORD
	v_cndmask_b32_e64 v5, v6, v3, s[2:3]
; %bb.12:
	s_or_b64 exec, exec, s[6:7]
	v_add_u32_e32 v6, -1, v2
	v_and_b32_e32 v7, 0x7c, v2
	v_cmp_lt_i32_e64 s[2:3], v6, v7
	v_cndmask_b32_e64 v2, v6, v2, s[2:3]
	v_lshrrev_b32_e32 v5, 16, v5
	v_lshlrev_b32_e32 v2, 2, v2
	ds_bpermute_b32 v2, v2, v5
                                        ; implicit-def: $vgpr5
	s_and_saveexec_b64 s[2:3], vcc
	s_xor_b64 s[2:3], exec, s[2:3]
; %bb.13:
	s_movk_i32 s6, 0x7fff
	v_add3_u32 v5, v3, v4, s6
                                        ; implicit-def: $vgpr3
; %bb.14:
	s_andn2_saveexec_b64 s[2:3], s[2:3]
; %bb.15:
	v_mov_b32_e32 v4, 0
	v_or_b32_e32 v5, 0x10000, v3
	v_cmp_eq_u32_sdwa vcc, v3, v4 src0_sel:WORD_0 src1_sel:DWORD
	v_cndmask_b32_e32 v5, v5, v3, vcc
; %bb.16:
	s_or_b64 exec, exec, s[2:3]
	v_mov_b32_e32 v3, s8
	s_waitcnt lgkmcnt(0)
	v_cndmask_b32_e64 v4, v2, v3, s[0:1]
	v_mov_b32_e32 v3, s11
	v_add_co_u32_e32 v2, vcc, s10, v0
	v_addc_co_u32_e32 v3, vcc, v3, v1, vcc
	global_store_short_d16_hi v[2:3], v5, off
	v_mov_b32_e32 v2, s5
	v_add_co_u32_e32 v0, vcc, s4, v0
	v_addc_co_u32_e32 v1, vcc, v2, v1, vcc
	global_store_short v[0:1], v4, off
	s_endpgm
	.section	.rodata,"a",@progbits
	.p2align	6, 0x0
	.amdhsa_kernel _Z16warp_scan_kernelI12hip_bfloat16Lj32ELj4EENSt9enable_ifIXsr10test_utilsE35device_test_enabled_for_warp_size_vIXT1_EEEvE4typeEPT_S5_S5_S4_
		.amdhsa_group_segment_fixed_size 0
		.amdhsa_private_segment_fixed_size 0
		.amdhsa_kernarg_size 288
		.amdhsa_user_sgpr_count 6
		.amdhsa_user_sgpr_private_segment_buffer 1
		.amdhsa_user_sgpr_dispatch_ptr 0
		.amdhsa_user_sgpr_queue_ptr 0
		.amdhsa_user_sgpr_kernarg_segment_ptr 1
		.amdhsa_user_sgpr_dispatch_id 0
		.amdhsa_user_sgpr_flat_scratch_init 0
		.amdhsa_user_sgpr_private_segment_size 0
		.amdhsa_uses_dynamic_stack 0
		.amdhsa_system_sgpr_private_segment_wavefront_offset 0
		.amdhsa_system_sgpr_workgroup_id_x 1
		.amdhsa_system_sgpr_workgroup_id_y 0
		.amdhsa_system_sgpr_workgroup_id_z 0
		.amdhsa_system_sgpr_workgroup_info 0
		.amdhsa_system_vgpr_workitem_id 0
		.amdhsa_next_free_vgpr 8
		.amdhsa_next_free_sgpr 12
		.amdhsa_reserve_vcc 1
		.amdhsa_reserve_flat_scratch 0
		.amdhsa_float_round_mode_32 0
		.amdhsa_float_round_mode_16_64 0
		.amdhsa_float_denorm_mode_32 3
		.amdhsa_float_denorm_mode_16_64 3
		.amdhsa_dx10_clamp 1
		.amdhsa_ieee_mode 1
		.amdhsa_fp16_overflow 0
		.amdhsa_exception_fp_ieee_invalid_op 0
		.amdhsa_exception_fp_denorm_src 0
		.amdhsa_exception_fp_ieee_div_zero 0
		.amdhsa_exception_fp_ieee_overflow 0
		.amdhsa_exception_fp_ieee_underflow 0
		.amdhsa_exception_fp_ieee_inexact 0
		.amdhsa_exception_int_div_zero 0
	.end_amdhsa_kernel
	.section	.text._Z16warp_scan_kernelI12hip_bfloat16Lj32ELj4EENSt9enable_ifIXsr10test_utilsE35device_test_enabled_for_warp_size_vIXT1_EEEvE4typeEPT_S5_S5_S4_,"axG",@progbits,_Z16warp_scan_kernelI12hip_bfloat16Lj32ELj4EENSt9enable_ifIXsr10test_utilsE35device_test_enabled_for_warp_size_vIXT1_EEEvE4typeEPT_S5_S5_S4_,comdat
.Lfunc_end249:
	.size	_Z16warp_scan_kernelI12hip_bfloat16Lj32ELj4EENSt9enable_ifIXsr10test_utilsE35device_test_enabled_for_warp_size_vIXT1_EEEvE4typeEPT_S5_S5_S4_, .Lfunc_end249-_Z16warp_scan_kernelI12hip_bfloat16Lj32ELj4EENSt9enable_ifIXsr10test_utilsE35device_test_enabled_for_warp_size_vIXT1_EEEvE4typeEPT_S5_S5_S4_
                                        ; -- End function
	.set _Z16warp_scan_kernelI12hip_bfloat16Lj32ELj4EENSt9enable_ifIXsr10test_utilsE35device_test_enabled_for_warp_size_vIXT1_EEEvE4typeEPT_S5_S5_S4_.num_vgpr, 8
	.set _Z16warp_scan_kernelI12hip_bfloat16Lj32ELj4EENSt9enable_ifIXsr10test_utilsE35device_test_enabled_for_warp_size_vIXT1_EEEvE4typeEPT_S5_S5_S4_.num_agpr, 0
	.set _Z16warp_scan_kernelI12hip_bfloat16Lj32ELj4EENSt9enable_ifIXsr10test_utilsE35device_test_enabled_for_warp_size_vIXT1_EEEvE4typeEPT_S5_S5_S4_.numbered_sgpr, 12
	.set _Z16warp_scan_kernelI12hip_bfloat16Lj32ELj4EENSt9enable_ifIXsr10test_utilsE35device_test_enabled_for_warp_size_vIXT1_EEEvE4typeEPT_S5_S5_S4_.num_named_barrier, 0
	.set _Z16warp_scan_kernelI12hip_bfloat16Lj32ELj4EENSt9enable_ifIXsr10test_utilsE35device_test_enabled_for_warp_size_vIXT1_EEEvE4typeEPT_S5_S5_S4_.private_seg_size, 0
	.set _Z16warp_scan_kernelI12hip_bfloat16Lj32ELj4EENSt9enable_ifIXsr10test_utilsE35device_test_enabled_for_warp_size_vIXT1_EEEvE4typeEPT_S5_S5_S4_.uses_vcc, 1
	.set _Z16warp_scan_kernelI12hip_bfloat16Lj32ELj4EENSt9enable_ifIXsr10test_utilsE35device_test_enabled_for_warp_size_vIXT1_EEEvE4typeEPT_S5_S5_S4_.uses_flat_scratch, 0
	.set _Z16warp_scan_kernelI12hip_bfloat16Lj32ELj4EENSt9enable_ifIXsr10test_utilsE35device_test_enabled_for_warp_size_vIXT1_EEEvE4typeEPT_S5_S5_S4_.has_dyn_sized_stack, 0
	.set _Z16warp_scan_kernelI12hip_bfloat16Lj32ELj4EENSt9enable_ifIXsr10test_utilsE35device_test_enabled_for_warp_size_vIXT1_EEEvE4typeEPT_S5_S5_S4_.has_recursion, 0
	.set _Z16warp_scan_kernelI12hip_bfloat16Lj32ELj4EENSt9enable_ifIXsr10test_utilsE35device_test_enabled_for_warp_size_vIXT1_EEEvE4typeEPT_S5_S5_S4_.has_indirect_call, 0
	.section	.AMDGPU.csdata,"",@progbits
; Kernel info:
; codeLenInByte = 608
; TotalNumSgprs: 16
; NumVgprs: 8
; ScratchSize: 0
; MemoryBound: 0
; FloatMode: 240
; IeeeMode: 1
; LDSByteSize: 0 bytes/workgroup (compile time only)
; SGPRBlocks: 1
; VGPRBlocks: 1
; NumSGPRsForWavesPerEU: 16
; NumVGPRsForWavesPerEU: 8
; Occupancy: 10
; WaveLimiterHint : 0
; COMPUTE_PGM_RSRC2:SCRATCH_EN: 0
; COMPUTE_PGM_RSRC2:USER_SGPR: 6
; COMPUTE_PGM_RSRC2:TRAP_HANDLER: 0
; COMPUTE_PGM_RSRC2:TGID_X_EN: 1
; COMPUTE_PGM_RSRC2:TGID_Y_EN: 0
; COMPUTE_PGM_RSRC2:TGID_Z_EN: 0
; COMPUTE_PGM_RSRC2:TIDIG_COMP_CNT: 0
	.section	.text._Z16warp_scan_kernelI12hip_bfloat16Lj64ELj4EENSt9enable_ifIXsr10test_utilsE35device_test_enabled_for_warp_size_vIXT1_EEEvE4typeEPT_S5_S5_S4_,"axG",@progbits,_Z16warp_scan_kernelI12hip_bfloat16Lj64ELj4EENSt9enable_ifIXsr10test_utilsE35device_test_enabled_for_warp_size_vIXT1_EEEvE4typeEPT_S5_S5_S4_,comdat
	.protected	_Z16warp_scan_kernelI12hip_bfloat16Lj64ELj4EENSt9enable_ifIXsr10test_utilsE35device_test_enabled_for_warp_size_vIXT1_EEEvE4typeEPT_S5_S5_S4_ ; -- Begin function _Z16warp_scan_kernelI12hip_bfloat16Lj64ELj4EENSt9enable_ifIXsr10test_utilsE35device_test_enabled_for_warp_size_vIXT1_EEEvE4typeEPT_S5_S5_S4_
	.globl	_Z16warp_scan_kernelI12hip_bfloat16Lj64ELj4EENSt9enable_ifIXsr10test_utilsE35device_test_enabled_for_warp_size_vIXT1_EEEvE4typeEPT_S5_S5_S4_
	.p2align	8
	.type	_Z16warp_scan_kernelI12hip_bfloat16Lj64ELj4EENSt9enable_ifIXsr10test_utilsE35device_test_enabled_for_warp_size_vIXT1_EEEvE4typeEPT_S5_S5_S4_,@function
_Z16warp_scan_kernelI12hip_bfloat16Lj64ELj4EENSt9enable_ifIXsr10test_utilsE35device_test_enabled_for_warp_size_vIXT1_EEEvE4typeEPT_S5_S5_S4_: ; @_Z16warp_scan_kernelI12hip_bfloat16Lj64ELj4EENSt9enable_ifIXsr10test_utilsE35device_test_enabled_for_warp_size_vIXT1_EEEvE4typeEPT_S5_S5_S4_
; %bb.0:
	s_load_dword s0, s[4:5], 0x2c
	s_load_dwordx4 s[8:11], s[4:5], 0x0
	v_mov_b32_e32 v1, 0
                                        ; implicit-def: $vgpr6
	s_waitcnt lgkmcnt(0)
	s_and_b32 s0, s0, 0xffff
	s_mul_i32 s6, s6, s0
	v_add_u32_e32 v0, s6, v0
	v_lshlrev_b64 v[0:1], 1, v[0:1]
	v_mov_b32_e32 v3, s9
	v_add_co_u32_e32 v2, vcc, s8, v0
	v_addc_co_u32_e32 v3, vcc, v3, v1, vcc
	global_load_ushort v3, v[2:3], off
	s_mov_b32 s0, 0x7f800000
	s_waitcnt vmcnt(0)
	v_lshlrev_b32_e32 v5, 16, v3
	v_mov_b32_dpp v2, v3 row_shr:1 row_mask:0xf bank_mask:0xf
	v_lshlrev_b32_e32 v2, 16, v2
	v_add_f32_e32 v2, v5, v2
	v_and_b32_e32 v4, 0x7f800000, v2
	v_cmp_ne_u32_e32 vcc, s0, v4
	s_and_saveexec_b64 s[0:1], vcc
	s_xor_b64 s[0:1], exec, s[0:1]
; %bb.1:
	v_bfe_u32 v4, v2, 16, 1
	s_movk_i32 s2, 0x7fff
	v_add3_u32 v6, v2, v4, s2
                                        ; implicit-def: $vgpr2
; %bb.2:
	s_andn2_saveexec_b64 s[0:1], s[0:1]
; %bb.3:
	v_mov_b32_e32 v4, 0
	v_or_b32_e32 v6, 0x10000, v2
	v_cmp_eq_u32_sdwa vcc, v2, v4 src0_sel:WORD_0 src1_sel:DWORD
	v_cndmask_b32_e32 v6, v6, v2, vcc
; %bb.4:
	s_or_b64 exec, exec, s[0:1]
	v_mbcnt_lo_u32_b32 v2, -1, 0
	v_mbcnt_hi_u32_b32 v2, -1, v2
	v_and_b32_e32 v4, 3, v2
	v_and_b32_e32 v7, 0xffff0000, v6
	v_lshrrev_b32_e32 v6, 16, v6
	v_cmp_eq_u32_e64 s[0:1], 0, v4
	v_cndmask_b32_e64 v3, v6, v3, s[0:1]
	v_cndmask_b32_e64 v5, v7, v5, s[0:1]
	s_mov_b32 s2, 0x7f800000
	v_mov_b32_dpp v6, v3 row_shr:2 row_mask:0xf bank_mask:0xf
	v_lshlrev_b32_e32 v6, 16, v6
	v_add_f32_e32 v6, v5, v6
	v_and_b32_e32 v5, 0x7f800000, v6
	v_cmp_ne_u32_e32 vcc, s2, v5
                                        ; implicit-def: $vgpr5
	s_and_saveexec_b64 s[2:3], vcc
	s_xor_b64 s[2:3], exec, s[2:3]
; %bb.5:
	v_bfe_u32 v5, v6, 16, 1
	s_movk_i32 s6, 0x7fff
	v_add3_u32 v5, v6, v5, s6
                                        ; implicit-def: $vgpr6
; %bb.6:
	s_andn2_saveexec_b64 s[2:3], s[2:3]
; %bb.7:
	v_mov_b32_e32 v5, 0
	v_or_b32_e32 v7, 0x10000, v6
	v_cmp_eq_u32_sdwa vcc, v6, v5 src0_sel:WORD_0 src1_sel:DWORD
	v_cndmask_b32_e32 v5, v7, v6, vcc
; %bb.8:
	s_or_b64 exec, exec, s[2:3]
	s_load_dword s8, s[4:5], 0x18
	v_cmp_lt_u32_e32 vcc, 1, v4
	v_cndmask_b32_sdwa v3, v3, v5, vcc dst_sel:WORD_1 dst_unused:UNUSED_PAD src0_sel:DWORD src1_sel:WORD_1
	s_mov_b32 s2, 0x7f800000
                                        ; implicit-def: $vgpr5
	s_waitcnt lgkmcnt(0)
	s_lshl_b32 s3, s8, 16
	v_add_f32_e32 v3, s3, v3
	v_and_b32_e32 v4, 0x7f800000, v3
	v_cmp_ne_u32_e32 vcc, s2, v4
	v_bfe_u32 v4, v3, 16, 1
	s_and_saveexec_b64 s[2:3], vcc
	s_xor_b64 s[2:3], exec, s[2:3]
; %bb.9:
	s_movk_i32 s6, 0x7fff
	v_add3_u32 v5, v3, v4, s6
; %bb.10:
	s_or_saveexec_b64 s[6:7], s[2:3]
	s_load_dwordx2 s[4:5], s[4:5], 0x10
	s_xor_b64 exec, exec, s[6:7]
; %bb.11:
	v_mov_b32_e32 v5, 0
	v_or_b32_e32 v6, 0x10000, v3
	v_cmp_eq_u32_sdwa s[2:3], v3, v5 src0_sel:WORD_0 src1_sel:DWORD
	v_cndmask_b32_e64 v5, v6, v3, s[2:3]
; %bb.12:
	s_or_b64 exec, exec, s[6:7]
	v_add_u32_e32 v6, -1, v2
	v_and_b32_e32 v7, 0x7c, v2
	v_cmp_lt_i32_e64 s[2:3], v6, v7
	v_cndmask_b32_e64 v2, v6, v2, s[2:3]
	v_lshrrev_b32_e32 v5, 16, v5
	v_lshlrev_b32_e32 v2, 2, v2
	ds_bpermute_b32 v2, v2, v5
                                        ; implicit-def: $vgpr5
	s_and_saveexec_b64 s[2:3], vcc
	s_xor_b64 s[2:3], exec, s[2:3]
; %bb.13:
	s_movk_i32 s6, 0x7fff
	v_add3_u32 v5, v3, v4, s6
                                        ; implicit-def: $vgpr3
; %bb.14:
	s_andn2_saveexec_b64 s[2:3], s[2:3]
; %bb.15:
	v_mov_b32_e32 v4, 0
	v_or_b32_e32 v5, 0x10000, v3
	v_cmp_eq_u32_sdwa vcc, v3, v4 src0_sel:WORD_0 src1_sel:DWORD
	v_cndmask_b32_e32 v5, v5, v3, vcc
; %bb.16:
	s_or_b64 exec, exec, s[2:3]
	v_mov_b32_e32 v3, s8
	s_waitcnt lgkmcnt(0)
	v_cndmask_b32_e64 v4, v2, v3, s[0:1]
	v_mov_b32_e32 v3, s11
	v_add_co_u32_e32 v2, vcc, s10, v0
	v_addc_co_u32_e32 v3, vcc, v3, v1, vcc
	global_store_short_d16_hi v[2:3], v5, off
	v_mov_b32_e32 v2, s5
	v_add_co_u32_e32 v0, vcc, s4, v0
	v_addc_co_u32_e32 v1, vcc, v2, v1, vcc
	global_store_short v[0:1], v4, off
	s_endpgm
	.section	.rodata,"a",@progbits
	.p2align	6, 0x0
	.amdhsa_kernel _Z16warp_scan_kernelI12hip_bfloat16Lj64ELj4EENSt9enable_ifIXsr10test_utilsE35device_test_enabled_for_warp_size_vIXT1_EEEvE4typeEPT_S5_S5_S4_
		.amdhsa_group_segment_fixed_size 0
		.amdhsa_private_segment_fixed_size 0
		.amdhsa_kernarg_size 288
		.amdhsa_user_sgpr_count 6
		.amdhsa_user_sgpr_private_segment_buffer 1
		.amdhsa_user_sgpr_dispatch_ptr 0
		.amdhsa_user_sgpr_queue_ptr 0
		.amdhsa_user_sgpr_kernarg_segment_ptr 1
		.amdhsa_user_sgpr_dispatch_id 0
		.amdhsa_user_sgpr_flat_scratch_init 0
		.amdhsa_user_sgpr_private_segment_size 0
		.amdhsa_uses_dynamic_stack 0
		.amdhsa_system_sgpr_private_segment_wavefront_offset 0
		.amdhsa_system_sgpr_workgroup_id_x 1
		.amdhsa_system_sgpr_workgroup_id_y 0
		.amdhsa_system_sgpr_workgroup_id_z 0
		.amdhsa_system_sgpr_workgroup_info 0
		.amdhsa_system_vgpr_workitem_id 0
		.amdhsa_next_free_vgpr 8
		.amdhsa_next_free_sgpr 12
		.amdhsa_reserve_vcc 1
		.amdhsa_reserve_flat_scratch 0
		.amdhsa_float_round_mode_32 0
		.amdhsa_float_round_mode_16_64 0
		.amdhsa_float_denorm_mode_32 3
		.amdhsa_float_denorm_mode_16_64 3
		.amdhsa_dx10_clamp 1
		.amdhsa_ieee_mode 1
		.amdhsa_fp16_overflow 0
		.amdhsa_exception_fp_ieee_invalid_op 0
		.amdhsa_exception_fp_denorm_src 0
		.amdhsa_exception_fp_ieee_div_zero 0
		.amdhsa_exception_fp_ieee_overflow 0
		.amdhsa_exception_fp_ieee_underflow 0
		.amdhsa_exception_fp_ieee_inexact 0
		.amdhsa_exception_int_div_zero 0
	.end_amdhsa_kernel
	.section	.text._Z16warp_scan_kernelI12hip_bfloat16Lj64ELj4EENSt9enable_ifIXsr10test_utilsE35device_test_enabled_for_warp_size_vIXT1_EEEvE4typeEPT_S5_S5_S4_,"axG",@progbits,_Z16warp_scan_kernelI12hip_bfloat16Lj64ELj4EENSt9enable_ifIXsr10test_utilsE35device_test_enabled_for_warp_size_vIXT1_EEEvE4typeEPT_S5_S5_S4_,comdat
.Lfunc_end250:
	.size	_Z16warp_scan_kernelI12hip_bfloat16Lj64ELj4EENSt9enable_ifIXsr10test_utilsE35device_test_enabled_for_warp_size_vIXT1_EEEvE4typeEPT_S5_S5_S4_, .Lfunc_end250-_Z16warp_scan_kernelI12hip_bfloat16Lj64ELj4EENSt9enable_ifIXsr10test_utilsE35device_test_enabled_for_warp_size_vIXT1_EEEvE4typeEPT_S5_S5_S4_
                                        ; -- End function
	.set _Z16warp_scan_kernelI12hip_bfloat16Lj64ELj4EENSt9enable_ifIXsr10test_utilsE35device_test_enabled_for_warp_size_vIXT1_EEEvE4typeEPT_S5_S5_S4_.num_vgpr, 8
	.set _Z16warp_scan_kernelI12hip_bfloat16Lj64ELj4EENSt9enable_ifIXsr10test_utilsE35device_test_enabled_for_warp_size_vIXT1_EEEvE4typeEPT_S5_S5_S4_.num_agpr, 0
	.set _Z16warp_scan_kernelI12hip_bfloat16Lj64ELj4EENSt9enable_ifIXsr10test_utilsE35device_test_enabled_for_warp_size_vIXT1_EEEvE4typeEPT_S5_S5_S4_.numbered_sgpr, 12
	.set _Z16warp_scan_kernelI12hip_bfloat16Lj64ELj4EENSt9enable_ifIXsr10test_utilsE35device_test_enabled_for_warp_size_vIXT1_EEEvE4typeEPT_S5_S5_S4_.num_named_barrier, 0
	.set _Z16warp_scan_kernelI12hip_bfloat16Lj64ELj4EENSt9enable_ifIXsr10test_utilsE35device_test_enabled_for_warp_size_vIXT1_EEEvE4typeEPT_S5_S5_S4_.private_seg_size, 0
	.set _Z16warp_scan_kernelI12hip_bfloat16Lj64ELj4EENSt9enable_ifIXsr10test_utilsE35device_test_enabled_for_warp_size_vIXT1_EEEvE4typeEPT_S5_S5_S4_.uses_vcc, 1
	.set _Z16warp_scan_kernelI12hip_bfloat16Lj64ELj4EENSt9enable_ifIXsr10test_utilsE35device_test_enabled_for_warp_size_vIXT1_EEEvE4typeEPT_S5_S5_S4_.uses_flat_scratch, 0
	.set _Z16warp_scan_kernelI12hip_bfloat16Lj64ELj4EENSt9enable_ifIXsr10test_utilsE35device_test_enabled_for_warp_size_vIXT1_EEEvE4typeEPT_S5_S5_S4_.has_dyn_sized_stack, 0
	.set _Z16warp_scan_kernelI12hip_bfloat16Lj64ELj4EENSt9enable_ifIXsr10test_utilsE35device_test_enabled_for_warp_size_vIXT1_EEEvE4typeEPT_S5_S5_S4_.has_recursion, 0
	.set _Z16warp_scan_kernelI12hip_bfloat16Lj64ELj4EENSt9enable_ifIXsr10test_utilsE35device_test_enabled_for_warp_size_vIXT1_EEEvE4typeEPT_S5_S5_S4_.has_indirect_call, 0
	.section	.AMDGPU.csdata,"",@progbits
; Kernel info:
; codeLenInByte = 608
; TotalNumSgprs: 16
; NumVgprs: 8
; ScratchSize: 0
; MemoryBound: 0
; FloatMode: 240
; IeeeMode: 1
; LDSByteSize: 0 bytes/workgroup (compile time only)
; SGPRBlocks: 1
; VGPRBlocks: 1
; NumSGPRsForWavesPerEU: 16
; NumVGPRsForWavesPerEU: 8
; Occupancy: 10
; WaveLimiterHint : 0
; COMPUTE_PGM_RSRC2:SCRATCH_EN: 0
; COMPUTE_PGM_RSRC2:USER_SGPR: 6
; COMPUTE_PGM_RSRC2:TRAP_HANDLER: 0
; COMPUTE_PGM_RSRC2:TGID_X_EN: 1
; COMPUTE_PGM_RSRC2:TGID_Y_EN: 0
; COMPUTE_PGM_RSRC2:TGID_Z_EN: 0
; COMPUTE_PGM_RSRC2:TIDIG_COMP_CNT: 0
	.section	.text._Z16warp_scan_kernelI12hip_bfloat16Lj32ELj2EENSt9enable_ifIXsr10test_utilsE35device_test_enabled_for_warp_size_vIXT1_EEEvE4typeEPT_S5_S5_S4_,"axG",@progbits,_Z16warp_scan_kernelI12hip_bfloat16Lj32ELj2EENSt9enable_ifIXsr10test_utilsE35device_test_enabled_for_warp_size_vIXT1_EEEvE4typeEPT_S5_S5_S4_,comdat
	.protected	_Z16warp_scan_kernelI12hip_bfloat16Lj32ELj2EENSt9enable_ifIXsr10test_utilsE35device_test_enabled_for_warp_size_vIXT1_EEEvE4typeEPT_S5_S5_S4_ ; -- Begin function _Z16warp_scan_kernelI12hip_bfloat16Lj32ELj2EENSt9enable_ifIXsr10test_utilsE35device_test_enabled_for_warp_size_vIXT1_EEEvE4typeEPT_S5_S5_S4_
	.globl	_Z16warp_scan_kernelI12hip_bfloat16Lj32ELj2EENSt9enable_ifIXsr10test_utilsE35device_test_enabled_for_warp_size_vIXT1_EEEvE4typeEPT_S5_S5_S4_
	.p2align	8
	.type	_Z16warp_scan_kernelI12hip_bfloat16Lj32ELj2EENSt9enable_ifIXsr10test_utilsE35device_test_enabled_for_warp_size_vIXT1_EEEvE4typeEPT_S5_S5_S4_,@function
_Z16warp_scan_kernelI12hip_bfloat16Lj32ELj2EENSt9enable_ifIXsr10test_utilsE35device_test_enabled_for_warp_size_vIXT1_EEEvE4typeEPT_S5_S5_S4_: ; @_Z16warp_scan_kernelI12hip_bfloat16Lj32ELj2EENSt9enable_ifIXsr10test_utilsE35device_test_enabled_for_warp_size_vIXT1_EEEvE4typeEPT_S5_S5_S4_
; %bb.0:
	s_load_dword s7, s[4:5], 0x2c
	s_load_dwordx4 s[0:3], s[4:5], 0x0
	v_mov_b32_e32 v1, 0
	s_waitcnt lgkmcnt(0)
	s_and_b32 s7, s7, 0xffff
	s_mul_i32 s6, s6, s7
	v_add_u32_e32 v0, s6, v0
	v_lshlrev_b64 v[0:1], 1, v[0:1]
	v_mov_b32_e32 v3, s1
	v_add_co_u32_e32 v2, vcc, s0, v0
	v_addc_co_u32_e32 v3, vcc, v3, v1, vcc
	global_load_ushort v2, v[2:3], off
	s_mov_b32 s0, 0x7f800000
	s_waitcnt vmcnt(0)
	v_and_b32_e32 v3, 0xffff, v2
	s_nop 1
	v_mov_b32_dpp v3, v3 row_shr:1 row_mask:0xf bank_mask:0xf
	v_lshlrev_b32_e32 v5, 16, v2
	v_lshlrev_b32_e32 v3, 16, v3
	v_add_f32_e32 v4, v5, v3
	v_and_b32_e32 v3, 0x7f800000, v4
	v_cmp_ne_u32_e32 vcc, s0, v3
                                        ; implicit-def: $vgpr3
	s_and_saveexec_b64 s[0:1], vcc
	s_xor_b64 s[0:1], exec, s[0:1]
; %bb.1:
	v_bfe_u32 v3, v4, 16, 1
	s_movk_i32 s6, 0x7fff
	v_add3_u32 v3, v4, v3, s6
                                        ; implicit-def: $vgpr4
; %bb.2:
	s_andn2_saveexec_b64 s[0:1], s[0:1]
; %bb.3:
	v_mov_b32_e32 v3, 0
	v_or_b32_e32 v6, 0x10000, v4
	v_cmp_eq_u32_sdwa vcc, v4, v3 src0_sel:WORD_0 src1_sel:DWORD
	v_cndmask_b32_e32 v3, v6, v4, vcc
; %bb.4:
	s_or_b64 exec, exec, s[0:1]
	s_load_dword s8, s[4:5], 0x18
	v_mbcnt_lo_u32_b32 v4, -1, 0
	v_mbcnt_hi_u32_b32 v4, -1, v4
	v_and_b32_e32 v6, 1, v4
	v_and_b32_e32 v7, 0xffff0000, v3
	v_cmp_eq_u32_e32 vcc, 0, v6
	v_cndmask_b32_e32 v5, v7, v5, vcc
	s_waitcnt lgkmcnt(0)
	s_lshl_b32 s9, s8, 16
	v_add_f32_e32 v5, s9, v5
	s_mov_b32 s0, 0x7f800000
	v_and_b32_e32 v6, 0x7f800000, v5
	v_cmp_ne_u32_e64 s[0:1], s0, v6
                                        ; implicit-def: $vgpr6
	s_and_saveexec_b64 s[6:7], s[0:1]
	s_xor_b64 s[0:1], exec, s[6:7]
; %bb.5:
	v_bfe_u32 v6, v5, 16, 1
	s_movk_i32 s6, 0x7fff
	v_add3_u32 v6, v5, v6, s6
                                        ; implicit-def: $vgpr5
; %bb.6:
	s_or_saveexec_b64 s[6:7], s[0:1]
	s_load_dwordx2 s[4:5], s[4:5], 0x10
	s_xor_b64 exec, exec, s[6:7]
; %bb.7:
	v_mov_b32_e32 v6, 0
	v_or_b32_e32 v7, 0x10000, v5
	v_cmp_eq_u32_sdwa s[0:1], v5, v6 src0_sel:WORD_0 src1_sel:DWORD
	v_cndmask_b32_e64 v6, v7, v5, s[0:1]
; %bb.8:
	s_or_b64 exec, exec, s[6:7]
	v_cndmask_b32_sdwa v3, v3, v2, vcc dst_sel:WORD_1 dst_unused:UNUSED_PAD src0_sel:WORD_1 src1_sel:DWORD
	v_lshrrev_b32_e32 v2, 16, v6
	v_add_u32_e32 v5, -1, v4
	v_and_b32_e32 v6, 0x7e, v4
	v_cmp_lt_i32_e64 s[0:1], v5, v6
	v_cndmask_b32_e64 v4, v5, v4, s[0:1]
	v_lshlrev_b32_e32 v4, 2, v4
	ds_bpermute_b32 v2, v4, v2
	v_add_f32_e32 v4, s9, v3
	s_mov_b32 s0, 0x7f800000
	v_and_b32_e32 v3, 0x7f800000, v4
	v_cmp_ne_u32_e64 s[0:1], s0, v3
                                        ; implicit-def: $vgpr3
	s_and_saveexec_b64 s[6:7], s[0:1]
	s_xor_b64 s[0:1], exec, s[6:7]
; %bb.9:
	v_bfe_u32 v3, v4, 16, 1
	s_movk_i32 s6, 0x7fff
	v_add3_u32 v3, v4, v3, s6
                                        ; implicit-def: $vgpr4
; %bb.10:
	s_andn2_saveexec_b64 s[6:7], s[0:1]
; %bb.11:
	v_mov_b32_e32 v3, 0
	v_or_b32_e32 v5, 0x10000, v4
	v_cmp_eq_u32_sdwa s[0:1], v4, v3 src0_sel:WORD_0 src1_sel:DWORD
	v_cndmask_b32_e64 v3, v5, v4, s[0:1]
; %bb.12:
	s_or_b64 exec, exec, s[6:7]
	v_mov_b32_e32 v4, s8
	s_waitcnt lgkmcnt(0)
	v_cndmask_b32_e32 v2, v2, v4, vcc
	v_mov_b32_e32 v5, s3
	v_add_co_u32_e32 v4, vcc, s2, v0
	v_addc_co_u32_e32 v5, vcc, v5, v1, vcc
	global_store_short_d16_hi v[4:5], v3, off
	v_mov_b32_e32 v3, s5
	v_add_co_u32_e32 v0, vcc, s4, v0
	v_addc_co_u32_e32 v1, vcc, v3, v1, vcc
	global_store_short v[0:1], v2, off
	s_endpgm
	.section	.rodata,"a",@progbits
	.p2align	6, 0x0
	.amdhsa_kernel _Z16warp_scan_kernelI12hip_bfloat16Lj32ELj2EENSt9enable_ifIXsr10test_utilsE35device_test_enabled_for_warp_size_vIXT1_EEEvE4typeEPT_S5_S5_S4_
		.amdhsa_group_segment_fixed_size 0
		.amdhsa_private_segment_fixed_size 0
		.amdhsa_kernarg_size 288
		.amdhsa_user_sgpr_count 6
		.amdhsa_user_sgpr_private_segment_buffer 1
		.amdhsa_user_sgpr_dispatch_ptr 0
		.amdhsa_user_sgpr_queue_ptr 0
		.amdhsa_user_sgpr_kernarg_segment_ptr 1
		.amdhsa_user_sgpr_dispatch_id 0
		.amdhsa_user_sgpr_flat_scratch_init 0
		.amdhsa_user_sgpr_private_segment_size 0
		.amdhsa_uses_dynamic_stack 0
		.amdhsa_system_sgpr_private_segment_wavefront_offset 0
		.amdhsa_system_sgpr_workgroup_id_x 1
		.amdhsa_system_sgpr_workgroup_id_y 0
		.amdhsa_system_sgpr_workgroup_id_z 0
		.amdhsa_system_sgpr_workgroup_info 0
		.amdhsa_system_vgpr_workitem_id 0
		.amdhsa_next_free_vgpr 8
		.amdhsa_next_free_sgpr 10
		.amdhsa_reserve_vcc 1
		.amdhsa_reserve_flat_scratch 0
		.amdhsa_float_round_mode_32 0
		.amdhsa_float_round_mode_16_64 0
		.amdhsa_float_denorm_mode_32 3
		.amdhsa_float_denorm_mode_16_64 3
		.amdhsa_dx10_clamp 1
		.amdhsa_ieee_mode 1
		.amdhsa_fp16_overflow 0
		.amdhsa_exception_fp_ieee_invalid_op 0
		.amdhsa_exception_fp_denorm_src 0
		.amdhsa_exception_fp_ieee_div_zero 0
		.amdhsa_exception_fp_ieee_overflow 0
		.amdhsa_exception_fp_ieee_underflow 0
		.amdhsa_exception_fp_ieee_inexact 0
		.amdhsa_exception_int_div_zero 0
	.end_amdhsa_kernel
	.section	.text._Z16warp_scan_kernelI12hip_bfloat16Lj32ELj2EENSt9enable_ifIXsr10test_utilsE35device_test_enabled_for_warp_size_vIXT1_EEEvE4typeEPT_S5_S5_S4_,"axG",@progbits,_Z16warp_scan_kernelI12hip_bfloat16Lj32ELj2EENSt9enable_ifIXsr10test_utilsE35device_test_enabled_for_warp_size_vIXT1_EEEvE4typeEPT_S5_S5_S4_,comdat
.Lfunc_end251:
	.size	_Z16warp_scan_kernelI12hip_bfloat16Lj32ELj2EENSt9enable_ifIXsr10test_utilsE35device_test_enabled_for_warp_size_vIXT1_EEEvE4typeEPT_S5_S5_S4_, .Lfunc_end251-_Z16warp_scan_kernelI12hip_bfloat16Lj32ELj2EENSt9enable_ifIXsr10test_utilsE35device_test_enabled_for_warp_size_vIXT1_EEEvE4typeEPT_S5_S5_S4_
                                        ; -- End function
	.set _Z16warp_scan_kernelI12hip_bfloat16Lj32ELj2EENSt9enable_ifIXsr10test_utilsE35device_test_enabled_for_warp_size_vIXT1_EEEvE4typeEPT_S5_S5_S4_.num_vgpr, 8
	.set _Z16warp_scan_kernelI12hip_bfloat16Lj32ELj2EENSt9enable_ifIXsr10test_utilsE35device_test_enabled_for_warp_size_vIXT1_EEEvE4typeEPT_S5_S5_S4_.num_agpr, 0
	.set _Z16warp_scan_kernelI12hip_bfloat16Lj32ELj2EENSt9enable_ifIXsr10test_utilsE35device_test_enabled_for_warp_size_vIXT1_EEEvE4typeEPT_S5_S5_S4_.numbered_sgpr, 10
	.set _Z16warp_scan_kernelI12hip_bfloat16Lj32ELj2EENSt9enable_ifIXsr10test_utilsE35device_test_enabled_for_warp_size_vIXT1_EEEvE4typeEPT_S5_S5_S4_.num_named_barrier, 0
	.set _Z16warp_scan_kernelI12hip_bfloat16Lj32ELj2EENSt9enable_ifIXsr10test_utilsE35device_test_enabled_for_warp_size_vIXT1_EEEvE4typeEPT_S5_S5_S4_.private_seg_size, 0
	.set _Z16warp_scan_kernelI12hip_bfloat16Lj32ELj2EENSt9enable_ifIXsr10test_utilsE35device_test_enabled_for_warp_size_vIXT1_EEEvE4typeEPT_S5_S5_S4_.uses_vcc, 1
	.set _Z16warp_scan_kernelI12hip_bfloat16Lj32ELj2EENSt9enable_ifIXsr10test_utilsE35device_test_enabled_for_warp_size_vIXT1_EEEvE4typeEPT_S5_S5_S4_.uses_flat_scratch, 0
	.set _Z16warp_scan_kernelI12hip_bfloat16Lj32ELj2EENSt9enable_ifIXsr10test_utilsE35device_test_enabled_for_warp_size_vIXT1_EEEvE4typeEPT_S5_S5_S4_.has_dyn_sized_stack, 0
	.set _Z16warp_scan_kernelI12hip_bfloat16Lj32ELj2EENSt9enable_ifIXsr10test_utilsE35device_test_enabled_for_warp_size_vIXT1_EEEvE4typeEPT_S5_S5_S4_.has_recursion, 0
	.set _Z16warp_scan_kernelI12hip_bfloat16Lj32ELj2EENSt9enable_ifIXsr10test_utilsE35device_test_enabled_for_warp_size_vIXT1_EEEvE4typeEPT_S5_S5_S4_.has_indirect_call, 0
	.section	.AMDGPU.csdata,"",@progbits
; Kernel info:
; codeLenInByte = 540
; TotalNumSgprs: 14
; NumVgprs: 8
; ScratchSize: 0
; MemoryBound: 0
; FloatMode: 240
; IeeeMode: 1
; LDSByteSize: 0 bytes/workgroup (compile time only)
; SGPRBlocks: 1
; VGPRBlocks: 1
; NumSGPRsForWavesPerEU: 14
; NumVGPRsForWavesPerEU: 8
; Occupancy: 10
; WaveLimiterHint : 0
; COMPUTE_PGM_RSRC2:SCRATCH_EN: 0
; COMPUTE_PGM_RSRC2:USER_SGPR: 6
; COMPUTE_PGM_RSRC2:TRAP_HANDLER: 0
; COMPUTE_PGM_RSRC2:TGID_X_EN: 1
; COMPUTE_PGM_RSRC2:TGID_Y_EN: 0
; COMPUTE_PGM_RSRC2:TGID_Z_EN: 0
; COMPUTE_PGM_RSRC2:TIDIG_COMP_CNT: 0
	.section	.text._Z16warp_scan_kernelI12hip_bfloat16Lj64ELj2EENSt9enable_ifIXsr10test_utilsE35device_test_enabled_for_warp_size_vIXT1_EEEvE4typeEPT_S5_S5_S4_,"axG",@progbits,_Z16warp_scan_kernelI12hip_bfloat16Lj64ELj2EENSt9enable_ifIXsr10test_utilsE35device_test_enabled_for_warp_size_vIXT1_EEEvE4typeEPT_S5_S5_S4_,comdat
	.protected	_Z16warp_scan_kernelI12hip_bfloat16Lj64ELj2EENSt9enable_ifIXsr10test_utilsE35device_test_enabled_for_warp_size_vIXT1_EEEvE4typeEPT_S5_S5_S4_ ; -- Begin function _Z16warp_scan_kernelI12hip_bfloat16Lj64ELj2EENSt9enable_ifIXsr10test_utilsE35device_test_enabled_for_warp_size_vIXT1_EEEvE4typeEPT_S5_S5_S4_
	.globl	_Z16warp_scan_kernelI12hip_bfloat16Lj64ELj2EENSt9enable_ifIXsr10test_utilsE35device_test_enabled_for_warp_size_vIXT1_EEEvE4typeEPT_S5_S5_S4_
	.p2align	8
	.type	_Z16warp_scan_kernelI12hip_bfloat16Lj64ELj2EENSt9enable_ifIXsr10test_utilsE35device_test_enabled_for_warp_size_vIXT1_EEEvE4typeEPT_S5_S5_S4_,@function
_Z16warp_scan_kernelI12hip_bfloat16Lj64ELj2EENSt9enable_ifIXsr10test_utilsE35device_test_enabled_for_warp_size_vIXT1_EEEvE4typeEPT_S5_S5_S4_: ; @_Z16warp_scan_kernelI12hip_bfloat16Lj64ELj2EENSt9enable_ifIXsr10test_utilsE35device_test_enabled_for_warp_size_vIXT1_EEEvE4typeEPT_S5_S5_S4_
; %bb.0:
	s_load_dword s7, s[4:5], 0x2c
	s_load_dwordx4 s[0:3], s[4:5], 0x0
	v_mov_b32_e32 v1, 0
	s_waitcnt lgkmcnt(0)
	s_and_b32 s7, s7, 0xffff
	s_mul_i32 s6, s6, s7
	v_add_u32_e32 v0, s6, v0
	v_lshlrev_b64 v[0:1], 1, v[0:1]
	v_mov_b32_e32 v3, s1
	v_add_co_u32_e32 v2, vcc, s0, v0
	v_addc_co_u32_e32 v3, vcc, v3, v1, vcc
	global_load_ushort v2, v[2:3], off
	s_mov_b32 s0, 0x7f800000
	s_waitcnt vmcnt(0)
	v_and_b32_e32 v3, 0xffff, v2
	s_nop 1
	v_mov_b32_dpp v3, v3 row_shr:1 row_mask:0xf bank_mask:0xf
	v_lshlrev_b32_e32 v5, 16, v2
	v_lshlrev_b32_e32 v3, 16, v3
	v_add_f32_e32 v4, v5, v3
	v_and_b32_e32 v3, 0x7f800000, v4
	v_cmp_ne_u32_e32 vcc, s0, v3
                                        ; implicit-def: $vgpr3
	s_and_saveexec_b64 s[0:1], vcc
	s_xor_b64 s[0:1], exec, s[0:1]
; %bb.1:
	v_bfe_u32 v3, v4, 16, 1
	s_movk_i32 s6, 0x7fff
	v_add3_u32 v3, v4, v3, s6
                                        ; implicit-def: $vgpr4
; %bb.2:
	s_andn2_saveexec_b64 s[0:1], s[0:1]
; %bb.3:
	v_mov_b32_e32 v3, 0
	v_or_b32_e32 v6, 0x10000, v4
	v_cmp_eq_u32_sdwa vcc, v4, v3 src0_sel:WORD_0 src1_sel:DWORD
	v_cndmask_b32_e32 v3, v6, v4, vcc
; %bb.4:
	s_or_b64 exec, exec, s[0:1]
	s_load_dword s8, s[4:5], 0x18
	v_mbcnt_lo_u32_b32 v4, -1, 0
	v_mbcnt_hi_u32_b32 v4, -1, v4
	v_and_b32_e32 v6, 1, v4
	v_and_b32_e32 v7, 0xffff0000, v3
	v_cmp_eq_u32_e32 vcc, 0, v6
	v_cndmask_b32_e32 v5, v7, v5, vcc
	s_waitcnt lgkmcnt(0)
	s_lshl_b32 s9, s8, 16
	v_add_f32_e32 v5, s9, v5
	s_mov_b32 s0, 0x7f800000
	v_and_b32_e32 v6, 0x7f800000, v5
	v_cmp_ne_u32_e64 s[0:1], s0, v6
                                        ; implicit-def: $vgpr6
	s_and_saveexec_b64 s[6:7], s[0:1]
	s_xor_b64 s[0:1], exec, s[6:7]
; %bb.5:
	v_bfe_u32 v6, v5, 16, 1
	s_movk_i32 s6, 0x7fff
	v_add3_u32 v6, v5, v6, s6
                                        ; implicit-def: $vgpr5
; %bb.6:
	s_or_saveexec_b64 s[6:7], s[0:1]
	s_load_dwordx2 s[4:5], s[4:5], 0x10
	s_xor_b64 exec, exec, s[6:7]
; %bb.7:
	v_mov_b32_e32 v6, 0
	v_or_b32_e32 v7, 0x10000, v5
	v_cmp_eq_u32_sdwa s[0:1], v5, v6 src0_sel:WORD_0 src1_sel:DWORD
	v_cndmask_b32_e64 v6, v7, v5, s[0:1]
; %bb.8:
	s_or_b64 exec, exec, s[6:7]
	v_cndmask_b32_sdwa v3, v3, v2, vcc dst_sel:WORD_1 dst_unused:UNUSED_PAD src0_sel:WORD_1 src1_sel:DWORD
	v_lshrrev_b32_e32 v2, 16, v6
	v_add_u32_e32 v5, -1, v4
	v_and_b32_e32 v6, 0x7e, v4
	v_cmp_lt_i32_e64 s[0:1], v5, v6
	v_cndmask_b32_e64 v4, v5, v4, s[0:1]
	v_lshlrev_b32_e32 v4, 2, v4
	ds_bpermute_b32 v2, v4, v2
	v_add_f32_e32 v4, s9, v3
	s_mov_b32 s0, 0x7f800000
	v_and_b32_e32 v3, 0x7f800000, v4
	v_cmp_ne_u32_e64 s[0:1], s0, v3
                                        ; implicit-def: $vgpr3
	s_and_saveexec_b64 s[6:7], s[0:1]
	s_xor_b64 s[0:1], exec, s[6:7]
; %bb.9:
	v_bfe_u32 v3, v4, 16, 1
	s_movk_i32 s6, 0x7fff
	v_add3_u32 v3, v4, v3, s6
                                        ; implicit-def: $vgpr4
; %bb.10:
	s_andn2_saveexec_b64 s[6:7], s[0:1]
; %bb.11:
	v_mov_b32_e32 v3, 0
	v_or_b32_e32 v5, 0x10000, v4
	v_cmp_eq_u32_sdwa s[0:1], v4, v3 src0_sel:WORD_0 src1_sel:DWORD
	v_cndmask_b32_e64 v3, v5, v4, s[0:1]
; %bb.12:
	s_or_b64 exec, exec, s[6:7]
	v_mov_b32_e32 v4, s8
	s_waitcnt lgkmcnt(0)
	v_cndmask_b32_e32 v2, v2, v4, vcc
	v_mov_b32_e32 v5, s3
	v_add_co_u32_e32 v4, vcc, s2, v0
	v_addc_co_u32_e32 v5, vcc, v5, v1, vcc
	global_store_short_d16_hi v[4:5], v3, off
	v_mov_b32_e32 v3, s5
	v_add_co_u32_e32 v0, vcc, s4, v0
	v_addc_co_u32_e32 v1, vcc, v3, v1, vcc
	global_store_short v[0:1], v2, off
	s_endpgm
	.section	.rodata,"a",@progbits
	.p2align	6, 0x0
	.amdhsa_kernel _Z16warp_scan_kernelI12hip_bfloat16Lj64ELj2EENSt9enable_ifIXsr10test_utilsE35device_test_enabled_for_warp_size_vIXT1_EEEvE4typeEPT_S5_S5_S4_
		.amdhsa_group_segment_fixed_size 0
		.amdhsa_private_segment_fixed_size 0
		.amdhsa_kernarg_size 288
		.amdhsa_user_sgpr_count 6
		.amdhsa_user_sgpr_private_segment_buffer 1
		.amdhsa_user_sgpr_dispatch_ptr 0
		.amdhsa_user_sgpr_queue_ptr 0
		.amdhsa_user_sgpr_kernarg_segment_ptr 1
		.amdhsa_user_sgpr_dispatch_id 0
		.amdhsa_user_sgpr_flat_scratch_init 0
		.amdhsa_user_sgpr_private_segment_size 0
		.amdhsa_uses_dynamic_stack 0
		.amdhsa_system_sgpr_private_segment_wavefront_offset 0
		.amdhsa_system_sgpr_workgroup_id_x 1
		.amdhsa_system_sgpr_workgroup_id_y 0
		.amdhsa_system_sgpr_workgroup_id_z 0
		.amdhsa_system_sgpr_workgroup_info 0
		.amdhsa_system_vgpr_workitem_id 0
		.amdhsa_next_free_vgpr 8
		.amdhsa_next_free_sgpr 10
		.amdhsa_reserve_vcc 1
		.amdhsa_reserve_flat_scratch 0
		.amdhsa_float_round_mode_32 0
		.amdhsa_float_round_mode_16_64 0
		.amdhsa_float_denorm_mode_32 3
		.amdhsa_float_denorm_mode_16_64 3
		.amdhsa_dx10_clamp 1
		.amdhsa_ieee_mode 1
		.amdhsa_fp16_overflow 0
		.amdhsa_exception_fp_ieee_invalid_op 0
		.amdhsa_exception_fp_denorm_src 0
		.amdhsa_exception_fp_ieee_div_zero 0
		.amdhsa_exception_fp_ieee_overflow 0
		.amdhsa_exception_fp_ieee_underflow 0
		.amdhsa_exception_fp_ieee_inexact 0
		.amdhsa_exception_int_div_zero 0
	.end_amdhsa_kernel
	.section	.text._Z16warp_scan_kernelI12hip_bfloat16Lj64ELj2EENSt9enable_ifIXsr10test_utilsE35device_test_enabled_for_warp_size_vIXT1_EEEvE4typeEPT_S5_S5_S4_,"axG",@progbits,_Z16warp_scan_kernelI12hip_bfloat16Lj64ELj2EENSt9enable_ifIXsr10test_utilsE35device_test_enabled_for_warp_size_vIXT1_EEEvE4typeEPT_S5_S5_S4_,comdat
.Lfunc_end252:
	.size	_Z16warp_scan_kernelI12hip_bfloat16Lj64ELj2EENSt9enable_ifIXsr10test_utilsE35device_test_enabled_for_warp_size_vIXT1_EEEvE4typeEPT_S5_S5_S4_, .Lfunc_end252-_Z16warp_scan_kernelI12hip_bfloat16Lj64ELj2EENSt9enable_ifIXsr10test_utilsE35device_test_enabled_for_warp_size_vIXT1_EEEvE4typeEPT_S5_S5_S4_
                                        ; -- End function
	.set _Z16warp_scan_kernelI12hip_bfloat16Lj64ELj2EENSt9enable_ifIXsr10test_utilsE35device_test_enabled_for_warp_size_vIXT1_EEEvE4typeEPT_S5_S5_S4_.num_vgpr, 8
	.set _Z16warp_scan_kernelI12hip_bfloat16Lj64ELj2EENSt9enable_ifIXsr10test_utilsE35device_test_enabled_for_warp_size_vIXT1_EEEvE4typeEPT_S5_S5_S4_.num_agpr, 0
	.set _Z16warp_scan_kernelI12hip_bfloat16Lj64ELj2EENSt9enable_ifIXsr10test_utilsE35device_test_enabled_for_warp_size_vIXT1_EEEvE4typeEPT_S5_S5_S4_.numbered_sgpr, 10
	.set _Z16warp_scan_kernelI12hip_bfloat16Lj64ELj2EENSt9enable_ifIXsr10test_utilsE35device_test_enabled_for_warp_size_vIXT1_EEEvE4typeEPT_S5_S5_S4_.num_named_barrier, 0
	.set _Z16warp_scan_kernelI12hip_bfloat16Lj64ELj2EENSt9enable_ifIXsr10test_utilsE35device_test_enabled_for_warp_size_vIXT1_EEEvE4typeEPT_S5_S5_S4_.private_seg_size, 0
	.set _Z16warp_scan_kernelI12hip_bfloat16Lj64ELj2EENSt9enable_ifIXsr10test_utilsE35device_test_enabled_for_warp_size_vIXT1_EEEvE4typeEPT_S5_S5_S4_.uses_vcc, 1
	.set _Z16warp_scan_kernelI12hip_bfloat16Lj64ELj2EENSt9enable_ifIXsr10test_utilsE35device_test_enabled_for_warp_size_vIXT1_EEEvE4typeEPT_S5_S5_S4_.uses_flat_scratch, 0
	.set _Z16warp_scan_kernelI12hip_bfloat16Lj64ELj2EENSt9enable_ifIXsr10test_utilsE35device_test_enabled_for_warp_size_vIXT1_EEEvE4typeEPT_S5_S5_S4_.has_dyn_sized_stack, 0
	.set _Z16warp_scan_kernelI12hip_bfloat16Lj64ELj2EENSt9enable_ifIXsr10test_utilsE35device_test_enabled_for_warp_size_vIXT1_EEEvE4typeEPT_S5_S5_S4_.has_recursion, 0
	.set _Z16warp_scan_kernelI12hip_bfloat16Lj64ELj2EENSt9enable_ifIXsr10test_utilsE35device_test_enabled_for_warp_size_vIXT1_EEEvE4typeEPT_S5_S5_S4_.has_indirect_call, 0
	.section	.AMDGPU.csdata,"",@progbits
; Kernel info:
; codeLenInByte = 540
; TotalNumSgprs: 14
; NumVgprs: 8
; ScratchSize: 0
; MemoryBound: 0
; FloatMode: 240
; IeeeMode: 1
; LDSByteSize: 0 bytes/workgroup (compile time only)
; SGPRBlocks: 1
; VGPRBlocks: 1
; NumSGPRsForWavesPerEU: 14
; NumVGPRsForWavesPerEU: 8
; Occupancy: 10
; WaveLimiterHint : 0
; COMPUTE_PGM_RSRC2:SCRATCH_EN: 0
; COMPUTE_PGM_RSRC2:USER_SGPR: 6
; COMPUTE_PGM_RSRC2:TRAP_HANDLER: 0
; COMPUTE_PGM_RSRC2:TGID_X_EN: 1
; COMPUTE_PGM_RSRC2:TGID_Y_EN: 0
; COMPUTE_PGM_RSRC2:TGID_Z_EN: 0
; COMPUTE_PGM_RSRC2:TIDIG_COMP_CNT: 0
	.section	.text._Z16warp_scan_kernelI6__halfLj256ELj64EENSt9enable_ifIXsr10test_utilsE35device_test_enabled_for_warp_size_vIXT1_EEEvE4typeEPT_S5_S5_S4_,"axG",@progbits,_Z16warp_scan_kernelI6__halfLj256ELj64EENSt9enable_ifIXsr10test_utilsE35device_test_enabled_for_warp_size_vIXT1_EEEvE4typeEPT_S5_S5_S4_,comdat
	.protected	_Z16warp_scan_kernelI6__halfLj256ELj64EENSt9enable_ifIXsr10test_utilsE35device_test_enabled_for_warp_size_vIXT1_EEEvE4typeEPT_S5_S5_S4_ ; -- Begin function _Z16warp_scan_kernelI6__halfLj256ELj64EENSt9enable_ifIXsr10test_utilsE35device_test_enabled_for_warp_size_vIXT1_EEEvE4typeEPT_S5_S5_S4_
	.globl	_Z16warp_scan_kernelI6__halfLj256ELj64EENSt9enable_ifIXsr10test_utilsE35device_test_enabled_for_warp_size_vIXT1_EEEvE4typeEPT_S5_S5_S4_
	.p2align	8
	.type	_Z16warp_scan_kernelI6__halfLj256ELj64EENSt9enable_ifIXsr10test_utilsE35device_test_enabled_for_warp_size_vIXT1_EEEvE4typeEPT_S5_S5_S4_,@function
_Z16warp_scan_kernelI6__halfLj256ELj64EENSt9enable_ifIXsr10test_utilsE35device_test_enabled_for_warp_size_vIXT1_EEEvE4typeEPT_S5_S5_S4_: ; @_Z16warp_scan_kernelI6__halfLj256ELj64EENSt9enable_ifIXsr10test_utilsE35device_test_enabled_for_warp_size_vIXT1_EEEvE4typeEPT_S5_S5_S4_
; %bb.0:
	s_load_dword s7, s[4:5], 0x2c
	s_load_dwordx4 s[0:3], s[4:5], 0x0
	s_load_dwordx2 s[8:9], s[4:5], 0x10
	v_mov_b32_e32 v1, 0
	s_load_dword s4, s[4:5], 0x18
	s_waitcnt lgkmcnt(0)
	s_and_b32 s7, s7, 0xffff
	s_mul_i32 s6, s6, s7
	v_add_u32_e32 v0, s6, v0
	v_lshlrev_b64 v[0:1], 1, v[0:1]
	v_mov_b32_e32 v3, s1
	v_add_co_u32_e32 v2, vcc, s0, v0
	v_addc_co_u32_e32 v3, vcc, v3, v1, vcc
	global_load_ushort v2, v[2:3], off
	v_mbcnt_lo_u32_b32 v3, -1, 0
	v_mbcnt_hi_u32_b32 v3, -1, v3
	v_and_b32_e32 v6, 64, v3
	v_subrev_co_u32_e32 v8, vcc, 1, v3
	v_cmp_lt_i32_e64 s[0:1], v8, v6
	v_cndmask_b32_e64 v6, v8, v3, s[0:1]
	v_and_b32_e32 v4, 15, v3
	v_cmp_eq_u32_e64 s[0:1], 0, v4
	v_and_b32_e32 v5, 16, v3
	v_lshlrev_b32_e32 v6, 2, v6
	v_mov_b32_e32 v9, s3
	v_mov_b32_e32 v7, s4
	;; [unrolled: 1-line block ×3, first 2 shown]
	s_waitcnt vmcnt(0)
	v_and_b32_e32 v8, 0xffff, v2
	s_nop 1
	v_mov_b32_dpp v8, v8 row_shr:1 row_mask:0xf bank_mask:0xf
	v_add_f16_e32 v8, v2, v8
	v_cndmask_b32_e64 v2, v8, v2, s[0:1]
	v_and_b32_e32 v8, 0xffff, v2
	v_cmp_lt_u32_e64 s[0:1], 1, v4
	s_nop 0
	v_mov_b32_dpp v8, v8 row_shr:2 row_mask:0xf bank_mask:0xf
	v_add_f16_e32 v8, v2, v8
	v_cndmask_b32_e64 v2, v2, v8, s[0:1]
	v_and_b32_e32 v8, 0xffff, v2
	v_cmp_lt_u32_e64 s[0:1], 3, v4
	;; [unrolled: 6-line block ×3, first 2 shown]
	s_nop 0
	v_mov_b32_dpp v8, v8 row_shr:8 row_mask:0xf bank_mask:0xf
	v_add_f16_e32 v8, v2, v8
	v_cndmask_b32_e64 v2, v2, v8, s[0:1]
	v_and_b32_e32 v4, 0xffff, v2
	v_cmp_eq_u32_e64 s[0:1], 0, v5
	s_nop 0
	v_mov_b32_dpp v4, v4 row_bcast:15 row_mask:0xf bank_mask:0xf
	v_add_f16_e32 v4, v2, v4
	v_cndmask_b32_e64 v2, v4, v2, s[0:1]
	v_and_b32_e32 v4, 0xffff, v2
	v_cmp_lt_u32_e64 s[0:1], 31, v3
	s_nop 0
	v_mov_b32_dpp v4, v4 row_bcast:31 row_mask:0xf bank_mask:0xf
	v_add_f16_e32 v4, v2, v4
	v_cndmask_b32_e64 v2, v2, v4, s[0:1]
	v_add_f16_e32 v4, s4, v2
	ds_bpermute_b32 v5, v6, v4
	v_add_co_u32_e64 v2, s[0:1], s2, v0
	v_addc_co_u32_e64 v3, s[0:1], v9, v1, s[0:1]
	global_store_short v[2:3], v4, off
	s_waitcnt lgkmcnt(0)
	v_cndmask_b32_e32 v2, v5, v7, vcc
	v_add_co_u32_e32 v0, vcc, s8, v0
	v_addc_co_u32_e32 v1, vcc, v10, v1, vcc
	global_store_short v[0:1], v2, off
	s_endpgm
	.section	.rodata,"a",@progbits
	.p2align	6, 0x0
	.amdhsa_kernel _Z16warp_scan_kernelI6__halfLj256ELj64EENSt9enable_ifIXsr10test_utilsE35device_test_enabled_for_warp_size_vIXT1_EEEvE4typeEPT_S5_S5_S4_
		.amdhsa_group_segment_fixed_size 0
		.amdhsa_private_segment_fixed_size 0
		.amdhsa_kernarg_size 288
		.amdhsa_user_sgpr_count 6
		.amdhsa_user_sgpr_private_segment_buffer 1
		.amdhsa_user_sgpr_dispatch_ptr 0
		.amdhsa_user_sgpr_queue_ptr 0
		.amdhsa_user_sgpr_kernarg_segment_ptr 1
		.amdhsa_user_sgpr_dispatch_id 0
		.amdhsa_user_sgpr_flat_scratch_init 0
		.amdhsa_user_sgpr_private_segment_size 0
		.amdhsa_uses_dynamic_stack 0
		.amdhsa_system_sgpr_private_segment_wavefront_offset 0
		.amdhsa_system_sgpr_workgroup_id_x 1
		.amdhsa_system_sgpr_workgroup_id_y 0
		.amdhsa_system_sgpr_workgroup_id_z 0
		.amdhsa_system_sgpr_workgroup_info 0
		.amdhsa_system_vgpr_workitem_id 0
		.amdhsa_next_free_vgpr 11
		.amdhsa_next_free_sgpr 10
		.amdhsa_reserve_vcc 1
		.amdhsa_reserve_flat_scratch 0
		.amdhsa_float_round_mode_32 0
		.amdhsa_float_round_mode_16_64 0
		.amdhsa_float_denorm_mode_32 3
		.amdhsa_float_denorm_mode_16_64 3
		.amdhsa_dx10_clamp 1
		.amdhsa_ieee_mode 1
		.amdhsa_fp16_overflow 0
		.amdhsa_exception_fp_ieee_invalid_op 0
		.amdhsa_exception_fp_denorm_src 0
		.amdhsa_exception_fp_ieee_div_zero 0
		.amdhsa_exception_fp_ieee_overflow 0
		.amdhsa_exception_fp_ieee_underflow 0
		.amdhsa_exception_fp_ieee_inexact 0
		.amdhsa_exception_int_div_zero 0
	.end_amdhsa_kernel
	.section	.text._Z16warp_scan_kernelI6__halfLj256ELj64EENSt9enable_ifIXsr10test_utilsE35device_test_enabled_for_warp_size_vIXT1_EEEvE4typeEPT_S5_S5_S4_,"axG",@progbits,_Z16warp_scan_kernelI6__halfLj256ELj64EENSt9enable_ifIXsr10test_utilsE35device_test_enabled_for_warp_size_vIXT1_EEEvE4typeEPT_S5_S5_S4_,comdat
.Lfunc_end253:
	.size	_Z16warp_scan_kernelI6__halfLj256ELj64EENSt9enable_ifIXsr10test_utilsE35device_test_enabled_for_warp_size_vIXT1_EEEvE4typeEPT_S5_S5_S4_, .Lfunc_end253-_Z16warp_scan_kernelI6__halfLj256ELj64EENSt9enable_ifIXsr10test_utilsE35device_test_enabled_for_warp_size_vIXT1_EEEvE4typeEPT_S5_S5_S4_
                                        ; -- End function
	.set _Z16warp_scan_kernelI6__halfLj256ELj64EENSt9enable_ifIXsr10test_utilsE35device_test_enabled_for_warp_size_vIXT1_EEEvE4typeEPT_S5_S5_S4_.num_vgpr, 11
	.set _Z16warp_scan_kernelI6__halfLj256ELj64EENSt9enable_ifIXsr10test_utilsE35device_test_enabled_for_warp_size_vIXT1_EEEvE4typeEPT_S5_S5_S4_.num_agpr, 0
	.set _Z16warp_scan_kernelI6__halfLj256ELj64EENSt9enable_ifIXsr10test_utilsE35device_test_enabled_for_warp_size_vIXT1_EEEvE4typeEPT_S5_S5_S4_.numbered_sgpr, 10
	.set _Z16warp_scan_kernelI6__halfLj256ELj64EENSt9enable_ifIXsr10test_utilsE35device_test_enabled_for_warp_size_vIXT1_EEEvE4typeEPT_S5_S5_S4_.num_named_barrier, 0
	.set _Z16warp_scan_kernelI6__halfLj256ELj64EENSt9enable_ifIXsr10test_utilsE35device_test_enabled_for_warp_size_vIXT1_EEEvE4typeEPT_S5_S5_S4_.private_seg_size, 0
	.set _Z16warp_scan_kernelI6__halfLj256ELj64EENSt9enable_ifIXsr10test_utilsE35device_test_enabled_for_warp_size_vIXT1_EEEvE4typeEPT_S5_S5_S4_.uses_vcc, 1
	.set _Z16warp_scan_kernelI6__halfLj256ELj64EENSt9enable_ifIXsr10test_utilsE35device_test_enabled_for_warp_size_vIXT1_EEEvE4typeEPT_S5_S5_S4_.uses_flat_scratch, 0
	.set _Z16warp_scan_kernelI6__halfLj256ELj64EENSt9enable_ifIXsr10test_utilsE35device_test_enabled_for_warp_size_vIXT1_EEEvE4typeEPT_S5_S5_S4_.has_dyn_sized_stack, 0
	.set _Z16warp_scan_kernelI6__halfLj256ELj64EENSt9enable_ifIXsr10test_utilsE35device_test_enabled_for_warp_size_vIXT1_EEEvE4typeEPT_S5_S5_S4_.has_recursion, 0
	.set _Z16warp_scan_kernelI6__halfLj256ELj64EENSt9enable_ifIXsr10test_utilsE35device_test_enabled_for_warp_size_vIXT1_EEEvE4typeEPT_S5_S5_S4_.has_indirect_call, 0
	.section	.AMDGPU.csdata,"",@progbits
; Kernel info:
; codeLenInByte = 456
; TotalNumSgprs: 14
; NumVgprs: 11
; ScratchSize: 0
; MemoryBound: 0
; FloatMode: 240
; IeeeMode: 1
; LDSByteSize: 0 bytes/workgroup (compile time only)
; SGPRBlocks: 1
; VGPRBlocks: 2
; NumSGPRsForWavesPerEU: 14
; NumVGPRsForWavesPerEU: 11
; Occupancy: 10
; WaveLimiterHint : 0
; COMPUTE_PGM_RSRC2:SCRATCH_EN: 0
; COMPUTE_PGM_RSRC2:USER_SGPR: 6
; COMPUTE_PGM_RSRC2:TRAP_HANDLER: 0
; COMPUTE_PGM_RSRC2:TGID_X_EN: 1
; COMPUTE_PGM_RSRC2:TGID_Y_EN: 0
; COMPUTE_PGM_RSRC2:TGID_Z_EN: 0
; COMPUTE_PGM_RSRC2:TIDIG_COMP_CNT: 0
	.section	.text._Z16warp_scan_kernelI6__halfLj128ELj32EENSt9enable_ifIXsr10test_utilsE35device_test_enabled_for_warp_size_vIXT1_EEEvE4typeEPT_S5_S5_S4_,"axG",@progbits,_Z16warp_scan_kernelI6__halfLj128ELj32EENSt9enable_ifIXsr10test_utilsE35device_test_enabled_for_warp_size_vIXT1_EEEvE4typeEPT_S5_S5_S4_,comdat
	.protected	_Z16warp_scan_kernelI6__halfLj128ELj32EENSt9enable_ifIXsr10test_utilsE35device_test_enabled_for_warp_size_vIXT1_EEEvE4typeEPT_S5_S5_S4_ ; -- Begin function _Z16warp_scan_kernelI6__halfLj128ELj32EENSt9enable_ifIXsr10test_utilsE35device_test_enabled_for_warp_size_vIXT1_EEEvE4typeEPT_S5_S5_S4_
	.globl	_Z16warp_scan_kernelI6__halfLj128ELj32EENSt9enable_ifIXsr10test_utilsE35device_test_enabled_for_warp_size_vIXT1_EEEvE4typeEPT_S5_S5_S4_
	.p2align	8
	.type	_Z16warp_scan_kernelI6__halfLj128ELj32EENSt9enable_ifIXsr10test_utilsE35device_test_enabled_for_warp_size_vIXT1_EEEvE4typeEPT_S5_S5_S4_,@function
_Z16warp_scan_kernelI6__halfLj128ELj32EENSt9enable_ifIXsr10test_utilsE35device_test_enabled_for_warp_size_vIXT1_EEEvE4typeEPT_S5_S5_S4_: ; @_Z16warp_scan_kernelI6__halfLj128ELj32EENSt9enable_ifIXsr10test_utilsE35device_test_enabled_for_warp_size_vIXT1_EEEvE4typeEPT_S5_S5_S4_
; %bb.0:
	s_load_dword s7, s[4:5], 0x2c
	s_load_dwordx4 s[0:3], s[4:5], 0x0
	s_load_dwordx2 s[8:9], s[4:5], 0x10
	v_mov_b32_e32 v1, 0
	s_waitcnt lgkmcnt(0)
	s_and_b32 s7, s7, 0xffff
	s_mul_i32 s6, s6, s7
	v_add_u32_e32 v0, s6, v0
	v_lshlrev_b64 v[0:1], 1, v[0:1]
	v_mov_b32_e32 v3, s1
	v_add_co_u32_e32 v2, vcc, s0, v0
	v_addc_co_u32_e32 v3, vcc, v3, v1, vcc
	global_load_ushort v2, v[2:3], off
	v_mbcnt_lo_u32_b32 v3, -1, 0
	v_mbcnt_hi_u32_b32 v3, -1, v3
	v_add_u32_e32 v6, -1, v3
	v_and_b32_e32 v7, 0x60, v3
	v_and_b32_e32 v4, 15, v3
	v_cmp_lt_i32_e32 vcc, v6, v7
	v_and_b32_e32 v5, 16, v3
	v_and_b32_e32 v8, 31, v3
	v_cndmask_b32_e32 v3, v6, v3, vcc
	v_cmp_eq_u32_e32 vcc, 0, v4
	s_load_dword s0, s[4:5], 0x18
	v_lshlrev_b32_e32 v3, 2, v3
	v_mov_b32_e32 v7, s3
	v_mov_b32_e32 v9, s9
	s_waitcnt lgkmcnt(0)
	v_mov_b32_e32 v6, s0
	s_waitcnt vmcnt(0)
	v_and_b32_e32 v10, 0xffff, v2
	s_nop 1
	v_mov_b32_dpp v10, v10 row_shr:1 row_mask:0xf bank_mask:0xf
	v_add_f16_e32 v10, v2, v10
	v_cndmask_b32_e32 v2, v10, v2, vcc
	v_and_b32_e32 v10, 0xffff, v2
	v_cmp_lt_u32_e32 vcc, 1, v4
	s_nop 0
	v_mov_b32_dpp v10, v10 row_shr:2 row_mask:0xf bank_mask:0xf
	v_add_f16_e32 v10, v2, v10
	v_cndmask_b32_e32 v2, v2, v10, vcc
	v_and_b32_e32 v10, 0xffff, v2
	v_cmp_lt_u32_e32 vcc, 3, v4
	;; [unrolled: 6-line block ×3, first 2 shown]
	s_nop 0
	v_mov_b32_dpp v10, v10 row_shr:8 row_mask:0xf bank_mask:0xf
	v_add_f16_e32 v10, v2, v10
	v_cndmask_b32_e32 v2, v2, v10, vcc
	v_and_b32_e32 v4, 0xffff, v2
	v_cmp_eq_u32_e32 vcc, 0, v5
	s_nop 0
	v_mov_b32_dpp v4, v4 row_bcast:15 row_mask:0xf bank_mask:0xf
	v_add_f16_e32 v4, v2, v4
	v_cndmask_b32_e32 v2, v4, v2, vcc
	v_add_f16_e32 v4, s0, v2
	ds_bpermute_b32 v5, v3, v4
	v_add_co_u32_e32 v2, vcc, s2, v0
	v_addc_co_u32_e32 v3, vcc, v7, v1, vcc
	v_cmp_eq_u32_e32 vcc, 0, v8
	global_store_short v[2:3], v4, off
	s_waitcnt lgkmcnt(0)
	v_cndmask_b32_e32 v2, v5, v6, vcc
	v_add_co_u32_e32 v0, vcc, s8, v0
	v_addc_co_u32_e32 v1, vcc, v9, v1, vcc
	global_store_short v[0:1], v2, off
	s_endpgm
	.section	.rodata,"a",@progbits
	.p2align	6, 0x0
	.amdhsa_kernel _Z16warp_scan_kernelI6__halfLj128ELj32EENSt9enable_ifIXsr10test_utilsE35device_test_enabled_for_warp_size_vIXT1_EEEvE4typeEPT_S5_S5_S4_
		.amdhsa_group_segment_fixed_size 0
		.amdhsa_private_segment_fixed_size 0
		.amdhsa_kernarg_size 288
		.amdhsa_user_sgpr_count 6
		.amdhsa_user_sgpr_private_segment_buffer 1
		.amdhsa_user_sgpr_dispatch_ptr 0
		.amdhsa_user_sgpr_queue_ptr 0
		.amdhsa_user_sgpr_kernarg_segment_ptr 1
		.amdhsa_user_sgpr_dispatch_id 0
		.amdhsa_user_sgpr_flat_scratch_init 0
		.amdhsa_user_sgpr_private_segment_size 0
		.amdhsa_uses_dynamic_stack 0
		.amdhsa_system_sgpr_private_segment_wavefront_offset 0
		.amdhsa_system_sgpr_workgroup_id_x 1
		.amdhsa_system_sgpr_workgroup_id_y 0
		.amdhsa_system_sgpr_workgroup_id_z 0
		.amdhsa_system_sgpr_workgroup_info 0
		.amdhsa_system_vgpr_workitem_id 0
		.amdhsa_next_free_vgpr 11
		.amdhsa_next_free_sgpr 10
		.amdhsa_reserve_vcc 1
		.amdhsa_reserve_flat_scratch 0
		.amdhsa_float_round_mode_32 0
		.amdhsa_float_round_mode_16_64 0
		.amdhsa_float_denorm_mode_32 3
		.amdhsa_float_denorm_mode_16_64 3
		.amdhsa_dx10_clamp 1
		.amdhsa_ieee_mode 1
		.amdhsa_fp16_overflow 0
		.amdhsa_exception_fp_ieee_invalid_op 0
		.amdhsa_exception_fp_denorm_src 0
		.amdhsa_exception_fp_ieee_div_zero 0
		.amdhsa_exception_fp_ieee_overflow 0
		.amdhsa_exception_fp_ieee_underflow 0
		.amdhsa_exception_fp_ieee_inexact 0
		.amdhsa_exception_int_div_zero 0
	.end_amdhsa_kernel
	.section	.text._Z16warp_scan_kernelI6__halfLj128ELj32EENSt9enable_ifIXsr10test_utilsE35device_test_enabled_for_warp_size_vIXT1_EEEvE4typeEPT_S5_S5_S4_,"axG",@progbits,_Z16warp_scan_kernelI6__halfLj128ELj32EENSt9enable_ifIXsr10test_utilsE35device_test_enabled_for_warp_size_vIXT1_EEEvE4typeEPT_S5_S5_S4_,comdat
.Lfunc_end254:
	.size	_Z16warp_scan_kernelI6__halfLj128ELj32EENSt9enable_ifIXsr10test_utilsE35device_test_enabled_for_warp_size_vIXT1_EEEvE4typeEPT_S5_S5_S4_, .Lfunc_end254-_Z16warp_scan_kernelI6__halfLj128ELj32EENSt9enable_ifIXsr10test_utilsE35device_test_enabled_for_warp_size_vIXT1_EEEvE4typeEPT_S5_S5_S4_
                                        ; -- End function
	.set _Z16warp_scan_kernelI6__halfLj128ELj32EENSt9enable_ifIXsr10test_utilsE35device_test_enabled_for_warp_size_vIXT1_EEEvE4typeEPT_S5_S5_S4_.num_vgpr, 11
	.set _Z16warp_scan_kernelI6__halfLj128ELj32EENSt9enable_ifIXsr10test_utilsE35device_test_enabled_for_warp_size_vIXT1_EEEvE4typeEPT_S5_S5_S4_.num_agpr, 0
	.set _Z16warp_scan_kernelI6__halfLj128ELj32EENSt9enable_ifIXsr10test_utilsE35device_test_enabled_for_warp_size_vIXT1_EEEvE4typeEPT_S5_S5_S4_.numbered_sgpr, 10
	.set _Z16warp_scan_kernelI6__halfLj128ELj32EENSt9enable_ifIXsr10test_utilsE35device_test_enabled_for_warp_size_vIXT1_EEEvE4typeEPT_S5_S5_S4_.num_named_barrier, 0
	.set _Z16warp_scan_kernelI6__halfLj128ELj32EENSt9enable_ifIXsr10test_utilsE35device_test_enabled_for_warp_size_vIXT1_EEEvE4typeEPT_S5_S5_S4_.private_seg_size, 0
	.set _Z16warp_scan_kernelI6__halfLj128ELj32EENSt9enable_ifIXsr10test_utilsE35device_test_enabled_for_warp_size_vIXT1_EEEvE4typeEPT_S5_S5_S4_.uses_vcc, 1
	.set _Z16warp_scan_kernelI6__halfLj128ELj32EENSt9enable_ifIXsr10test_utilsE35device_test_enabled_for_warp_size_vIXT1_EEEvE4typeEPT_S5_S5_S4_.uses_flat_scratch, 0
	.set _Z16warp_scan_kernelI6__halfLj128ELj32EENSt9enable_ifIXsr10test_utilsE35device_test_enabled_for_warp_size_vIXT1_EEEvE4typeEPT_S5_S5_S4_.has_dyn_sized_stack, 0
	.set _Z16warp_scan_kernelI6__halfLj128ELj32EENSt9enable_ifIXsr10test_utilsE35device_test_enabled_for_warp_size_vIXT1_EEEvE4typeEPT_S5_S5_S4_.has_recursion, 0
	.set _Z16warp_scan_kernelI6__halfLj128ELj32EENSt9enable_ifIXsr10test_utilsE35device_test_enabled_for_warp_size_vIXT1_EEEvE4typeEPT_S5_S5_S4_.has_indirect_call, 0
	.section	.AMDGPU.csdata,"",@progbits
; Kernel info:
; codeLenInByte = 376
; TotalNumSgprs: 14
; NumVgprs: 11
; ScratchSize: 0
; MemoryBound: 0
; FloatMode: 240
; IeeeMode: 1
; LDSByteSize: 0 bytes/workgroup (compile time only)
; SGPRBlocks: 1
; VGPRBlocks: 2
; NumSGPRsForWavesPerEU: 14
; NumVGPRsForWavesPerEU: 11
; Occupancy: 10
; WaveLimiterHint : 0
; COMPUTE_PGM_RSRC2:SCRATCH_EN: 0
; COMPUTE_PGM_RSRC2:USER_SGPR: 6
; COMPUTE_PGM_RSRC2:TRAP_HANDLER: 0
; COMPUTE_PGM_RSRC2:TGID_X_EN: 1
; COMPUTE_PGM_RSRC2:TGID_Y_EN: 0
; COMPUTE_PGM_RSRC2:TGID_Z_EN: 0
; COMPUTE_PGM_RSRC2:TIDIG_COMP_CNT: 0
	.section	.text._Z16warp_scan_kernelI6__halfLj64ELj16EENSt9enable_ifIXsr10test_utilsE35device_test_enabled_for_warp_size_vIXT1_EEEvE4typeEPT_S5_S5_S4_,"axG",@progbits,_Z16warp_scan_kernelI6__halfLj64ELj16EENSt9enable_ifIXsr10test_utilsE35device_test_enabled_for_warp_size_vIXT1_EEEvE4typeEPT_S5_S5_S4_,comdat
	.protected	_Z16warp_scan_kernelI6__halfLj64ELj16EENSt9enable_ifIXsr10test_utilsE35device_test_enabled_for_warp_size_vIXT1_EEEvE4typeEPT_S5_S5_S4_ ; -- Begin function _Z16warp_scan_kernelI6__halfLj64ELj16EENSt9enable_ifIXsr10test_utilsE35device_test_enabled_for_warp_size_vIXT1_EEEvE4typeEPT_S5_S5_S4_
	.globl	_Z16warp_scan_kernelI6__halfLj64ELj16EENSt9enable_ifIXsr10test_utilsE35device_test_enabled_for_warp_size_vIXT1_EEEvE4typeEPT_S5_S5_S4_
	.p2align	8
	.type	_Z16warp_scan_kernelI6__halfLj64ELj16EENSt9enable_ifIXsr10test_utilsE35device_test_enabled_for_warp_size_vIXT1_EEEvE4typeEPT_S5_S5_S4_,@function
_Z16warp_scan_kernelI6__halfLj64ELj16EENSt9enable_ifIXsr10test_utilsE35device_test_enabled_for_warp_size_vIXT1_EEEvE4typeEPT_S5_S5_S4_: ; @_Z16warp_scan_kernelI6__halfLj64ELj16EENSt9enable_ifIXsr10test_utilsE35device_test_enabled_for_warp_size_vIXT1_EEEvE4typeEPT_S5_S5_S4_
; %bb.0:
	s_load_dword s7, s[4:5], 0x2c
	s_load_dwordx4 s[0:3], s[4:5], 0x0
	s_load_dwordx2 s[8:9], s[4:5], 0x10
	v_mov_b32_e32 v1, 0
	s_load_dword s4, s[4:5], 0x18
	s_waitcnt lgkmcnt(0)
	s_and_b32 s7, s7, 0xffff
	s_mul_i32 s6, s6, s7
	v_add_u32_e32 v0, s6, v0
	v_lshlrev_b64 v[0:1], 1, v[0:1]
	v_mov_b32_e32 v3, s1
	v_add_co_u32_e32 v2, vcc, s0, v0
	v_addc_co_u32_e32 v3, vcc, v3, v1, vcc
	global_load_ushort v2, v[2:3], off
	v_mbcnt_lo_u32_b32 v3, -1, 0
	v_mbcnt_hi_u32_b32 v3, -1, v3
	v_add_u32_e32 v5, -1, v3
	v_and_b32_e32 v6, 0x70, v3
	v_and_b32_e32 v4, 15, v3
	v_cmp_lt_i32_e32 vcc, v5, v6
	v_cndmask_b32_e32 v3, v5, v3, vcc
	v_cmp_eq_u32_e32 vcc, 0, v4
	v_cmp_lt_u32_e64 s[0:1], 1, v4
	v_lshlrev_b32_e32 v3, 2, v3
	v_mov_b32_e32 v6, s3
	v_mov_b32_e32 v5, s4
	;; [unrolled: 1-line block ×3, first 2 shown]
	s_waitcnt vmcnt(0)
	v_and_b32_e32 v8, 0xffff, v2
	s_nop 1
	v_mov_b32_dpp v8, v8 row_shr:1 row_mask:0xf bank_mask:0xf
	v_add_f16_e32 v8, v2, v8
	v_cndmask_b32_e32 v2, v8, v2, vcc
	v_and_b32_e32 v8, 0xffff, v2
	s_nop 1
	v_mov_b32_dpp v8, v8 row_shr:2 row_mask:0xf bank_mask:0xf
	v_add_f16_e32 v8, v2, v8
	v_cndmask_b32_e64 v2, v2, v8, s[0:1]
	v_and_b32_e32 v8, 0xffff, v2
	v_cmp_lt_u32_e64 s[0:1], 3, v4
	s_nop 0
	v_mov_b32_dpp v8, v8 row_shr:4 row_mask:0xf bank_mask:0xf
	v_add_f16_e32 v8, v2, v8
	v_cndmask_b32_e64 v2, v2, v8, s[0:1]
	v_and_b32_e32 v8, 0xffff, v2
	v_cmp_lt_u32_e64 s[0:1], 7, v4
	s_nop 0
	v_mov_b32_dpp v8, v8 row_shr:8 row_mask:0xf bank_mask:0xf
	v_add_f16_e32 v8, v2, v8
	v_cndmask_b32_e64 v2, v2, v8, s[0:1]
	v_add_f16_e32 v4, s4, v2
	ds_bpermute_b32 v8, v3, v4
	v_add_co_u32_e64 v2, s[0:1], s2, v0
	v_addc_co_u32_e64 v3, s[0:1], v6, v1, s[0:1]
	global_store_short v[2:3], v4, off
	s_waitcnt lgkmcnt(0)
	v_cndmask_b32_e32 v2, v8, v5, vcc
	v_add_co_u32_e32 v0, vcc, s8, v0
	v_addc_co_u32_e32 v1, vcc, v7, v1, vcc
	global_store_short v[0:1], v2, off
	s_endpgm
	.section	.rodata,"a",@progbits
	.p2align	6, 0x0
	.amdhsa_kernel _Z16warp_scan_kernelI6__halfLj64ELj16EENSt9enable_ifIXsr10test_utilsE35device_test_enabled_for_warp_size_vIXT1_EEEvE4typeEPT_S5_S5_S4_
		.amdhsa_group_segment_fixed_size 0
		.amdhsa_private_segment_fixed_size 0
		.amdhsa_kernarg_size 288
		.amdhsa_user_sgpr_count 6
		.amdhsa_user_sgpr_private_segment_buffer 1
		.amdhsa_user_sgpr_dispatch_ptr 0
		.amdhsa_user_sgpr_queue_ptr 0
		.amdhsa_user_sgpr_kernarg_segment_ptr 1
		.amdhsa_user_sgpr_dispatch_id 0
		.amdhsa_user_sgpr_flat_scratch_init 0
		.amdhsa_user_sgpr_private_segment_size 0
		.amdhsa_uses_dynamic_stack 0
		.amdhsa_system_sgpr_private_segment_wavefront_offset 0
		.amdhsa_system_sgpr_workgroup_id_x 1
		.amdhsa_system_sgpr_workgroup_id_y 0
		.amdhsa_system_sgpr_workgroup_id_z 0
		.amdhsa_system_sgpr_workgroup_info 0
		.amdhsa_system_vgpr_workitem_id 0
		.amdhsa_next_free_vgpr 9
		.amdhsa_next_free_sgpr 10
		.amdhsa_reserve_vcc 1
		.amdhsa_reserve_flat_scratch 0
		.amdhsa_float_round_mode_32 0
		.amdhsa_float_round_mode_16_64 0
		.amdhsa_float_denorm_mode_32 3
		.amdhsa_float_denorm_mode_16_64 3
		.amdhsa_dx10_clamp 1
		.amdhsa_ieee_mode 1
		.amdhsa_fp16_overflow 0
		.amdhsa_exception_fp_ieee_invalid_op 0
		.amdhsa_exception_fp_denorm_src 0
		.amdhsa_exception_fp_ieee_div_zero 0
		.amdhsa_exception_fp_ieee_overflow 0
		.amdhsa_exception_fp_ieee_underflow 0
		.amdhsa_exception_fp_ieee_inexact 0
		.amdhsa_exception_int_div_zero 0
	.end_amdhsa_kernel
	.section	.text._Z16warp_scan_kernelI6__halfLj64ELj16EENSt9enable_ifIXsr10test_utilsE35device_test_enabled_for_warp_size_vIXT1_EEEvE4typeEPT_S5_S5_S4_,"axG",@progbits,_Z16warp_scan_kernelI6__halfLj64ELj16EENSt9enable_ifIXsr10test_utilsE35device_test_enabled_for_warp_size_vIXT1_EEEvE4typeEPT_S5_S5_S4_,comdat
.Lfunc_end255:
	.size	_Z16warp_scan_kernelI6__halfLj64ELj16EENSt9enable_ifIXsr10test_utilsE35device_test_enabled_for_warp_size_vIXT1_EEEvE4typeEPT_S5_S5_S4_, .Lfunc_end255-_Z16warp_scan_kernelI6__halfLj64ELj16EENSt9enable_ifIXsr10test_utilsE35device_test_enabled_for_warp_size_vIXT1_EEEvE4typeEPT_S5_S5_S4_
                                        ; -- End function
	.set _Z16warp_scan_kernelI6__halfLj64ELj16EENSt9enable_ifIXsr10test_utilsE35device_test_enabled_for_warp_size_vIXT1_EEEvE4typeEPT_S5_S5_S4_.num_vgpr, 9
	.set _Z16warp_scan_kernelI6__halfLj64ELj16EENSt9enable_ifIXsr10test_utilsE35device_test_enabled_for_warp_size_vIXT1_EEEvE4typeEPT_S5_S5_S4_.num_agpr, 0
	.set _Z16warp_scan_kernelI6__halfLj64ELj16EENSt9enable_ifIXsr10test_utilsE35device_test_enabled_for_warp_size_vIXT1_EEEvE4typeEPT_S5_S5_S4_.numbered_sgpr, 10
	.set _Z16warp_scan_kernelI6__halfLj64ELj16EENSt9enable_ifIXsr10test_utilsE35device_test_enabled_for_warp_size_vIXT1_EEEvE4typeEPT_S5_S5_S4_.num_named_barrier, 0
	.set _Z16warp_scan_kernelI6__halfLj64ELj16EENSt9enable_ifIXsr10test_utilsE35device_test_enabled_for_warp_size_vIXT1_EEEvE4typeEPT_S5_S5_S4_.private_seg_size, 0
	.set _Z16warp_scan_kernelI6__halfLj64ELj16EENSt9enable_ifIXsr10test_utilsE35device_test_enabled_for_warp_size_vIXT1_EEEvE4typeEPT_S5_S5_S4_.uses_vcc, 1
	.set _Z16warp_scan_kernelI6__halfLj64ELj16EENSt9enable_ifIXsr10test_utilsE35device_test_enabled_for_warp_size_vIXT1_EEEvE4typeEPT_S5_S5_S4_.uses_flat_scratch, 0
	.set _Z16warp_scan_kernelI6__halfLj64ELj16EENSt9enable_ifIXsr10test_utilsE35device_test_enabled_for_warp_size_vIXT1_EEEvE4typeEPT_S5_S5_S4_.has_dyn_sized_stack, 0
	.set _Z16warp_scan_kernelI6__halfLj64ELj16EENSt9enable_ifIXsr10test_utilsE35device_test_enabled_for_warp_size_vIXT1_EEEvE4typeEPT_S5_S5_S4_.has_recursion, 0
	.set _Z16warp_scan_kernelI6__halfLj64ELj16EENSt9enable_ifIXsr10test_utilsE35device_test_enabled_for_warp_size_vIXT1_EEEvE4typeEPT_S5_S5_S4_.has_indirect_call, 0
	.section	.AMDGPU.csdata,"",@progbits
; Kernel info:
; codeLenInByte = 360
; TotalNumSgprs: 14
; NumVgprs: 9
; ScratchSize: 0
; MemoryBound: 0
; FloatMode: 240
; IeeeMode: 1
; LDSByteSize: 0 bytes/workgroup (compile time only)
; SGPRBlocks: 1
; VGPRBlocks: 2
; NumSGPRsForWavesPerEU: 14
; NumVGPRsForWavesPerEU: 9
; Occupancy: 10
; WaveLimiterHint : 0
; COMPUTE_PGM_RSRC2:SCRATCH_EN: 0
; COMPUTE_PGM_RSRC2:USER_SGPR: 6
; COMPUTE_PGM_RSRC2:TRAP_HANDLER: 0
; COMPUTE_PGM_RSRC2:TGID_X_EN: 1
; COMPUTE_PGM_RSRC2:TGID_Y_EN: 0
; COMPUTE_PGM_RSRC2:TGID_Z_EN: 0
; COMPUTE_PGM_RSRC2:TIDIG_COMP_CNT: 0
	.section	.text._Z16warp_scan_kernelI6__halfLj32ELj8EENSt9enable_ifIXsr10test_utilsE35device_test_enabled_for_warp_size_vIXT1_EEEvE4typeEPT_S5_S5_S4_,"axG",@progbits,_Z16warp_scan_kernelI6__halfLj32ELj8EENSt9enable_ifIXsr10test_utilsE35device_test_enabled_for_warp_size_vIXT1_EEEvE4typeEPT_S5_S5_S4_,comdat
	.protected	_Z16warp_scan_kernelI6__halfLj32ELj8EENSt9enable_ifIXsr10test_utilsE35device_test_enabled_for_warp_size_vIXT1_EEEvE4typeEPT_S5_S5_S4_ ; -- Begin function _Z16warp_scan_kernelI6__halfLj32ELj8EENSt9enable_ifIXsr10test_utilsE35device_test_enabled_for_warp_size_vIXT1_EEEvE4typeEPT_S5_S5_S4_
	.globl	_Z16warp_scan_kernelI6__halfLj32ELj8EENSt9enable_ifIXsr10test_utilsE35device_test_enabled_for_warp_size_vIXT1_EEEvE4typeEPT_S5_S5_S4_
	.p2align	8
	.type	_Z16warp_scan_kernelI6__halfLj32ELj8EENSt9enable_ifIXsr10test_utilsE35device_test_enabled_for_warp_size_vIXT1_EEEvE4typeEPT_S5_S5_S4_,@function
_Z16warp_scan_kernelI6__halfLj32ELj8EENSt9enable_ifIXsr10test_utilsE35device_test_enabled_for_warp_size_vIXT1_EEEvE4typeEPT_S5_S5_S4_: ; @_Z16warp_scan_kernelI6__halfLj32ELj8EENSt9enable_ifIXsr10test_utilsE35device_test_enabled_for_warp_size_vIXT1_EEEvE4typeEPT_S5_S5_S4_
; %bb.0:
	s_load_dword s7, s[4:5], 0x2c
	s_load_dwordx4 s[0:3], s[4:5], 0x0
	s_load_dwordx2 s[8:9], s[4:5], 0x10
	v_mov_b32_e32 v1, 0
	s_load_dword s4, s[4:5], 0x18
	s_waitcnt lgkmcnt(0)
	s_and_b32 s7, s7, 0xffff
	s_mul_i32 s6, s6, s7
	v_add_u32_e32 v0, s6, v0
	v_lshlrev_b64 v[0:1], 1, v[0:1]
	v_mov_b32_e32 v3, s1
	v_add_co_u32_e32 v2, vcc, s0, v0
	v_addc_co_u32_e32 v3, vcc, v3, v1, vcc
	global_load_ushort v2, v[2:3], off
	v_mbcnt_lo_u32_b32 v3, -1, 0
	v_mbcnt_hi_u32_b32 v3, -1, v3
	v_add_u32_e32 v5, -1, v3
	v_and_b32_e32 v6, 0x78, v3
	v_and_b32_e32 v4, 7, v3
	v_cmp_lt_i32_e32 vcc, v5, v6
	v_cndmask_b32_e32 v3, v5, v3, vcc
	v_cmp_eq_u32_e32 vcc, 0, v4
	v_cmp_lt_u32_e64 s[0:1], 1, v4
	v_lshlrev_b32_e32 v3, 2, v3
	v_mov_b32_e32 v6, s3
	v_mov_b32_e32 v5, s4
	v_mov_b32_e32 v7, s9
	s_waitcnt vmcnt(0)
	v_and_b32_e32 v8, 0xffff, v2
	s_nop 1
	v_mov_b32_dpp v8, v8 row_shr:1 row_mask:0xf bank_mask:0xf
	v_add_f16_e32 v8, v2, v8
	v_cndmask_b32_e32 v2, v8, v2, vcc
	v_and_b32_e32 v8, 0xffff, v2
	s_nop 1
	v_mov_b32_dpp v8, v8 row_shr:2 row_mask:0xf bank_mask:0xf
	v_add_f16_e32 v8, v2, v8
	v_cndmask_b32_e64 v2, v2, v8, s[0:1]
	v_and_b32_e32 v8, 0xffff, v2
	v_cmp_lt_u32_e64 s[0:1], 3, v4
	s_nop 0
	v_mov_b32_dpp v8, v8 row_shr:4 row_mask:0xf bank_mask:0xf
	v_add_f16_e32 v8, v2, v8
	v_cndmask_b32_e64 v2, v2, v8, s[0:1]
	v_add_f16_e32 v4, s4, v2
	ds_bpermute_b32 v8, v3, v4
	v_add_co_u32_e64 v2, s[0:1], s2, v0
	v_addc_co_u32_e64 v3, s[0:1], v6, v1, s[0:1]
	global_store_short v[2:3], v4, off
	s_waitcnt lgkmcnt(0)
	v_cndmask_b32_e32 v2, v8, v5, vcc
	v_add_co_u32_e32 v0, vcc, s8, v0
	v_addc_co_u32_e32 v1, vcc, v7, v1, vcc
	global_store_short v[0:1], v2, off
	s_endpgm
	.section	.rodata,"a",@progbits
	.p2align	6, 0x0
	.amdhsa_kernel _Z16warp_scan_kernelI6__halfLj32ELj8EENSt9enable_ifIXsr10test_utilsE35device_test_enabled_for_warp_size_vIXT1_EEEvE4typeEPT_S5_S5_S4_
		.amdhsa_group_segment_fixed_size 0
		.amdhsa_private_segment_fixed_size 0
		.amdhsa_kernarg_size 288
		.amdhsa_user_sgpr_count 6
		.amdhsa_user_sgpr_private_segment_buffer 1
		.amdhsa_user_sgpr_dispatch_ptr 0
		.amdhsa_user_sgpr_queue_ptr 0
		.amdhsa_user_sgpr_kernarg_segment_ptr 1
		.amdhsa_user_sgpr_dispatch_id 0
		.amdhsa_user_sgpr_flat_scratch_init 0
		.amdhsa_user_sgpr_private_segment_size 0
		.amdhsa_uses_dynamic_stack 0
		.amdhsa_system_sgpr_private_segment_wavefront_offset 0
		.amdhsa_system_sgpr_workgroup_id_x 1
		.amdhsa_system_sgpr_workgroup_id_y 0
		.amdhsa_system_sgpr_workgroup_id_z 0
		.amdhsa_system_sgpr_workgroup_info 0
		.amdhsa_system_vgpr_workitem_id 0
		.amdhsa_next_free_vgpr 9
		.amdhsa_next_free_sgpr 10
		.amdhsa_reserve_vcc 1
		.amdhsa_reserve_flat_scratch 0
		.amdhsa_float_round_mode_32 0
		.amdhsa_float_round_mode_16_64 0
		.amdhsa_float_denorm_mode_32 3
		.amdhsa_float_denorm_mode_16_64 3
		.amdhsa_dx10_clamp 1
		.amdhsa_ieee_mode 1
		.amdhsa_fp16_overflow 0
		.amdhsa_exception_fp_ieee_invalid_op 0
		.amdhsa_exception_fp_denorm_src 0
		.amdhsa_exception_fp_ieee_div_zero 0
		.amdhsa_exception_fp_ieee_overflow 0
		.amdhsa_exception_fp_ieee_underflow 0
		.amdhsa_exception_fp_ieee_inexact 0
		.amdhsa_exception_int_div_zero 0
	.end_amdhsa_kernel
	.section	.text._Z16warp_scan_kernelI6__halfLj32ELj8EENSt9enable_ifIXsr10test_utilsE35device_test_enabled_for_warp_size_vIXT1_EEEvE4typeEPT_S5_S5_S4_,"axG",@progbits,_Z16warp_scan_kernelI6__halfLj32ELj8EENSt9enable_ifIXsr10test_utilsE35device_test_enabled_for_warp_size_vIXT1_EEEvE4typeEPT_S5_S5_S4_,comdat
.Lfunc_end256:
	.size	_Z16warp_scan_kernelI6__halfLj32ELj8EENSt9enable_ifIXsr10test_utilsE35device_test_enabled_for_warp_size_vIXT1_EEEvE4typeEPT_S5_S5_S4_, .Lfunc_end256-_Z16warp_scan_kernelI6__halfLj32ELj8EENSt9enable_ifIXsr10test_utilsE35device_test_enabled_for_warp_size_vIXT1_EEEvE4typeEPT_S5_S5_S4_
                                        ; -- End function
	.set _Z16warp_scan_kernelI6__halfLj32ELj8EENSt9enable_ifIXsr10test_utilsE35device_test_enabled_for_warp_size_vIXT1_EEEvE4typeEPT_S5_S5_S4_.num_vgpr, 9
	.set _Z16warp_scan_kernelI6__halfLj32ELj8EENSt9enable_ifIXsr10test_utilsE35device_test_enabled_for_warp_size_vIXT1_EEEvE4typeEPT_S5_S5_S4_.num_agpr, 0
	.set _Z16warp_scan_kernelI6__halfLj32ELj8EENSt9enable_ifIXsr10test_utilsE35device_test_enabled_for_warp_size_vIXT1_EEEvE4typeEPT_S5_S5_S4_.numbered_sgpr, 10
	.set _Z16warp_scan_kernelI6__halfLj32ELj8EENSt9enable_ifIXsr10test_utilsE35device_test_enabled_for_warp_size_vIXT1_EEEvE4typeEPT_S5_S5_S4_.num_named_barrier, 0
	.set _Z16warp_scan_kernelI6__halfLj32ELj8EENSt9enable_ifIXsr10test_utilsE35device_test_enabled_for_warp_size_vIXT1_EEEvE4typeEPT_S5_S5_S4_.private_seg_size, 0
	.set _Z16warp_scan_kernelI6__halfLj32ELj8EENSt9enable_ifIXsr10test_utilsE35device_test_enabled_for_warp_size_vIXT1_EEEvE4typeEPT_S5_S5_S4_.uses_vcc, 1
	.set _Z16warp_scan_kernelI6__halfLj32ELj8EENSt9enable_ifIXsr10test_utilsE35device_test_enabled_for_warp_size_vIXT1_EEEvE4typeEPT_S5_S5_S4_.uses_flat_scratch, 0
	.set _Z16warp_scan_kernelI6__halfLj32ELj8EENSt9enable_ifIXsr10test_utilsE35device_test_enabled_for_warp_size_vIXT1_EEEvE4typeEPT_S5_S5_S4_.has_dyn_sized_stack, 0
	.set _Z16warp_scan_kernelI6__halfLj32ELj8EENSt9enable_ifIXsr10test_utilsE35device_test_enabled_for_warp_size_vIXT1_EEEvE4typeEPT_S5_S5_S4_.has_recursion, 0
	.set _Z16warp_scan_kernelI6__halfLj32ELj8EENSt9enable_ifIXsr10test_utilsE35device_test_enabled_for_warp_size_vIXT1_EEEvE4typeEPT_S5_S5_S4_.has_indirect_call, 0
	.section	.AMDGPU.csdata,"",@progbits
; Kernel info:
; codeLenInByte = 320
; TotalNumSgprs: 14
; NumVgprs: 9
; ScratchSize: 0
; MemoryBound: 0
; FloatMode: 240
; IeeeMode: 1
; LDSByteSize: 0 bytes/workgroup (compile time only)
; SGPRBlocks: 1
; VGPRBlocks: 2
; NumSGPRsForWavesPerEU: 14
; NumVGPRsForWavesPerEU: 9
; Occupancy: 10
; WaveLimiterHint : 0
; COMPUTE_PGM_RSRC2:SCRATCH_EN: 0
; COMPUTE_PGM_RSRC2:USER_SGPR: 6
; COMPUTE_PGM_RSRC2:TRAP_HANDLER: 0
; COMPUTE_PGM_RSRC2:TGID_X_EN: 1
; COMPUTE_PGM_RSRC2:TGID_Y_EN: 0
; COMPUTE_PGM_RSRC2:TGID_Z_EN: 0
; COMPUTE_PGM_RSRC2:TIDIG_COMP_CNT: 0
	.section	.text._Z16warp_scan_kernelI6__halfLj64ELj8EENSt9enable_ifIXsr10test_utilsE35device_test_enabled_for_warp_size_vIXT1_EEEvE4typeEPT_S5_S5_S4_,"axG",@progbits,_Z16warp_scan_kernelI6__halfLj64ELj8EENSt9enable_ifIXsr10test_utilsE35device_test_enabled_for_warp_size_vIXT1_EEEvE4typeEPT_S5_S5_S4_,comdat
	.protected	_Z16warp_scan_kernelI6__halfLj64ELj8EENSt9enable_ifIXsr10test_utilsE35device_test_enabled_for_warp_size_vIXT1_EEEvE4typeEPT_S5_S5_S4_ ; -- Begin function _Z16warp_scan_kernelI6__halfLj64ELj8EENSt9enable_ifIXsr10test_utilsE35device_test_enabled_for_warp_size_vIXT1_EEEvE4typeEPT_S5_S5_S4_
	.globl	_Z16warp_scan_kernelI6__halfLj64ELj8EENSt9enable_ifIXsr10test_utilsE35device_test_enabled_for_warp_size_vIXT1_EEEvE4typeEPT_S5_S5_S4_
	.p2align	8
	.type	_Z16warp_scan_kernelI6__halfLj64ELj8EENSt9enable_ifIXsr10test_utilsE35device_test_enabled_for_warp_size_vIXT1_EEEvE4typeEPT_S5_S5_S4_,@function
_Z16warp_scan_kernelI6__halfLj64ELj8EENSt9enable_ifIXsr10test_utilsE35device_test_enabled_for_warp_size_vIXT1_EEEvE4typeEPT_S5_S5_S4_: ; @_Z16warp_scan_kernelI6__halfLj64ELj8EENSt9enable_ifIXsr10test_utilsE35device_test_enabled_for_warp_size_vIXT1_EEEvE4typeEPT_S5_S5_S4_
; %bb.0:
	s_load_dword s7, s[4:5], 0x2c
	s_load_dwordx4 s[0:3], s[4:5], 0x0
	s_load_dwordx2 s[8:9], s[4:5], 0x10
	v_mov_b32_e32 v1, 0
	s_load_dword s4, s[4:5], 0x18
	s_waitcnt lgkmcnt(0)
	s_and_b32 s7, s7, 0xffff
	s_mul_i32 s6, s6, s7
	v_add_u32_e32 v0, s6, v0
	v_lshlrev_b64 v[0:1], 1, v[0:1]
	v_mov_b32_e32 v3, s1
	v_add_co_u32_e32 v2, vcc, s0, v0
	v_addc_co_u32_e32 v3, vcc, v3, v1, vcc
	global_load_ushort v2, v[2:3], off
	v_mbcnt_lo_u32_b32 v3, -1, 0
	v_mbcnt_hi_u32_b32 v3, -1, v3
	v_add_u32_e32 v5, -1, v3
	v_and_b32_e32 v6, 0x78, v3
	v_and_b32_e32 v4, 7, v3
	v_cmp_lt_i32_e32 vcc, v5, v6
	v_cndmask_b32_e32 v3, v5, v3, vcc
	v_cmp_eq_u32_e32 vcc, 0, v4
	v_cmp_lt_u32_e64 s[0:1], 1, v4
	v_lshlrev_b32_e32 v3, 2, v3
	v_mov_b32_e32 v6, s3
	v_mov_b32_e32 v5, s4
	;; [unrolled: 1-line block ×3, first 2 shown]
	s_waitcnt vmcnt(0)
	v_and_b32_e32 v8, 0xffff, v2
	s_nop 1
	v_mov_b32_dpp v8, v8 row_shr:1 row_mask:0xf bank_mask:0xf
	v_add_f16_e32 v8, v2, v8
	v_cndmask_b32_e32 v2, v8, v2, vcc
	v_and_b32_e32 v8, 0xffff, v2
	s_nop 1
	v_mov_b32_dpp v8, v8 row_shr:2 row_mask:0xf bank_mask:0xf
	v_add_f16_e32 v8, v2, v8
	v_cndmask_b32_e64 v2, v2, v8, s[0:1]
	v_and_b32_e32 v8, 0xffff, v2
	v_cmp_lt_u32_e64 s[0:1], 3, v4
	s_nop 0
	v_mov_b32_dpp v8, v8 row_shr:4 row_mask:0xf bank_mask:0xf
	v_add_f16_e32 v8, v2, v8
	v_cndmask_b32_e64 v2, v2, v8, s[0:1]
	v_add_f16_e32 v4, s4, v2
	ds_bpermute_b32 v8, v3, v4
	v_add_co_u32_e64 v2, s[0:1], s2, v0
	v_addc_co_u32_e64 v3, s[0:1], v6, v1, s[0:1]
	global_store_short v[2:3], v4, off
	s_waitcnt lgkmcnt(0)
	v_cndmask_b32_e32 v2, v8, v5, vcc
	v_add_co_u32_e32 v0, vcc, s8, v0
	v_addc_co_u32_e32 v1, vcc, v7, v1, vcc
	global_store_short v[0:1], v2, off
	s_endpgm
	.section	.rodata,"a",@progbits
	.p2align	6, 0x0
	.amdhsa_kernel _Z16warp_scan_kernelI6__halfLj64ELj8EENSt9enable_ifIXsr10test_utilsE35device_test_enabled_for_warp_size_vIXT1_EEEvE4typeEPT_S5_S5_S4_
		.amdhsa_group_segment_fixed_size 0
		.amdhsa_private_segment_fixed_size 0
		.amdhsa_kernarg_size 288
		.amdhsa_user_sgpr_count 6
		.amdhsa_user_sgpr_private_segment_buffer 1
		.amdhsa_user_sgpr_dispatch_ptr 0
		.amdhsa_user_sgpr_queue_ptr 0
		.amdhsa_user_sgpr_kernarg_segment_ptr 1
		.amdhsa_user_sgpr_dispatch_id 0
		.amdhsa_user_sgpr_flat_scratch_init 0
		.amdhsa_user_sgpr_private_segment_size 0
		.amdhsa_uses_dynamic_stack 0
		.amdhsa_system_sgpr_private_segment_wavefront_offset 0
		.amdhsa_system_sgpr_workgroup_id_x 1
		.amdhsa_system_sgpr_workgroup_id_y 0
		.amdhsa_system_sgpr_workgroup_id_z 0
		.amdhsa_system_sgpr_workgroup_info 0
		.amdhsa_system_vgpr_workitem_id 0
		.amdhsa_next_free_vgpr 9
		.amdhsa_next_free_sgpr 10
		.amdhsa_reserve_vcc 1
		.amdhsa_reserve_flat_scratch 0
		.amdhsa_float_round_mode_32 0
		.amdhsa_float_round_mode_16_64 0
		.amdhsa_float_denorm_mode_32 3
		.amdhsa_float_denorm_mode_16_64 3
		.amdhsa_dx10_clamp 1
		.amdhsa_ieee_mode 1
		.amdhsa_fp16_overflow 0
		.amdhsa_exception_fp_ieee_invalid_op 0
		.amdhsa_exception_fp_denorm_src 0
		.amdhsa_exception_fp_ieee_div_zero 0
		.amdhsa_exception_fp_ieee_overflow 0
		.amdhsa_exception_fp_ieee_underflow 0
		.amdhsa_exception_fp_ieee_inexact 0
		.amdhsa_exception_int_div_zero 0
	.end_amdhsa_kernel
	.section	.text._Z16warp_scan_kernelI6__halfLj64ELj8EENSt9enable_ifIXsr10test_utilsE35device_test_enabled_for_warp_size_vIXT1_EEEvE4typeEPT_S5_S5_S4_,"axG",@progbits,_Z16warp_scan_kernelI6__halfLj64ELj8EENSt9enable_ifIXsr10test_utilsE35device_test_enabled_for_warp_size_vIXT1_EEEvE4typeEPT_S5_S5_S4_,comdat
.Lfunc_end257:
	.size	_Z16warp_scan_kernelI6__halfLj64ELj8EENSt9enable_ifIXsr10test_utilsE35device_test_enabled_for_warp_size_vIXT1_EEEvE4typeEPT_S5_S5_S4_, .Lfunc_end257-_Z16warp_scan_kernelI6__halfLj64ELj8EENSt9enable_ifIXsr10test_utilsE35device_test_enabled_for_warp_size_vIXT1_EEEvE4typeEPT_S5_S5_S4_
                                        ; -- End function
	.set _Z16warp_scan_kernelI6__halfLj64ELj8EENSt9enable_ifIXsr10test_utilsE35device_test_enabled_for_warp_size_vIXT1_EEEvE4typeEPT_S5_S5_S4_.num_vgpr, 9
	.set _Z16warp_scan_kernelI6__halfLj64ELj8EENSt9enable_ifIXsr10test_utilsE35device_test_enabled_for_warp_size_vIXT1_EEEvE4typeEPT_S5_S5_S4_.num_agpr, 0
	.set _Z16warp_scan_kernelI6__halfLj64ELj8EENSt9enable_ifIXsr10test_utilsE35device_test_enabled_for_warp_size_vIXT1_EEEvE4typeEPT_S5_S5_S4_.numbered_sgpr, 10
	.set _Z16warp_scan_kernelI6__halfLj64ELj8EENSt9enable_ifIXsr10test_utilsE35device_test_enabled_for_warp_size_vIXT1_EEEvE4typeEPT_S5_S5_S4_.num_named_barrier, 0
	.set _Z16warp_scan_kernelI6__halfLj64ELj8EENSt9enable_ifIXsr10test_utilsE35device_test_enabled_for_warp_size_vIXT1_EEEvE4typeEPT_S5_S5_S4_.private_seg_size, 0
	.set _Z16warp_scan_kernelI6__halfLj64ELj8EENSt9enable_ifIXsr10test_utilsE35device_test_enabled_for_warp_size_vIXT1_EEEvE4typeEPT_S5_S5_S4_.uses_vcc, 1
	.set _Z16warp_scan_kernelI6__halfLj64ELj8EENSt9enable_ifIXsr10test_utilsE35device_test_enabled_for_warp_size_vIXT1_EEEvE4typeEPT_S5_S5_S4_.uses_flat_scratch, 0
	.set _Z16warp_scan_kernelI6__halfLj64ELj8EENSt9enable_ifIXsr10test_utilsE35device_test_enabled_for_warp_size_vIXT1_EEEvE4typeEPT_S5_S5_S4_.has_dyn_sized_stack, 0
	.set _Z16warp_scan_kernelI6__halfLj64ELj8EENSt9enable_ifIXsr10test_utilsE35device_test_enabled_for_warp_size_vIXT1_EEEvE4typeEPT_S5_S5_S4_.has_recursion, 0
	.set _Z16warp_scan_kernelI6__halfLj64ELj8EENSt9enable_ifIXsr10test_utilsE35device_test_enabled_for_warp_size_vIXT1_EEEvE4typeEPT_S5_S5_S4_.has_indirect_call, 0
	.section	.AMDGPU.csdata,"",@progbits
; Kernel info:
; codeLenInByte = 320
; TotalNumSgprs: 14
; NumVgprs: 9
; ScratchSize: 0
; MemoryBound: 0
; FloatMode: 240
; IeeeMode: 1
; LDSByteSize: 0 bytes/workgroup (compile time only)
; SGPRBlocks: 1
; VGPRBlocks: 2
; NumSGPRsForWavesPerEU: 14
; NumVGPRsForWavesPerEU: 9
; Occupancy: 10
; WaveLimiterHint : 0
; COMPUTE_PGM_RSRC2:SCRATCH_EN: 0
; COMPUTE_PGM_RSRC2:USER_SGPR: 6
; COMPUTE_PGM_RSRC2:TRAP_HANDLER: 0
; COMPUTE_PGM_RSRC2:TGID_X_EN: 1
; COMPUTE_PGM_RSRC2:TGID_Y_EN: 0
; COMPUTE_PGM_RSRC2:TGID_Z_EN: 0
; COMPUTE_PGM_RSRC2:TIDIG_COMP_CNT: 0
	.section	.text._Z16warp_scan_kernelI6__halfLj32ELj4EENSt9enable_ifIXsr10test_utilsE35device_test_enabled_for_warp_size_vIXT1_EEEvE4typeEPT_S5_S5_S4_,"axG",@progbits,_Z16warp_scan_kernelI6__halfLj32ELj4EENSt9enable_ifIXsr10test_utilsE35device_test_enabled_for_warp_size_vIXT1_EEEvE4typeEPT_S5_S5_S4_,comdat
	.protected	_Z16warp_scan_kernelI6__halfLj32ELj4EENSt9enable_ifIXsr10test_utilsE35device_test_enabled_for_warp_size_vIXT1_EEEvE4typeEPT_S5_S5_S4_ ; -- Begin function _Z16warp_scan_kernelI6__halfLj32ELj4EENSt9enable_ifIXsr10test_utilsE35device_test_enabled_for_warp_size_vIXT1_EEEvE4typeEPT_S5_S5_S4_
	.globl	_Z16warp_scan_kernelI6__halfLj32ELj4EENSt9enable_ifIXsr10test_utilsE35device_test_enabled_for_warp_size_vIXT1_EEEvE4typeEPT_S5_S5_S4_
	.p2align	8
	.type	_Z16warp_scan_kernelI6__halfLj32ELj4EENSt9enable_ifIXsr10test_utilsE35device_test_enabled_for_warp_size_vIXT1_EEEvE4typeEPT_S5_S5_S4_,@function
_Z16warp_scan_kernelI6__halfLj32ELj4EENSt9enable_ifIXsr10test_utilsE35device_test_enabled_for_warp_size_vIXT1_EEEvE4typeEPT_S5_S5_S4_: ; @_Z16warp_scan_kernelI6__halfLj32ELj4EENSt9enable_ifIXsr10test_utilsE35device_test_enabled_for_warp_size_vIXT1_EEEvE4typeEPT_S5_S5_S4_
; %bb.0:
	s_load_dword s7, s[4:5], 0x2c
	s_load_dwordx4 s[0:3], s[4:5], 0x0
	s_load_dwordx2 s[8:9], s[4:5], 0x10
	v_mov_b32_e32 v1, 0
	s_load_dword s4, s[4:5], 0x18
	s_waitcnt lgkmcnt(0)
	s_and_b32 s7, s7, 0xffff
	s_mul_i32 s6, s6, s7
	v_add_u32_e32 v0, s6, v0
	v_lshlrev_b64 v[0:1], 1, v[0:1]
	v_mov_b32_e32 v3, s1
	v_add_co_u32_e32 v2, vcc, s0, v0
	v_addc_co_u32_e32 v3, vcc, v3, v1, vcc
	global_load_ushort v2, v[2:3], off
	v_mbcnt_lo_u32_b32 v3, -1, 0
	v_mbcnt_hi_u32_b32 v3, -1, v3
	v_add_u32_e32 v5, -1, v3
	v_and_b32_e32 v6, 0x7c, v3
	v_and_b32_e32 v4, 3, v3
	v_cmp_lt_i32_e32 vcc, v5, v6
	v_cndmask_b32_e32 v3, v5, v3, vcc
	v_cmp_eq_u32_e32 vcc, 0, v4
	v_cmp_lt_u32_e64 s[0:1], 1, v4
	v_lshlrev_b32_e32 v3, 2, v3
	v_mov_b32_e32 v6, s3
	v_mov_b32_e32 v5, s4
	;; [unrolled: 1-line block ×3, first 2 shown]
	s_waitcnt vmcnt(0)
	v_and_b32_e32 v8, 0xffff, v2
	s_nop 1
	v_mov_b32_dpp v8, v8 row_shr:1 row_mask:0xf bank_mask:0xf
	v_add_f16_e32 v8, v2, v8
	v_cndmask_b32_e32 v2, v8, v2, vcc
	v_and_b32_e32 v8, 0xffff, v2
	s_nop 1
	v_mov_b32_dpp v8, v8 row_shr:2 row_mask:0xf bank_mask:0xf
	v_add_f16_e32 v8, v2, v8
	v_cndmask_b32_e64 v2, v2, v8, s[0:1]
	v_add_f16_e32 v4, s4, v2
	ds_bpermute_b32 v8, v3, v4
	v_add_co_u32_e64 v2, s[0:1], s2, v0
	v_addc_co_u32_e64 v3, s[0:1], v6, v1, s[0:1]
	global_store_short v[2:3], v4, off
	s_waitcnt lgkmcnt(0)
	v_cndmask_b32_e32 v2, v8, v5, vcc
	v_add_co_u32_e32 v0, vcc, s8, v0
	v_addc_co_u32_e32 v1, vcc, v7, v1, vcc
	global_store_short v[0:1], v2, off
	s_endpgm
	.section	.rodata,"a",@progbits
	.p2align	6, 0x0
	.amdhsa_kernel _Z16warp_scan_kernelI6__halfLj32ELj4EENSt9enable_ifIXsr10test_utilsE35device_test_enabled_for_warp_size_vIXT1_EEEvE4typeEPT_S5_S5_S4_
		.amdhsa_group_segment_fixed_size 0
		.amdhsa_private_segment_fixed_size 0
		.amdhsa_kernarg_size 288
		.amdhsa_user_sgpr_count 6
		.amdhsa_user_sgpr_private_segment_buffer 1
		.amdhsa_user_sgpr_dispatch_ptr 0
		.amdhsa_user_sgpr_queue_ptr 0
		.amdhsa_user_sgpr_kernarg_segment_ptr 1
		.amdhsa_user_sgpr_dispatch_id 0
		.amdhsa_user_sgpr_flat_scratch_init 0
		.amdhsa_user_sgpr_private_segment_size 0
		.amdhsa_uses_dynamic_stack 0
		.amdhsa_system_sgpr_private_segment_wavefront_offset 0
		.amdhsa_system_sgpr_workgroup_id_x 1
		.amdhsa_system_sgpr_workgroup_id_y 0
		.amdhsa_system_sgpr_workgroup_id_z 0
		.amdhsa_system_sgpr_workgroup_info 0
		.amdhsa_system_vgpr_workitem_id 0
		.amdhsa_next_free_vgpr 9
		.amdhsa_next_free_sgpr 10
		.amdhsa_reserve_vcc 1
		.amdhsa_reserve_flat_scratch 0
		.amdhsa_float_round_mode_32 0
		.amdhsa_float_round_mode_16_64 0
		.amdhsa_float_denorm_mode_32 3
		.amdhsa_float_denorm_mode_16_64 3
		.amdhsa_dx10_clamp 1
		.amdhsa_ieee_mode 1
		.amdhsa_fp16_overflow 0
		.amdhsa_exception_fp_ieee_invalid_op 0
		.amdhsa_exception_fp_denorm_src 0
		.amdhsa_exception_fp_ieee_div_zero 0
		.amdhsa_exception_fp_ieee_overflow 0
		.amdhsa_exception_fp_ieee_underflow 0
		.amdhsa_exception_fp_ieee_inexact 0
		.amdhsa_exception_int_div_zero 0
	.end_amdhsa_kernel
	.section	.text._Z16warp_scan_kernelI6__halfLj32ELj4EENSt9enable_ifIXsr10test_utilsE35device_test_enabled_for_warp_size_vIXT1_EEEvE4typeEPT_S5_S5_S4_,"axG",@progbits,_Z16warp_scan_kernelI6__halfLj32ELj4EENSt9enable_ifIXsr10test_utilsE35device_test_enabled_for_warp_size_vIXT1_EEEvE4typeEPT_S5_S5_S4_,comdat
.Lfunc_end258:
	.size	_Z16warp_scan_kernelI6__halfLj32ELj4EENSt9enable_ifIXsr10test_utilsE35device_test_enabled_for_warp_size_vIXT1_EEEvE4typeEPT_S5_S5_S4_, .Lfunc_end258-_Z16warp_scan_kernelI6__halfLj32ELj4EENSt9enable_ifIXsr10test_utilsE35device_test_enabled_for_warp_size_vIXT1_EEEvE4typeEPT_S5_S5_S4_
                                        ; -- End function
	.set _Z16warp_scan_kernelI6__halfLj32ELj4EENSt9enable_ifIXsr10test_utilsE35device_test_enabled_for_warp_size_vIXT1_EEEvE4typeEPT_S5_S5_S4_.num_vgpr, 9
	.set _Z16warp_scan_kernelI6__halfLj32ELj4EENSt9enable_ifIXsr10test_utilsE35device_test_enabled_for_warp_size_vIXT1_EEEvE4typeEPT_S5_S5_S4_.num_agpr, 0
	.set _Z16warp_scan_kernelI6__halfLj32ELj4EENSt9enable_ifIXsr10test_utilsE35device_test_enabled_for_warp_size_vIXT1_EEEvE4typeEPT_S5_S5_S4_.numbered_sgpr, 10
	.set _Z16warp_scan_kernelI6__halfLj32ELj4EENSt9enable_ifIXsr10test_utilsE35device_test_enabled_for_warp_size_vIXT1_EEEvE4typeEPT_S5_S5_S4_.num_named_barrier, 0
	.set _Z16warp_scan_kernelI6__halfLj32ELj4EENSt9enable_ifIXsr10test_utilsE35device_test_enabled_for_warp_size_vIXT1_EEEvE4typeEPT_S5_S5_S4_.private_seg_size, 0
	.set _Z16warp_scan_kernelI6__halfLj32ELj4EENSt9enable_ifIXsr10test_utilsE35device_test_enabled_for_warp_size_vIXT1_EEEvE4typeEPT_S5_S5_S4_.uses_vcc, 1
	.set _Z16warp_scan_kernelI6__halfLj32ELj4EENSt9enable_ifIXsr10test_utilsE35device_test_enabled_for_warp_size_vIXT1_EEEvE4typeEPT_S5_S5_S4_.uses_flat_scratch, 0
	.set _Z16warp_scan_kernelI6__halfLj32ELj4EENSt9enable_ifIXsr10test_utilsE35device_test_enabled_for_warp_size_vIXT1_EEEvE4typeEPT_S5_S5_S4_.has_dyn_sized_stack, 0
	.set _Z16warp_scan_kernelI6__halfLj32ELj4EENSt9enable_ifIXsr10test_utilsE35device_test_enabled_for_warp_size_vIXT1_EEEvE4typeEPT_S5_S5_S4_.has_recursion, 0
	.set _Z16warp_scan_kernelI6__halfLj32ELj4EENSt9enable_ifIXsr10test_utilsE35device_test_enabled_for_warp_size_vIXT1_EEEvE4typeEPT_S5_S5_S4_.has_indirect_call, 0
	.section	.AMDGPU.csdata,"",@progbits
; Kernel info:
; codeLenInByte = 280
; TotalNumSgprs: 14
; NumVgprs: 9
; ScratchSize: 0
; MemoryBound: 0
; FloatMode: 240
; IeeeMode: 1
; LDSByteSize: 0 bytes/workgroup (compile time only)
; SGPRBlocks: 1
; VGPRBlocks: 2
; NumSGPRsForWavesPerEU: 14
; NumVGPRsForWavesPerEU: 9
; Occupancy: 10
; WaveLimiterHint : 0
; COMPUTE_PGM_RSRC2:SCRATCH_EN: 0
; COMPUTE_PGM_RSRC2:USER_SGPR: 6
; COMPUTE_PGM_RSRC2:TRAP_HANDLER: 0
; COMPUTE_PGM_RSRC2:TGID_X_EN: 1
; COMPUTE_PGM_RSRC2:TGID_Y_EN: 0
; COMPUTE_PGM_RSRC2:TGID_Z_EN: 0
; COMPUTE_PGM_RSRC2:TIDIG_COMP_CNT: 0
	.section	.text._Z16warp_scan_kernelI6__halfLj64ELj4EENSt9enable_ifIXsr10test_utilsE35device_test_enabled_for_warp_size_vIXT1_EEEvE4typeEPT_S5_S5_S4_,"axG",@progbits,_Z16warp_scan_kernelI6__halfLj64ELj4EENSt9enable_ifIXsr10test_utilsE35device_test_enabled_for_warp_size_vIXT1_EEEvE4typeEPT_S5_S5_S4_,comdat
	.protected	_Z16warp_scan_kernelI6__halfLj64ELj4EENSt9enable_ifIXsr10test_utilsE35device_test_enabled_for_warp_size_vIXT1_EEEvE4typeEPT_S5_S5_S4_ ; -- Begin function _Z16warp_scan_kernelI6__halfLj64ELj4EENSt9enable_ifIXsr10test_utilsE35device_test_enabled_for_warp_size_vIXT1_EEEvE4typeEPT_S5_S5_S4_
	.globl	_Z16warp_scan_kernelI6__halfLj64ELj4EENSt9enable_ifIXsr10test_utilsE35device_test_enabled_for_warp_size_vIXT1_EEEvE4typeEPT_S5_S5_S4_
	.p2align	8
	.type	_Z16warp_scan_kernelI6__halfLj64ELj4EENSt9enable_ifIXsr10test_utilsE35device_test_enabled_for_warp_size_vIXT1_EEEvE4typeEPT_S5_S5_S4_,@function
_Z16warp_scan_kernelI6__halfLj64ELj4EENSt9enable_ifIXsr10test_utilsE35device_test_enabled_for_warp_size_vIXT1_EEEvE4typeEPT_S5_S5_S4_: ; @_Z16warp_scan_kernelI6__halfLj64ELj4EENSt9enable_ifIXsr10test_utilsE35device_test_enabled_for_warp_size_vIXT1_EEEvE4typeEPT_S5_S5_S4_
; %bb.0:
	s_load_dword s7, s[4:5], 0x2c
	s_load_dwordx4 s[0:3], s[4:5], 0x0
	s_load_dwordx2 s[8:9], s[4:5], 0x10
	v_mov_b32_e32 v1, 0
	s_load_dword s4, s[4:5], 0x18
	s_waitcnt lgkmcnt(0)
	s_and_b32 s7, s7, 0xffff
	s_mul_i32 s6, s6, s7
	v_add_u32_e32 v0, s6, v0
	v_lshlrev_b64 v[0:1], 1, v[0:1]
	v_mov_b32_e32 v3, s1
	v_add_co_u32_e32 v2, vcc, s0, v0
	v_addc_co_u32_e32 v3, vcc, v3, v1, vcc
	global_load_ushort v2, v[2:3], off
	v_mbcnt_lo_u32_b32 v3, -1, 0
	v_mbcnt_hi_u32_b32 v3, -1, v3
	v_add_u32_e32 v5, -1, v3
	v_and_b32_e32 v6, 0x7c, v3
	v_and_b32_e32 v4, 3, v3
	v_cmp_lt_i32_e32 vcc, v5, v6
	v_cndmask_b32_e32 v3, v5, v3, vcc
	v_cmp_eq_u32_e32 vcc, 0, v4
	v_cmp_lt_u32_e64 s[0:1], 1, v4
	v_lshlrev_b32_e32 v3, 2, v3
	v_mov_b32_e32 v6, s3
	v_mov_b32_e32 v5, s4
	;; [unrolled: 1-line block ×3, first 2 shown]
	s_waitcnt vmcnt(0)
	v_and_b32_e32 v8, 0xffff, v2
	s_nop 1
	v_mov_b32_dpp v8, v8 row_shr:1 row_mask:0xf bank_mask:0xf
	v_add_f16_e32 v8, v2, v8
	v_cndmask_b32_e32 v2, v8, v2, vcc
	v_and_b32_e32 v8, 0xffff, v2
	s_nop 1
	v_mov_b32_dpp v8, v8 row_shr:2 row_mask:0xf bank_mask:0xf
	v_add_f16_e32 v8, v2, v8
	v_cndmask_b32_e64 v2, v2, v8, s[0:1]
	v_add_f16_e32 v4, s4, v2
	ds_bpermute_b32 v8, v3, v4
	v_add_co_u32_e64 v2, s[0:1], s2, v0
	v_addc_co_u32_e64 v3, s[0:1], v6, v1, s[0:1]
	global_store_short v[2:3], v4, off
	s_waitcnt lgkmcnt(0)
	v_cndmask_b32_e32 v2, v8, v5, vcc
	v_add_co_u32_e32 v0, vcc, s8, v0
	v_addc_co_u32_e32 v1, vcc, v7, v1, vcc
	global_store_short v[0:1], v2, off
	s_endpgm
	.section	.rodata,"a",@progbits
	.p2align	6, 0x0
	.amdhsa_kernel _Z16warp_scan_kernelI6__halfLj64ELj4EENSt9enable_ifIXsr10test_utilsE35device_test_enabled_for_warp_size_vIXT1_EEEvE4typeEPT_S5_S5_S4_
		.amdhsa_group_segment_fixed_size 0
		.amdhsa_private_segment_fixed_size 0
		.amdhsa_kernarg_size 288
		.amdhsa_user_sgpr_count 6
		.amdhsa_user_sgpr_private_segment_buffer 1
		.amdhsa_user_sgpr_dispatch_ptr 0
		.amdhsa_user_sgpr_queue_ptr 0
		.amdhsa_user_sgpr_kernarg_segment_ptr 1
		.amdhsa_user_sgpr_dispatch_id 0
		.amdhsa_user_sgpr_flat_scratch_init 0
		.amdhsa_user_sgpr_private_segment_size 0
		.amdhsa_uses_dynamic_stack 0
		.amdhsa_system_sgpr_private_segment_wavefront_offset 0
		.amdhsa_system_sgpr_workgroup_id_x 1
		.amdhsa_system_sgpr_workgroup_id_y 0
		.amdhsa_system_sgpr_workgroup_id_z 0
		.amdhsa_system_sgpr_workgroup_info 0
		.amdhsa_system_vgpr_workitem_id 0
		.amdhsa_next_free_vgpr 9
		.amdhsa_next_free_sgpr 10
		.amdhsa_reserve_vcc 1
		.amdhsa_reserve_flat_scratch 0
		.amdhsa_float_round_mode_32 0
		.amdhsa_float_round_mode_16_64 0
		.amdhsa_float_denorm_mode_32 3
		.amdhsa_float_denorm_mode_16_64 3
		.amdhsa_dx10_clamp 1
		.amdhsa_ieee_mode 1
		.amdhsa_fp16_overflow 0
		.amdhsa_exception_fp_ieee_invalid_op 0
		.amdhsa_exception_fp_denorm_src 0
		.amdhsa_exception_fp_ieee_div_zero 0
		.amdhsa_exception_fp_ieee_overflow 0
		.amdhsa_exception_fp_ieee_underflow 0
		.amdhsa_exception_fp_ieee_inexact 0
		.amdhsa_exception_int_div_zero 0
	.end_amdhsa_kernel
	.section	.text._Z16warp_scan_kernelI6__halfLj64ELj4EENSt9enable_ifIXsr10test_utilsE35device_test_enabled_for_warp_size_vIXT1_EEEvE4typeEPT_S5_S5_S4_,"axG",@progbits,_Z16warp_scan_kernelI6__halfLj64ELj4EENSt9enable_ifIXsr10test_utilsE35device_test_enabled_for_warp_size_vIXT1_EEEvE4typeEPT_S5_S5_S4_,comdat
.Lfunc_end259:
	.size	_Z16warp_scan_kernelI6__halfLj64ELj4EENSt9enable_ifIXsr10test_utilsE35device_test_enabled_for_warp_size_vIXT1_EEEvE4typeEPT_S5_S5_S4_, .Lfunc_end259-_Z16warp_scan_kernelI6__halfLj64ELj4EENSt9enable_ifIXsr10test_utilsE35device_test_enabled_for_warp_size_vIXT1_EEEvE4typeEPT_S5_S5_S4_
                                        ; -- End function
	.set _Z16warp_scan_kernelI6__halfLj64ELj4EENSt9enable_ifIXsr10test_utilsE35device_test_enabled_for_warp_size_vIXT1_EEEvE4typeEPT_S5_S5_S4_.num_vgpr, 9
	.set _Z16warp_scan_kernelI6__halfLj64ELj4EENSt9enable_ifIXsr10test_utilsE35device_test_enabled_for_warp_size_vIXT1_EEEvE4typeEPT_S5_S5_S4_.num_agpr, 0
	.set _Z16warp_scan_kernelI6__halfLj64ELj4EENSt9enable_ifIXsr10test_utilsE35device_test_enabled_for_warp_size_vIXT1_EEEvE4typeEPT_S5_S5_S4_.numbered_sgpr, 10
	.set _Z16warp_scan_kernelI6__halfLj64ELj4EENSt9enable_ifIXsr10test_utilsE35device_test_enabled_for_warp_size_vIXT1_EEEvE4typeEPT_S5_S5_S4_.num_named_barrier, 0
	.set _Z16warp_scan_kernelI6__halfLj64ELj4EENSt9enable_ifIXsr10test_utilsE35device_test_enabled_for_warp_size_vIXT1_EEEvE4typeEPT_S5_S5_S4_.private_seg_size, 0
	.set _Z16warp_scan_kernelI6__halfLj64ELj4EENSt9enable_ifIXsr10test_utilsE35device_test_enabled_for_warp_size_vIXT1_EEEvE4typeEPT_S5_S5_S4_.uses_vcc, 1
	.set _Z16warp_scan_kernelI6__halfLj64ELj4EENSt9enable_ifIXsr10test_utilsE35device_test_enabled_for_warp_size_vIXT1_EEEvE4typeEPT_S5_S5_S4_.uses_flat_scratch, 0
	.set _Z16warp_scan_kernelI6__halfLj64ELj4EENSt9enable_ifIXsr10test_utilsE35device_test_enabled_for_warp_size_vIXT1_EEEvE4typeEPT_S5_S5_S4_.has_dyn_sized_stack, 0
	.set _Z16warp_scan_kernelI6__halfLj64ELj4EENSt9enable_ifIXsr10test_utilsE35device_test_enabled_for_warp_size_vIXT1_EEEvE4typeEPT_S5_S5_S4_.has_recursion, 0
	.set _Z16warp_scan_kernelI6__halfLj64ELj4EENSt9enable_ifIXsr10test_utilsE35device_test_enabled_for_warp_size_vIXT1_EEEvE4typeEPT_S5_S5_S4_.has_indirect_call, 0
	.section	.AMDGPU.csdata,"",@progbits
; Kernel info:
; codeLenInByte = 280
; TotalNumSgprs: 14
; NumVgprs: 9
; ScratchSize: 0
; MemoryBound: 0
; FloatMode: 240
; IeeeMode: 1
; LDSByteSize: 0 bytes/workgroup (compile time only)
; SGPRBlocks: 1
; VGPRBlocks: 2
; NumSGPRsForWavesPerEU: 14
; NumVGPRsForWavesPerEU: 9
; Occupancy: 10
; WaveLimiterHint : 0
; COMPUTE_PGM_RSRC2:SCRATCH_EN: 0
; COMPUTE_PGM_RSRC2:USER_SGPR: 6
; COMPUTE_PGM_RSRC2:TRAP_HANDLER: 0
; COMPUTE_PGM_RSRC2:TGID_X_EN: 1
; COMPUTE_PGM_RSRC2:TGID_Y_EN: 0
; COMPUTE_PGM_RSRC2:TGID_Z_EN: 0
; COMPUTE_PGM_RSRC2:TIDIG_COMP_CNT: 0
	.section	.text._Z16warp_scan_kernelI6__halfLj32ELj2EENSt9enable_ifIXsr10test_utilsE35device_test_enabled_for_warp_size_vIXT1_EEEvE4typeEPT_S5_S5_S4_,"axG",@progbits,_Z16warp_scan_kernelI6__halfLj32ELj2EENSt9enable_ifIXsr10test_utilsE35device_test_enabled_for_warp_size_vIXT1_EEEvE4typeEPT_S5_S5_S4_,comdat
	.protected	_Z16warp_scan_kernelI6__halfLj32ELj2EENSt9enable_ifIXsr10test_utilsE35device_test_enabled_for_warp_size_vIXT1_EEEvE4typeEPT_S5_S5_S4_ ; -- Begin function _Z16warp_scan_kernelI6__halfLj32ELj2EENSt9enable_ifIXsr10test_utilsE35device_test_enabled_for_warp_size_vIXT1_EEEvE4typeEPT_S5_S5_S4_
	.globl	_Z16warp_scan_kernelI6__halfLj32ELj2EENSt9enable_ifIXsr10test_utilsE35device_test_enabled_for_warp_size_vIXT1_EEEvE4typeEPT_S5_S5_S4_
	.p2align	8
	.type	_Z16warp_scan_kernelI6__halfLj32ELj2EENSt9enable_ifIXsr10test_utilsE35device_test_enabled_for_warp_size_vIXT1_EEEvE4typeEPT_S5_S5_S4_,@function
_Z16warp_scan_kernelI6__halfLj32ELj2EENSt9enable_ifIXsr10test_utilsE35device_test_enabled_for_warp_size_vIXT1_EEEvE4typeEPT_S5_S5_S4_: ; @_Z16warp_scan_kernelI6__halfLj32ELj2EENSt9enable_ifIXsr10test_utilsE35device_test_enabled_for_warp_size_vIXT1_EEEvE4typeEPT_S5_S5_S4_
; %bb.0:
	s_load_dword s7, s[4:5], 0x2c
	s_load_dwordx4 s[0:3], s[4:5], 0x0
	s_load_dwordx2 s[8:9], s[4:5], 0x10
	v_mov_b32_e32 v1, 0
	s_waitcnt lgkmcnt(0)
	s_and_b32 s7, s7, 0xffff
	s_mul_i32 s6, s6, s7
	v_add_u32_e32 v0, s6, v0
	v_lshlrev_b64 v[0:1], 1, v[0:1]
	v_mov_b32_e32 v3, s1
	v_add_co_u32_e32 v2, vcc, s0, v0
	v_addc_co_u32_e32 v3, vcc, v3, v1, vcc
	global_load_ushort v2, v[2:3], off
	v_mbcnt_lo_u32_b32 v3, -1, 0
	s_load_dword s0, s[4:5], 0x18
	v_mbcnt_hi_u32_b32 v3, -1, v3
	v_add_u32_e32 v5, -1, v3
	v_and_b32_e32 v6, 0x7e, v3
	v_and_b32_e32 v4, 1, v3
	v_cmp_lt_i32_e32 vcc, v5, v6
	v_cndmask_b32_e32 v3, v5, v3, vcc
	v_cmp_eq_u32_e32 vcc, 0, v4
	v_lshlrev_b32_e32 v3, 2, v3
	s_waitcnt lgkmcnt(0)
	v_mov_b32_e32 v5, s0
	v_mov_b32_e32 v6, s3
	;; [unrolled: 1-line block ×3, first 2 shown]
	s_waitcnt vmcnt(0)
	v_and_b32_e32 v8, 0xffff, v2
	s_nop 1
	v_mov_b32_dpp v8, v8 row_shr:1 row_mask:0xf bank_mask:0xf
	v_add_f16_e32 v8, v2, v8
	v_cndmask_b32_e32 v2, v8, v2, vcc
	v_add_f16_e32 v4, s0, v2
	ds_bpermute_b32 v8, v3, v4
	v_add_co_u32_e64 v2, s[0:1], s2, v0
	v_addc_co_u32_e64 v3, s[0:1], v6, v1, s[0:1]
	global_store_short v[2:3], v4, off
	s_waitcnt lgkmcnt(0)
	v_cndmask_b32_e32 v2, v8, v5, vcc
	v_add_co_u32_e32 v0, vcc, s8, v0
	v_addc_co_u32_e32 v1, vcc, v7, v1, vcc
	global_store_short v[0:1], v2, off
	s_endpgm
	.section	.rodata,"a",@progbits
	.p2align	6, 0x0
	.amdhsa_kernel _Z16warp_scan_kernelI6__halfLj32ELj2EENSt9enable_ifIXsr10test_utilsE35device_test_enabled_for_warp_size_vIXT1_EEEvE4typeEPT_S5_S5_S4_
		.amdhsa_group_segment_fixed_size 0
		.amdhsa_private_segment_fixed_size 0
		.amdhsa_kernarg_size 288
		.amdhsa_user_sgpr_count 6
		.amdhsa_user_sgpr_private_segment_buffer 1
		.amdhsa_user_sgpr_dispatch_ptr 0
		.amdhsa_user_sgpr_queue_ptr 0
		.amdhsa_user_sgpr_kernarg_segment_ptr 1
		.amdhsa_user_sgpr_dispatch_id 0
		.amdhsa_user_sgpr_flat_scratch_init 0
		.amdhsa_user_sgpr_private_segment_size 0
		.amdhsa_uses_dynamic_stack 0
		.amdhsa_system_sgpr_private_segment_wavefront_offset 0
		.amdhsa_system_sgpr_workgroup_id_x 1
		.amdhsa_system_sgpr_workgroup_id_y 0
		.amdhsa_system_sgpr_workgroup_id_z 0
		.amdhsa_system_sgpr_workgroup_info 0
		.amdhsa_system_vgpr_workitem_id 0
		.amdhsa_next_free_vgpr 9
		.amdhsa_next_free_sgpr 10
		.amdhsa_reserve_vcc 1
		.amdhsa_reserve_flat_scratch 0
		.amdhsa_float_round_mode_32 0
		.amdhsa_float_round_mode_16_64 0
		.amdhsa_float_denorm_mode_32 3
		.amdhsa_float_denorm_mode_16_64 3
		.amdhsa_dx10_clamp 1
		.amdhsa_ieee_mode 1
		.amdhsa_fp16_overflow 0
		.amdhsa_exception_fp_ieee_invalid_op 0
		.amdhsa_exception_fp_denorm_src 0
		.amdhsa_exception_fp_ieee_div_zero 0
		.amdhsa_exception_fp_ieee_overflow 0
		.amdhsa_exception_fp_ieee_underflow 0
		.amdhsa_exception_fp_ieee_inexact 0
		.amdhsa_exception_int_div_zero 0
	.end_amdhsa_kernel
	.section	.text._Z16warp_scan_kernelI6__halfLj32ELj2EENSt9enable_ifIXsr10test_utilsE35device_test_enabled_for_warp_size_vIXT1_EEEvE4typeEPT_S5_S5_S4_,"axG",@progbits,_Z16warp_scan_kernelI6__halfLj32ELj2EENSt9enable_ifIXsr10test_utilsE35device_test_enabled_for_warp_size_vIXT1_EEEvE4typeEPT_S5_S5_S4_,comdat
.Lfunc_end260:
	.size	_Z16warp_scan_kernelI6__halfLj32ELj2EENSt9enable_ifIXsr10test_utilsE35device_test_enabled_for_warp_size_vIXT1_EEEvE4typeEPT_S5_S5_S4_, .Lfunc_end260-_Z16warp_scan_kernelI6__halfLj32ELj2EENSt9enable_ifIXsr10test_utilsE35device_test_enabled_for_warp_size_vIXT1_EEEvE4typeEPT_S5_S5_S4_
                                        ; -- End function
	.set _Z16warp_scan_kernelI6__halfLj32ELj2EENSt9enable_ifIXsr10test_utilsE35device_test_enabled_for_warp_size_vIXT1_EEEvE4typeEPT_S5_S5_S4_.num_vgpr, 9
	.set _Z16warp_scan_kernelI6__halfLj32ELj2EENSt9enable_ifIXsr10test_utilsE35device_test_enabled_for_warp_size_vIXT1_EEEvE4typeEPT_S5_S5_S4_.num_agpr, 0
	.set _Z16warp_scan_kernelI6__halfLj32ELj2EENSt9enable_ifIXsr10test_utilsE35device_test_enabled_for_warp_size_vIXT1_EEEvE4typeEPT_S5_S5_S4_.numbered_sgpr, 10
	.set _Z16warp_scan_kernelI6__halfLj32ELj2EENSt9enable_ifIXsr10test_utilsE35device_test_enabled_for_warp_size_vIXT1_EEEvE4typeEPT_S5_S5_S4_.num_named_barrier, 0
	.set _Z16warp_scan_kernelI6__halfLj32ELj2EENSt9enable_ifIXsr10test_utilsE35device_test_enabled_for_warp_size_vIXT1_EEEvE4typeEPT_S5_S5_S4_.private_seg_size, 0
	.set _Z16warp_scan_kernelI6__halfLj32ELj2EENSt9enable_ifIXsr10test_utilsE35device_test_enabled_for_warp_size_vIXT1_EEEvE4typeEPT_S5_S5_S4_.uses_vcc, 1
	.set _Z16warp_scan_kernelI6__halfLj32ELj2EENSt9enable_ifIXsr10test_utilsE35device_test_enabled_for_warp_size_vIXT1_EEEvE4typeEPT_S5_S5_S4_.uses_flat_scratch, 0
	.set _Z16warp_scan_kernelI6__halfLj32ELj2EENSt9enable_ifIXsr10test_utilsE35device_test_enabled_for_warp_size_vIXT1_EEEvE4typeEPT_S5_S5_S4_.has_dyn_sized_stack, 0
	.set _Z16warp_scan_kernelI6__halfLj32ELj2EENSt9enable_ifIXsr10test_utilsE35device_test_enabled_for_warp_size_vIXT1_EEEvE4typeEPT_S5_S5_S4_.has_recursion, 0
	.set _Z16warp_scan_kernelI6__halfLj32ELj2EENSt9enable_ifIXsr10test_utilsE35device_test_enabled_for_warp_size_vIXT1_EEEvE4typeEPT_S5_S5_S4_.has_indirect_call, 0
	.section	.AMDGPU.csdata,"",@progbits
; Kernel info:
; codeLenInByte = 244
; TotalNumSgprs: 14
; NumVgprs: 9
; ScratchSize: 0
; MemoryBound: 0
; FloatMode: 240
; IeeeMode: 1
; LDSByteSize: 0 bytes/workgroup (compile time only)
; SGPRBlocks: 1
; VGPRBlocks: 2
; NumSGPRsForWavesPerEU: 14
; NumVGPRsForWavesPerEU: 9
; Occupancy: 10
; WaveLimiterHint : 0
; COMPUTE_PGM_RSRC2:SCRATCH_EN: 0
; COMPUTE_PGM_RSRC2:USER_SGPR: 6
; COMPUTE_PGM_RSRC2:TRAP_HANDLER: 0
; COMPUTE_PGM_RSRC2:TGID_X_EN: 1
; COMPUTE_PGM_RSRC2:TGID_Y_EN: 0
; COMPUTE_PGM_RSRC2:TGID_Z_EN: 0
; COMPUTE_PGM_RSRC2:TIDIG_COMP_CNT: 0
	.section	.text._Z16warp_scan_kernelI6__halfLj64ELj2EENSt9enable_ifIXsr10test_utilsE35device_test_enabled_for_warp_size_vIXT1_EEEvE4typeEPT_S5_S5_S4_,"axG",@progbits,_Z16warp_scan_kernelI6__halfLj64ELj2EENSt9enable_ifIXsr10test_utilsE35device_test_enabled_for_warp_size_vIXT1_EEEvE4typeEPT_S5_S5_S4_,comdat
	.protected	_Z16warp_scan_kernelI6__halfLj64ELj2EENSt9enable_ifIXsr10test_utilsE35device_test_enabled_for_warp_size_vIXT1_EEEvE4typeEPT_S5_S5_S4_ ; -- Begin function _Z16warp_scan_kernelI6__halfLj64ELj2EENSt9enable_ifIXsr10test_utilsE35device_test_enabled_for_warp_size_vIXT1_EEEvE4typeEPT_S5_S5_S4_
	.globl	_Z16warp_scan_kernelI6__halfLj64ELj2EENSt9enable_ifIXsr10test_utilsE35device_test_enabled_for_warp_size_vIXT1_EEEvE4typeEPT_S5_S5_S4_
	.p2align	8
	.type	_Z16warp_scan_kernelI6__halfLj64ELj2EENSt9enable_ifIXsr10test_utilsE35device_test_enabled_for_warp_size_vIXT1_EEEvE4typeEPT_S5_S5_S4_,@function
_Z16warp_scan_kernelI6__halfLj64ELj2EENSt9enable_ifIXsr10test_utilsE35device_test_enabled_for_warp_size_vIXT1_EEEvE4typeEPT_S5_S5_S4_: ; @_Z16warp_scan_kernelI6__halfLj64ELj2EENSt9enable_ifIXsr10test_utilsE35device_test_enabled_for_warp_size_vIXT1_EEEvE4typeEPT_S5_S5_S4_
; %bb.0:
	s_load_dword s7, s[4:5], 0x2c
	s_load_dwordx4 s[0:3], s[4:5], 0x0
	s_load_dwordx2 s[8:9], s[4:5], 0x10
	v_mov_b32_e32 v1, 0
	s_waitcnt lgkmcnt(0)
	s_and_b32 s7, s7, 0xffff
	s_mul_i32 s6, s6, s7
	v_add_u32_e32 v0, s6, v0
	v_lshlrev_b64 v[0:1], 1, v[0:1]
	v_mov_b32_e32 v3, s1
	v_add_co_u32_e32 v2, vcc, s0, v0
	v_addc_co_u32_e32 v3, vcc, v3, v1, vcc
	global_load_ushort v2, v[2:3], off
	v_mbcnt_lo_u32_b32 v3, -1, 0
	s_load_dword s0, s[4:5], 0x18
	v_mbcnt_hi_u32_b32 v3, -1, v3
	v_add_u32_e32 v5, -1, v3
	v_and_b32_e32 v6, 0x7e, v3
	v_and_b32_e32 v4, 1, v3
	v_cmp_lt_i32_e32 vcc, v5, v6
	v_cndmask_b32_e32 v3, v5, v3, vcc
	v_cmp_eq_u32_e32 vcc, 0, v4
	v_lshlrev_b32_e32 v3, 2, v3
	s_waitcnt lgkmcnt(0)
	v_mov_b32_e32 v5, s0
	v_mov_b32_e32 v6, s3
	;; [unrolled: 1-line block ×3, first 2 shown]
	s_waitcnt vmcnt(0)
	v_and_b32_e32 v8, 0xffff, v2
	s_nop 1
	v_mov_b32_dpp v8, v8 row_shr:1 row_mask:0xf bank_mask:0xf
	v_add_f16_e32 v8, v2, v8
	v_cndmask_b32_e32 v2, v8, v2, vcc
	v_add_f16_e32 v4, s0, v2
	ds_bpermute_b32 v8, v3, v4
	v_add_co_u32_e64 v2, s[0:1], s2, v0
	v_addc_co_u32_e64 v3, s[0:1], v6, v1, s[0:1]
	global_store_short v[2:3], v4, off
	s_waitcnt lgkmcnt(0)
	v_cndmask_b32_e32 v2, v8, v5, vcc
	v_add_co_u32_e32 v0, vcc, s8, v0
	v_addc_co_u32_e32 v1, vcc, v7, v1, vcc
	global_store_short v[0:1], v2, off
	s_endpgm
	.section	.rodata,"a",@progbits
	.p2align	6, 0x0
	.amdhsa_kernel _Z16warp_scan_kernelI6__halfLj64ELj2EENSt9enable_ifIXsr10test_utilsE35device_test_enabled_for_warp_size_vIXT1_EEEvE4typeEPT_S5_S5_S4_
		.amdhsa_group_segment_fixed_size 0
		.amdhsa_private_segment_fixed_size 0
		.amdhsa_kernarg_size 288
		.amdhsa_user_sgpr_count 6
		.amdhsa_user_sgpr_private_segment_buffer 1
		.amdhsa_user_sgpr_dispatch_ptr 0
		.amdhsa_user_sgpr_queue_ptr 0
		.amdhsa_user_sgpr_kernarg_segment_ptr 1
		.amdhsa_user_sgpr_dispatch_id 0
		.amdhsa_user_sgpr_flat_scratch_init 0
		.amdhsa_user_sgpr_private_segment_size 0
		.amdhsa_uses_dynamic_stack 0
		.amdhsa_system_sgpr_private_segment_wavefront_offset 0
		.amdhsa_system_sgpr_workgroup_id_x 1
		.amdhsa_system_sgpr_workgroup_id_y 0
		.amdhsa_system_sgpr_workgroup_id_z 0
		.amdhsa_system_sgpr_workgroup_info 0
		.amdhsa_system_vgpr_workitem_id 0
		.amdhsa_next_free_vgpr 9
		.amdhsa_next_free_sgpr 10
		.amdhsa_reserve_vcc 1
		.amdhsa_reserve_flat_scratch 0
		.amdhsa_float_round_mode_32 0
		.amdhsa_float_round_mode_16_64 0
		.amdhsa_float_denorm_mode_32 3
		.amdhsa_float_denorm_mode_16_64 3
		.amdhsa_dx10_clamp 1
		.amdhsa_ieee_mode 1
		.amdhsa_fp16_overflow 0
		.amdhsa_exception_fp_ieee_invalid_op 0
		.amdhsa_exception_fp_denorm_src 0
		.amdhsa_exception_fp_ieee_div_zero 0
		.amdhsa_exception_fp_ieee_overflow 0
		.amdhsa_exception_fp_ieee_underflow 0
		.amdhsa_exception_fp_ieee_inexact 0
		.amdhsa_exception_int_div_zero 0
	.end_amdhsa_kernel
	.section	.text._Z16warp_scan_kernelI6__halfLj64ELj2EENSt9enable_ifIXsr10test_utilsE35device_test_enabled_for_warp_size_vIXT1_EEEvE4typeEPT_S5_S5_S4_,"axG",@progbits,_Z16warp_scan_kernelI6__halfLj64ELj2EENSt9enable_ifIXsr10test_utilsE35device_test_enabled_for_warp_size_vIXT1_EEEvE4typeEPT_S5_S5_S4_,comdat
.Lfunc_end261:
	.size	_Z16warp_scan_kernelI6__halfLj64ELj2EENSt9enable_ifIXsr10test_utilsE35device_test_enabled_for_warp_size_vIXT1_EEEvE4typeEPT_S5_S5_S4_, .Lfunc_end261-_Z16warp_scan_kernelI6__halfLj64ELj2EENSt9enable_ifIXsr10test_utilsE35device_test_enabled_for_warp_size_vIXT1_EEEvE4typeEPT_S5_S5_S4_
                                        ; -- End function
	.set _Z16warp_scan_kernelI6__halfLj64ELj2EENSt9enable_ifIXsr10test_utilsE35device_test_enabled_for_warp_size_vIXT1_EEEvE4typeEPT_S5_S5_S4_.num_vgpr, 9
	.set _Z16warp_scan_kernelI6__halfLj64ELj2EENSt9enable_ifIXsr10test_utilsE35device_test_enabled_for_warp_size_vIXT1_EEEvE4typeEPT_S5_S5_S4_.num_agpr, 0
	.set _Z16warp_scan_kernelI6__halfLj64ELj2EENSt9enable_ifIXsr10test_utilsE35device_test_enabled_for_warp_size_vIXT1_EEEvE4typeEPT_S5_S5_S4_.numbered_sgpr, 10
	.set _Z16warp_scan_kernelI6__halfLj64ELj2EENSt9enable_ifIXsr10test_utilsE35device_test_enabled_for_warp_size_vIXT1_EEEvE4typeEPT_S5_S5_S4_.num_named_barrier, 0
	.set _Z16warp_scan_kernelI6__halfLj64ELj2EENSt9enable_ifIXsr10test_utilsE35device_test_enabled_for_warp_size_vIXT1_EEEvE4typeEPT_S5_S5_S4_.private_seg_size, 0
	.set _Z16warp_scan_kernelI6__halfLj64ELj2EENSt9enable_ifIXsr10test_utilsE35device_test_enabled_for_warp_size_vIXT1_EEEvE4typeEPT_S5_S5_S4_.uses_vcc, 1
	.set _Z16warp_scan_kernelI6__halfLj64ELj2EENSt9enable_ifIXsr10test_utilsE35device_test_enabled_for_warp_size_vIXT1_EEEvE4typeEPT_S5_S5_S4_.uses_flat_scratch, 0
	.set _Z16warp_scan_kernelI6__halfLj64ELj2EENSt9enable_ifIXsr10test_utilsE35device_test_enabled_for_warp_size_vIXT1_EEEvE4typeEPT_S5_S5_S4_.has_dyn_sized_stack, 0
	.set _Z16warp_scan_kernelI6__halfLj64ELj2EENSt9enable_ifIXsr10test_utilsE35device_test_enabled_for_warp_size_vIXT1_EEEvE4typeEPT_S5_S5_S4_.has_recursion, 0
	.set _Z16warp_scan_kernelI6__halfLj64ELj2EENSt9enable_ifIXsr10test_utilsE35device_test_enabled_for_warp_size_vIXT1_EEEvE4typeEPT_S5_S5_S4_.has_indirect_call, 0
	.section	.AMDGPU.csdata,"",@progbits
; Kernel info:
; codeLenInByte = 244
; TotalNumSgprs: 14
; NumVgprs: 9
; ScratchSize: 0
; MemoryBound: 0
; FloatMode: 240
; IeeeMode: 1
; LDSByteSize: 0 bytes/workgroup (compile time only)
; SGPRBlocks: 1
; VGPRBlocks: 2
; NumSGPRsForWavesPerEU: 14
; NumVGPRsForWavesPerEU: 9
; Occupancy: 10
; WaveLimiterHint : 0
; COMPUTE_PGM_RSRC2:SCRATCH_EN: 0
; COMPUTE_PGM_RSRC2:USER_SGPR: 6
; COMPUTE_PGM_RSRC2:TRAP_HANDLER: 0
; COMPUTE_PGM_RSRC2:TGID_X_EN: 1
; COMPUTE_PGM_RSRC2:TGID_Y_EN: 0
; COMPUTE_PGM_RSRC2:TGID_Z_EN: 0
; COMPUTE_PGM_RSRC2:TIDIG_COMP_CNT: 0
	.section	.text._Z16warp_scan_kernelIfLj256ELj64EENSt9enable_ifIXsr10test_utilsE35device_test_enabled_for_warp_size_vIXT1_EEEvE4typeEPT_S4_S4_S3_,"axG",@progbits,_Z16warp_scan_kernelIfLj256ELj64EENSt9enable_ifIXsr10test_utilsE35device_test_enabled_for_warp_size_vIXT1_EEEvE4typeEPT_S4_S4_S3_,comdat
	.protected	_Z16warp_scan_kernelIfLj256ELj64EENSt9enable_ifIXsr10test_utilsE35device_test_enabled_for_warp_size_vIXT1_EEEvE4typeEPT_S4_S4_S3_ ; -- Begin function _Z16warp_scan_kernelIfLj256ELj64EENSt9enable_ifIXsr10test_utilsE35device_test_enabled_for_warp_size_vIXT1_EEEvE4typeEPT_S4_S4_S3_
	.globl	_Z16warp_scan_kernelIfLj256ELj64EENSt9enable_ifIXsr10test_utilsE35device_test_enabled_for_warp_size_vIXT1_EEEvE4typeEPT_S4_S4_S3_
	.p2align	8
	.type	_Z16warp_scan_kernelIfLj256ELj64EENSt9enable_ifIXsr10test_utilsE35device_test_enabled_for_warp_size_vIXT1_EEEvE4typeEPT_S4_S4_S3_,@function
_Z16warp_scan_kernelIfLj256ELj64EENSt9enable_ifIXsr10test_utilsE35device_test_enabled_for_warp_size_vIXT1_EEEvE4typeEPT_S4_S4_S3_: ; @_Z16warp_scan_kernelIfLj256ELj64EENSt9enable_ifIXsr10test_utilsE35device_test_enabled_for_warp_size_vIXT1_EEEvE4typeEPT_S4_S4_S3_
; %bb.0:
	s_load_dword s7, s[4:5], 0x2c
	s_load_dwordx4 s[0:3], s[4:5], 0x0
	s_load_dwordx2 s[8:9], s[4:5], 0x10
	v_mov_b32_e32 v1, 0
	s_load_dword s4, s[4:5], 0x18
	s_waitcnt lgkmcnt(0)
	s_and_b32 s7, s7, 0xffff
	s_mul_i32 s6, s6, s7
	v_add_u32_e32 v0, s6, v0
	v_lshlrev_b64 v[0:1], 2, v[0:1]
	v_mov_b32_e32 v3, s1
	v_add_co_u32_e32 v2, vcc, s0, v0
	v_addc_co_u32_e32 v3, vcc, v3, v1, vcc
	global_load_dword v2, v[2:3], off
	v_mbcnt_lo_u32_b32 v3, -1, 0
	v_mbcnt_hi_u32_b32 v3, -1, v3
	v_and_b32_e32 v6, 64, v3
	v_subrev_co_u32_e32 v8, vcc, 1, v3
	v_cmp_lt_i32_e64 s[0:1], v8, v6
	v_and_b32_e32 v4, 15, v3
	v_cndmask_b32_e64 v6, v8, v3, s[0:1]
	v_cmp_eq_u32_e64 s[0:1], 0, v4
	v_and_b32_e32 v5, 16, v3
	v_lshlrev_b32_e32 v6, 2, v6
	v_mov_b32_e32 v9, s3
	v_mov_b32_e32 v7, s4
	;; [unrolled: 1-line block ×3, first 2 shown]
	s_waitcnt vmcnt(0)
	v_mov_b32_dpp v8, v2 row_shr:1 row_mask:0xf bank_mask:0xf
	v_add_f32_e32 v8, v2, v8
	v_cndmask_b32_e64 v2, v8, v2, s[0:1]
	v_cmp_lt_u32_e64 s[0:1], 1, v4
	s_nop 0
	v_mov_b32_dpp v8, v2 row_shr:2 row_mask:0xf bank_mask:0xf
	v_add_f32_e32 v8, v2, v8
	v_cndmask_b32_e64 v2, v2, v8, s[0:1]
	v_cmp_lt_u32_e64 s[0:1], 3, v4
	s_nop 0
	;; [unrolled: 5-line block ×3, first 2 shown]
	v_mov_b32_dpp v8, v2 row_shr:8 row_mask:0xf bank_mask:0xf
	v_add_f32_e32 v8, v2, v8
	v_cndmask_b32_e64 v2, v2, v8, s[0:1]
	v_cmp_eq_u32_e64 s[0:1], 0, v5
	s_nop 0
	v_mov_b32_dpp v4, v2 row_bcast:15 row_mask:0xf bank_mask:0xf
	v_add_f32_e32 v4, v2, v4
	v_cndmask_b32_e64 v2, v4, v2, s[0:1]
	v_cmp_lt_u32_e64 s[0:1], 31, v3
	s_nop 0
	v_mov_b32_dpp v4, v2 row_bcast:31 row_mask:0xf bank_mask:0xf
	v_add_f32_e32 v4, v2, v4
	v_cndmask_b32_e64 v2, v2, v4, s[0:1]
	v_add_f32_e32 v4, s4, v2
	ds_bpermute_b32 v5, v6, v4
	v_add_co_u32_e64 v2, s[0:1], s2, v0
	v_addc_co_u32_e64 v3, s[0:1], v9, v1, s[0:1]
	global_store_dword v[2:3], v4, off
	s_waitcnt lgkmcnt(0)
	v_cndmask_b32_e32 v2, v5, v7, vcc
	v_add_co_u32_e32 v0, vcc, s8, v0
	v_addc_co_u32_e32 v1, vcc, v10, v1, vcc
	global_store_dword v[0:1], v2, off
	s_endpgm
	.section	.rodata,"a",@progbits
	.p2align	6, 0x0
	.amdhsa_kernel _Z16warp_scan_kernelIfLj256ELj64EENSt9enable_ifIXsr10test_utilsE35device_test_enabled_for_warp_size_vIXT1_EEEvE4typeEPT_S4_S4_S3_
		.amdhsa_group_segment_fixed_size 0
		.amdhsa_private_segment_fixed_size 0
		.amdhsa_kernarg_size 288
		.amdhsa_user_sgpr_count 6
		.amdhsa_user_sgpr_private_segment_buffer 1
		.amdhsa_user_sgpr_dispatch_ptr 0
		.amdhsa_user_sgpr_queue_ptr 0
		.amdhsa_user_sgpr_kernarg_segment_ptr 1
		.amdhsa_user_sgpr_dispatch_id 0
		.amdhsa_user_sgpr_flat_scratch_init 0
		.amdhsa_user_sgpr_private_segment_size 0
		.amdhsa_uses_dynamic_stack 0
		.amdhsa_system_sgpr_private_segment_wavefront_offset 0
		.amdhsa_system_sgpr_workgroup_id_x 1
		.amdhsa_system_sgpr_workgroup_id_y 0
		.amdhsa_system_sgpr_workgroup_id_z 0
		.amdhsa_system_sgpr_workgroup_info 0
		.amdhsa_system_vgpr_workitem_id 0
		.amdhsa_next_free_vgpr 11
		.amdhsa_next_free_sgpr 10
		.amdhsa_reserve_vcc 1
		.amdhsa_reserve_flat_scratch 0
		.amdhsa_float_round_mode_32 0
		.amdhsa_float_round_mode_16_64 0
		.amdhsa_float_denorm_mode_32 3
		.amdhsa_float_denorm_mode_16_64 3
		.amdhsa_dx10_clamp 1
		.amdhsa_ieee_mode 1
		.amdhsa_fp16_overflow 0
		.amdhsa_exception_fp_ieee_invalid_op 0
		.amdhsa_exception_fp_denorm_src 0
		.amdhsa_exception_fp_ieee_div_zero 0
		.amdhsa_exception_fp_ieee_overflow 0
		.amdhsa_exception_fp_ieee_underflow 0
		.amdhsa_exception_fp_ieee_inexact 0
		.amdhsa_exception_int_div_zero 0
	.end_amdhsa_kernel
	.section	.text._Z16warp_scan_kernelIfLj256ELj64EENSt9enable_ifIXsr10test_utilsE35device_test_enabled_for_warp_size_vIXT1_EEEvE4typeEPT_S4_S4_S3_,"axG",@progbits,_Z16warp_scan_kernelIfLj256ELj64EENSt9enable_ifIXsr10test_utilsE35device_test_enabled_for_warp_size_vIXT1_EEEvE4typeEPT_S4_S4_S3_,comdat
.Lfunc_end262:
	.size	_Z16warp_scan_kernelIfLj256ELj64EENSt9enable_ifIXsr10test_utilsE35device_test_enabled_for_warp_size_vIXT1_EEEvE4typeEPT_S4_S4_S3_, .Lfunc_end262-_Z16warp_scan_kernelIfLj256ELj64EENSt9enable_ifIXsr10test_utilsE35device_test_enabled_for_warp_size_vIXT1_EEEvE4typeEPT_S4_S4_S3_
                                        ; -- End function
	.set _Z16warp_scan_kernelIfLj256ELj64EENSt9enable_ifIXsr10test_utilsE35device_test_enabled_for_warp_size_vIXT1_EEEvE4typeEPT_S4_S4_S3_.num_vgpr, 11
	.set _Z16warp_scan_kernelIfLj256ELj64EENSt9enable_ifIXsr10test_utilsE35device_test_enabled_for_warp_size_vIXT1_EEEvE4typeEPT_S4_S4_S3_.num_agpr, 0
	.set _Z16warp_scan_kernelIfLj256ELj64EENSt9enable_ifIXsr10test_utilsE35device_test_enabled_for_warp_size_vIXT1_EEEvE4typeEPT_S4_S4_S3_.numbered_sgpr, 10
	.set _Z16warp_scan_kernelIfLj256ELj64EENSt9enable_ifIXsr10test_utilsE35device_test_enabled_for_warp_size_vIXT1_EEEvE4typeEPT_S4_S4_S3_.num_named_barrier, 0
	.set _Z16warp_scan_kernelIfLj256ELj64EENSt9enable_ifIXsr10test_utilsE35device_test_enabled_for_warp_size_vIXT1_EEEvE4typeEPT_S4_S4_S3_.private_seg_size, 0
	.set _Z16warp_scan_kernelIfLj256ELj64EENSt9enable_ifIXsr10test_utilsE35device_test_enabled_for_warp_size_vIXT1_EEEvE4typeEPT_S4_S4_S3_.uses_vcc, 1
	.set _Z16warp_scan_kernelIfLj256ELj64EENSt9enable_ifIXsr10test_utilsE35device_test_enabled_for_warp_size_vIXT1_EEEvE4typeEPT_S4_S4_S3_.uses_flat_scratch, 0
	.set _Z16warp_scan_kernelIfLj256ELj64EENSt9enable_ifIXsr10test_utilsE35device_test_enabled_for_warp_size_vIXT1_EEEvE4typeEPT_S4_S4_S3_.has_dyn_sized_stack, 0
	.set _Z16warp_scan_kernelIfLj256ELj64EENSt9enable_ifIXsr10test_utilsE35device_test_enabled_for_warp_size_vIXT1_EEEvE4typeEPT_S4_S4_S3_.has_recursion, 0
	.set _Z16warp_scan_kernelIfLj256ELj64EENSt9enable_ifIXsr10test_utilsE35device_test_enabled_for_warp_size_vIXT1_EEEvE4typeEPT_S4_S4_S3_.has_indirect_call, 0
	.section	.AMDGPU.csdata,"",@progbits
; Kernel info:
; codeLenInByte = 404
; TotalNumSgprs: 14
; NumVgprs: 11
; ScratchSize: 0
; MemoryBound: 0
; FloatMode: 240
; IeeeMode: 1
; LDSByteSize: 0 bytes/workgroup (compile time only)
; SGPRBlocks: 1
; VGPRBlocks: 2
; NumSGPRsForWavesPerEU: 14
; NumVGPRsForWavesPerEU: 11
; Occupancy: 10
; WaveLimiterHint : 0
; COMPUTE_PGM_RSRC2:SCRATCH_EN: 0
; COMPUTE_PGM_RSRC2:USER_SGPR: 6
; COMPUTE_PGM_RSRC2:TRAP_HANDLER: 0
; COMPUTE_PGM_RSRC2:TGID_X_EN: 1
; COMPUTE_PGM_RSRC2:TGID_Y_EN: 0
; COMPUTE_PGM_RSRC2:TGID_Z_EN: 0
; COMPUTE_PGM_RSRC2:TIDIG_COMP_CNT: 0
	.section	.text._Z16warp_scan_kernelIfLj128ELj32EENSt9enable_ifIXsr10test_utilsE35device_test_enabled_for_warp_size_vIXT1_EEEvE4typeEPT_S4_S4_S3_,"axG",@progbits,_Z16warp_scan_kernelIfLj128ELj32EENSt9enable_ifIXsr10test_utilsE35device_test_enabled_for_warp_size_vIXT1_EEEvE4typeEPT_S4_S4_S3_,comdat
	.protected	_Z16warp_scan_kernelIfLj128ELj32EENSt9enable_ifIXsr10test_utilsE35device_test_enabled_for_warp_size_vIXT1_EEEvE4typeEPT_S4_S4_S3_ ; -- Begin function _Z16warp_scan_kernelIfLj128ELj32EENSt9enable_ifIXsr10test_utilsE35device_test_enabled_for_warp_size_vIXT1_EEEvE4typeEPT_S4_S4_S3_
	.globl	_Z16warp_scan_kernelIfLj128ELj32EENSt9enable_ifIXsr10test_utilsE35device_test_enabled_for_warp_size_vIXT1_EEEvE4typeEPT_S4_S4_S3_
	.p2align	8
	.type	_Z16warp_scan_kernelIfLj128ELj32EENSt9enable_ifIXsr10test_utilsE35device_test_enabled_for_warp_size_vIXT1_EEEvE4typeEPT_S4_S4_S3_,@function
_Z16warp_scan_kernelIfLj128ELj32EENSt9enable_ifIXsr10test_utilsE35device_test_enabled_for_warp_size_vIXT1_EEEvE4typeEPT_S4_S4_S3_: ; @_Z16warp_scan_kernelIfLj128ELj32EENSt9enable_ifIXsr10test_utilsE35device_test_enabled_for_warp_size_vIXT1_EEEvE4typeEPT_S4_S4_S3_
; %bb.0:
	s_load_dword s7, s[4:5], 0x2c
	s_load_dwordx4 s[0:3], s[4:5], 0x0
	s_load_dwordx2 s[8:9], s[4:5], 0x10
	v_mov_b32_e32 v1, 0
	s_waitcnt lgkmcnt(0)
	s_and_b32 s7, s7, 0xffff
	s_mul_i32 s6, s6, s7
	v_add_u32_e32 v0, s6, v0
	v_lshlrev_b64 v[0:1], 2, v[0:1]
	v_mov_b32_e32 v3, s1
	v_add_co_u32_e32 v2, vcc, s0, v0
	v_addc_co_u32_e32 v3, vcc, v3, v1, vcc
	global_load_dword v2, v[2:3], off
	v_mbcnt_lo_u32_b32 v3, -1, 0
	v_mbcnt_hi_u32_b32 v3, -1, v3
	v_add_u32_e32 v6, -1, v3
	v_and_b32_e32 v7, 0x60, v3
	v_and_b32_e32 v4, 15, v3
	v_cmp_lt_i32_e32 vcc, v6, v7
	v_and_b32_e32 v5, 16, v3
	v_and_b32_e32 v8, 31, v3
	v_cndmask_b32_e32 v3, v6, v3, vcc
	v_cmp_eq_u32_e32 vcc, 0, v4
	s_load_dword s0, s[4:5], 0x18
	v_lshlrev_b32_e32 v3, 2, v3
	v_mov_b32_e32 v7, s3
	v_mov_b32_e32 v9, s9
	s_waitcnt lgkmcnt(0)
	v_mov_b32_e32 v6, s0
	s_waitcnt vmcnt(0)
	v_mov_b32_dpp v10, v2 row_shr:1 row_mask:0xf bank_mask:0xf
	v_add_f32_e32 v10, v2, v10
	v_cndmask_b32_e32 v2, v10, v2, vcc
	v_cmp_lt_u32_e32 vcc, 1, v4
	s_nop 0
	v_mov_b32_dpp v10, v2 row_shr:2 row_mask:0xf bank_mask:0xf
	v_add_f32_e32 v10, v2, v10
	v_cndmask_b32_e32 v2, v2, v10, vcc
	v_cmp_lt_u32_e32 vcc, 3, v4
	s_nop 0
	;; [unrolled: 5-line block ×3, first 2 shown]
	v_mov_b32_dpp v10, v2 row_shr:8 row_mask:0xf bank_mask:0xf
	v_add_f32_e32 v10, v2, v10
	v_cndmask_b32_e32 v2, v2, v10, vcc
	v_cmp_eq_u32_e32 vcc, 0, v5
	s_nop 0
	v_mov_b32_dpp v4, v2 row_bcast:15 row_mask:0xf bank_mask:0xf
	v_add_f32_e32 v4, v2, v4
	v_cndmask_b32_e32 v2, v4, v2, vcc
	v_add_f32_e32 v4, s0, v2
	ds_bpermute_b32 v5, v3, v4
	v_add_co_u32_e32 v2, vcc, s2, v0
	v_addc_co_u32_e32 v3, vcc, v7, v1, vcc
	v_cmp_eq_u32_e32 vcc, 0, v8
	global_store_dword v[2:3], v4, off
	s_waitcnt lgkmcnt(0)
	v_cndmask_b32_e32 v2, v5, v6, vcc
	v_add_co_u32_e32 v0, vcc, s8, v0
	v_addc_co_u32_e32 v1, vcc, v9, v1, vcc
	global_store_dword v[0:1], v2, off
	s_endpgm
	.section	.rodata,"a",@progbits
	.p2align	6, 0x0
	.amdhsa_kernel _Z16warp_scan_kernelIfLj128ELj32EENSt9enable_ifIXsr10test_utilsE35device_test_enabled_for_warp_size_vIXT1_EEEvE4typeEPT_S4_S4_S3_
		.amdhsa_group_segment_fixed_size 0
		.amdhsa_private_segment_fixed_size 0
		.amdhsa_kernarg_size 288
		.amdhsa_user_sgpr_count 6
		.amdhsa_user_sgpr_private_segment_buffer 1
		.amdhsa_user_sgpr_dispatch_ptr 0
		.amdhsa_user_sgpr_queue_ptr 0
		.amdhsa_user_sgpr_kernarg_segment_ptr 1
		.amdhsa_user_sgpr_dispatch_id 0
		.amdhsa_user_sgpr_flat_scratch_init 0
		.amdhsa_user_sgpr_private_segment_size 0
		.amdhsa_uses_dynamic_stack 0
		.amdhsa_system_sgpr_private_segment_wavefront_offset 0
		.amdhsa_system_sgpr_workgroup_id_x 1
		.amdhsa_system_sgpr_workgroup_id_y 0
		.amdhsa_system_sgpr_workgroup_id_z 0
		.amdhsa_system_sgpr_workgroup_info 0
		.amdhsa_system_vgpr_workitem_id 0
		.amdhsa_next_free_vgpr 11
		.amdhsa_next_free_sgpr 10
		.amdhsa_reserve_vcc 1
		.amdhsa_reserve_flat_scratch 0
		.amdhsa_float_round_mode_32 0
		.amdhsa_float_round_mode_16_64 0
		.amdhsa_float_denorm_mode_32 3
		.amdhsa_float_denorm_mode_16_64 3
		.amdhsa_dx10_clamp 1
		.amdhsa_ieee_mode 1
		.amdhsa_fp16_overflow 0
		.amdhsa_exception_fp_ieee_invalid_op 0
		.amdhsa_exception_fp_denorm_src 0
		.amdhsa_exception_fp_ieee_div_zero 0
		.amdhsa_exception_fp_ieee_overflow 0
		.amdhsa_exception_fp_ieee_underflow 0
		.amdhsa_exception_fp_ieee_inexact 0
		.amdhsa_exception_int_div_zero 0
	.end_amdhsa_kernel
	.section	.text._Z16warp_scan_kernelIfLj128ELj32EENSt9enable_ifIXsr10test_utilsE35device_test_enabled_for_warp_size_vIXT1_EEEvE4typeEPT_S4_S4_S3_,"axG",@progbits,_Z16warp_scan_kernelIfLj128ELj32EENSt9enable_ifIXsr10test_utilsE35device_test_enabled_for_warp_size_vIXT1_EEEvE4typeEPT_S4_S4_S3_,comdat
.Lfunc_end263:
	.size	_Z16warp_scan_kernelIfLj128ELj32EENSt9enable_ifIXsr10test_utilsE35device_test_enabled_for_warp_size_vIXT1_EEEvE4typeEPT_S4_S4_S3_, .Lfunc_end263-_Z16warp_scan_kernelIfLj128ELj32EENSt9enable_ifIXsr10test_utilsE35device_test_enabled_for_warp_size_vIXT1_EEEvE4typeEPT_S4_S4_S3_
                                        ; -- End function
	.set _Z16warp_scan_kernelIfLj128ELj32EENSt9enable_ifIXsr10test_utilsE35device_test_enabled_for_warp_size_vIXT1_EEEvE4typeEPT_S4_S4_S3_.num_vgpr, 11
	.set _Z16warp_scan_kernelIfLj128ELj32EENSt9enable_ifIXsr10test_utilsE35device_test_enabled_for_warp_size_vIXT1_EEEvE4typeEPT_S4_S4_S3_.num_agpr, 0
	.set _Z16warp_scan_kernelIfLj128ELj32EENSt9enable_ifIXsr10test_utilsE35device_test_enabled_for_warp_size_vIXT1_EEEvE4typeEPT_S4_S4_S3_.numbered_sgpr, 10
	.set _Z16warp_scan_kernelIfLj128ELj32EENSt9enable_ifIXsr10test_utilsE35device_test_enabled_for_warp_size_vIXT1_EEEvE4typeEPT_S4_S4_S3_.num_named_barrier, 0
	.set _Z16warp_scan_kernelIfLj128ELj32EENSt9enable_ifIXsr10test_utilsE35device_test_enabled_for_warp_size_vIXT1_EEEvE4typeEPT_S4_S4_S3_.private_seg_size, 0
	.set _Z16warp_scan_kernelIfLj128ELj32EENSt9enable_ifIXsr10test_utilsE35device_test_enabled_for_warp_size_vIXT1_EEEvE4typeEPT_S4_S4_S3_.uses_vcc, 1
	.set _Z16warp_scan_kernelIfLj128ELj32EENSt9enable_ifIXsr10test_utilsE35device_test_enabled_for_warp_size_vIXT1_EEEvE4typeEPT_S4_S4_S3_.uses_flat_scratch, 0
	.set _Z16warp_scan_kernelIfLj128ELj32EENSt9enable_ifIXsr10test_utilsE35device_test_enabled_for_warp_size_vIXT1_EEEvE4typeEPT_S4_S4_S3_.has_dyn_sized_stack, 0
	.set _Z16warp_scan_kernelIfLj128ELj32EENSt9enable_ifIXsr10test_utilsE35device_test_enabled_for_warp_size_vIXT1_EEEvE4typeEPT_S4_S4_S3_.has_recursion, 0
	.set _Z16warp_scan_kernelIfLj128ELj32EENSt9enable_ifIXsr10test_utilsE35device_test_enabled_for_warp_size_vIXT1_EEEvE4typeEPT_S4_S4_S3_.has_indirect_call, 0
	.section	.AMDGPU.csdata,"",@progbits
; Kernel info:
; codeLenInByte = 332
; TotalNumSgprs: 14
; NumVgprs: 11
; ScratchSize: 0
; MemoryBound: 0
; FloatMode: 240
; IeeeMode: 1
; LDSByteSize: 0 bytes/workgroup (compile time only)
; SGPRBlocks: 1
; VGPRBlocks: 2
; NumSGPRsForWavesPerEU: 14
; NumVGPRsForWavesPerEU: 11
; Occupancy: 10
; WaveLimiterHint : 0
; COMPUTE_PGM_RSRC2:SCRATCH_EN: 0
; COMPUTE_PGM_RSRC2:USER_SGPR: 6
; COMPUTE_PGM_RSRC2:TRAP_HANDLER: 0
; COMPUTE_PGM_RSRC2:TGID_X_EN: 1
; COMPUTE_PGM_RSRC2:TGID_Y_EN: 0
; COMPUTE_PGM_RSRC2:TGID_Z_EN: 0
; COMPUTE_PGM_RSRC2:TIDIG_COMP_CNT: 0
	.section	.text._Z16warp_scan_kernelIfLj64ELj16EENSt9enable_ifIXsr10test_utilsE35device_test_enabled_for_warp_size_vIXT1_EEEvE4typeEPT_S4_S4_S3_,"axG",@progbits,_Z16warp_scan_kernelIfLj64ELj16EENSt9enable_ifIXsr10test_utilsE35device_test_enabled_for_warp_size_vIXT1_EEEvE4typeEPT_S4_S4_S3_,comdat
	.protected	_Z16warp_scan_kernelIfLj64ELj16EENSt9enable_ifIXsr10test_utilsE35device_test_enabled_for_warp_size_vIXT1_EEEvE4typeEPT_S4_S4_S3_ ; -- Begin function _Z16warp_scan_kernelIfLj64ELj16EENSt9enable_ifIXsr10test_utilsE35device_test_enabled_for_warp_size_vIXT1_EEEvE4typeEPT_S4_S4_S3_
	.globl	_Z16warp_scan_kernelIfLj64ELj16EENSt9enable_ifIXsr10test_utilsE35device_test_enabled_for_warp_size_vIXT1_EEEvE4typeEPT_S4_S4_S3_
	.p2align	8
	.type	_Z16warp_scan_kernelIfLj64ELj16EENSt9enable_ifIXsr10test_utilsE35device_test_enabled_for_warp_size_vIXT1_EEEvE4typeEPT_S4_S4_S3_,@function
_Z16warp_scan_kernelIfLj64ELj16EENSt9enable_ifIXsr10test_utilsE35device_test_enabled_for_warp_size_vIXT1_EEEvE4typeEPT_S4_S4_S3_: ; @_Z16warp_scan_kernelIfLj64ELj16EENSt9enable_ifIXsr10test_utilsE35device_test_enabled_for_warp_size_vIXT1_EEEvE4typeEPT_S4_S4_S3_
; %bb.0:
	s_load_dword s7, s[4:5], 0x2c
	s_load_dwordx4 s[0:3], s[4:5], 0x0
	s_load_dwordx2 s[8:9], s[4:5], 0x10
	v_mov_b32_e32 v1, 0
	s_load_dword s4, s[4:5], 0x18
	s_waitcnt lgkmcnt(0)
	s_and_b32 s7, s7, 0xffff
	s_mul_i32 s6, s6, s7
	v_add_u32_e32 v0, s6, v0
	v_lshlrev_b64 v[0:1], 2, v[0:1]
	v_mov_b32_e32 v3, s1
	v_add_co_u32_e32 v2, vcc, s0, v0
	v_addc_co_u32_e32 v3, vcc, v3, v1, vcc
	global_load_dword v2, v[2:3], off
	v_mbcnt_lo_u32_b32 v3, -1, 0
	v_mbcnt_hi_u32_b32 v3, -1, v3
	v_add_u32_e32 v5, -1, v3
	v_and_b32_e32 v6, 0x70, v3
	v_and_b32_e32 v4, 15, v3
	v_cmp_lt_i32_e32 vcc, v5, v6
	v_cndmask_b32_e32 v3, v5, v3, vcc
	v_cmp_eq_u32_e32 vcc, 0, v4
	v_cmp_lt_u32_e64 s[0:1], 1, v4
	v_lshlrev_b32_e32 v3, 2, v3
	v_mov_b32_e32 v6, s3
	v_mov_b32_e32 v5, s4
	;; [unrolled: 1-line block ×3, first 2 shown]
	s_waitcnt vmcnt(0)
	v_mov_b32_dpp v8, v2 row_shr:1 row_mask:0xf bank_mask:0xf
	v_add_f32_e32 v8, v2, v8
	v_cndmask_b32_e32 v2, v8, v2, vcc
	s_nop 1
	v_mov_b32_dpp v8, v2 row_shr:2 row_mask:0xf bank_mask:0xf
	v_add_f32_e32 v8, v2, v8
	v_cndmask_b32_e64 v2, v2, v8, s[0:1]
	v_cmp_lt_u32_e64 s[0:1], 3, v4
	s_nop 0
	v_mov_b32_dpp v8, v2 row_shr:4 row_mask:0xf bank_mask:0xf
	v_add_f32_e32 v8, v2, v8
	v_cndmask_b32_e64 v2, v2, v8, s[0:1]
	v_cmp_lt_u32_e64 s[0:1], 7, v4
	s_nop 0
	v_mov_b32_dpp v8, v2 row_shr:8 row_mask:0xf bank_mask:0xf
	v_add_f32_e32 v8, v2, v8
	v_cndmask_b32_e64 v2, v2, v8, s[0:1]
	v_add_f32_e32 v4, s4, v2
	ds_bpermute_b32 v8, v3, v4
	v_add_co_u32_e64 v2, s[0:1], s2, v0
	v_addc_co_u32_e64 v3, s[0:1], v6, v1, s[0:1]
	global_store_dword v[2:3], v4, off
	s_waitcnt lgkmcnt(0)
	v_cndmask_b32_e32 v2, v8, v5, vcc
	v_add_co_u32_e32 v0, vcc, s8, v0
	v_addc_co_u32_e32 v1, vcc, v7, v1, vcc
	global_store_dword v[0:1], v2, off
	s_endpgm
	.section	.rodata,"a",@progbits
	.p2align	6, 0x0
	.amdhsa_kernel _Z16warp_scan_kernelIfLj64ELj16EENSt9enable_ifIXsr10test_utilsE35device_test_enabled_for_warp_size_vIXT1_EEEvE4typeEPT_S4_S4_S3_
		.amdhsa_group_segment_fixed_size 0
		.amdhsa_private_segment_fixed_size 0
		.amdhsa_kernarg_size 288
		.amdhsa_user_sgpr_count 6
		.amdhsa_user_sgpr_private_segment_buffer 1
		.amdhsa_user_sgpr_dispatch_ptr 0
		.amdhsa_user_sgpr_queue_ptr 0
		.amdhsa_user_sgpr_kernarg_segment_ptr 1
		.amdhsa_user_sgpr_dispatch_id 0
		.amdhsa_user_sgpr_flat_scratch_init 0
		.amdhsa_user_sgpr_private_segment_size 0
		.amdhsa_uses_dynamic_stack 0
		.amdhsa_system_sgpr_private_segment_wavefront_offset 0
		.amdhsa_system_sgpr_workgroup_id_x 1
		.amdhsa_system_sgpr_workgroup_id_y 0
		.amdhsa_system_sgpr_workgroup_id_z 0
		.amdhsa_system_sgpr_workgroup_info 0
		.amdhsa_system_vgpr_workitem_id 0
		.amdhsa_next_free_vgpr 9
		.amdhsa_next_free_sgpr 10
		.amdhsa_reserve_vcc 1
		.amdhsa_reserve_flat_scratch 0
		.amdhsa_float_round_mode_32 0
		.amdhsa_float_round_mode_16_64 0
		.amdhsa_float_denorm_mode_32 3
		.amdhsa_float_denorm_mode_16_64 3
		.amdhsa_dx10_clamp 1
		.amdhsa_ieee_mode 1
		.amdhsa_fp16_overflow 0
		.amdhsa_exception_fp_ieee_invalid_op 0
		.amdhsa_exception_fp_denorm_src 0
		.amdhsa_exception_fp_ieee_div_zero 0
		.amdhsa_exception_fp_ieee_overflow 0
		.amdhsa_exception_fp_ieee_underflow 0
		.amdhsa_exception_fp_ieee_inexact 0
		.amdhsa_exception_int_div_zero 0
	.end_amdhsa_kernel
	.section	.text._Z16warp_scan_kernelIfLj64ELj16EENSt9enable_ifIXsr10test_utilsE35device_test_enabled_for_warp_size_vIXT1_EEEvE4typeEPT_S4_S4_S3_,"axG",@progbits,_Z16warp_scan_kernelIfLj64ELj16EENSt9enable_ifIXsr10test_utilsE35device_test_enabled_for_warp_size_vIXT1_EEEvE4typeEPT_S4_S4_S3_,comdat
.Lfunc_end264:
	.size	_Z16warp_scan_kernelIfLj64ELj16EENSt9enable_ifIXsr10test_utilsE35device_test_enabled_for_warp_size_vIXT1_EEEvE4typeEPT_S4_S4_S3_, .Lfunc_end264-_Z16warp_scan_kernelIfLj64ELj16EENSt9enable_ifIXsr10test_utilsE35device_test_enabled_for_warp_size_vIXT1_EEEvE4typeEPT_S4_S4_S3_
                                        ; -- End function
	.set _Z16warp_scan_kernelIfLj64ELj16EENSt9enable_ifIXsr10test_utilsE35device_test_enabled_for_warp_size_vIXT1_EEEvE4typeEPT_S4_S4_S3_.num_vgpr, 9
	.set _Z16warp_scan_kernelIfLj64ELj16EENSt9enable_ifIXsr10test_utilsE35device_test_enabled_for_warp_size_vIXT1_EEEvE4typeEPT_S4_S4_S3_.num_agpr, 0
	.set _Z16warp_scan_kernelIfLj64ELj16EENSt9enable_ifIXsr10test_utilsE35device_test_enabled_for_warp_size_vIXT1_EEEvE4typeEPT_S4_S4_S3_.numbered_sgpr, 10
	.set _Z16warp_scan_kernelIfLj64ELj16EENSt9enable_ifIXsr10test_utilsE35device_test_enabled_for_warp_size_vIXT1_EEEvE4typeEPT_S4_S4_S3_.num_named_barrier, 0
	.set _Z16warp_scan_kernelIfLj64ELj16EENSt9enable_ifIXsr10test_utilsE35device_test_enabled_for_warp_size_vIXT1_EEEvE4typeEPT_S4_S4_S3_.private_seg_size, 0
	.set _Z16warp_scan_kernelIfLj64ELj16EENSt9enable_ifIXsr10test_utilsE35device_test_enabled_for_warp_size_vIXT1_EEEvE4typeEPT_S4_S4_S3_.uses_vcc, 1
	.set _Z16warp_scan_kernelIfLj64ELj16EENSt9enable_ifIXsr10test_utilsE35device_test_enabled_for_warp_size_vIXT1_EEEvE4typeEPT_S4_S4_S3_.uses_flat_scratch, 0
	.set _Z16warp_scan_kernelIfLj64ELj16EENSt9enable_ifIXsr10test_utilsE35device_test_enabled_for_warp_size_vIXT1_EEEvE4typeEPT_S4_S4_S3_.has_dyn_sized_stack, 0
	.set _Z16warp_scan_kernelIfLj64ELj16EENSt9enable_ifIXsr10test_utilsE35device_test_enabled_for_warp_size_vIXT1_EEEvE4typeEPT_S4_S4_S3_.has_recursion, 0
	.set _Z16warp_scan_kernelIfLj64ELj16EENSt9enable_ifIXsr10test_utilsE35device_test_enabled_for_warp_size_vIXT1_EEEvE4typeEPT_S4_S4_S3_.has_indirect_call, 0
	.section	.AMDGPU.csdata,"",@progbits
; Kernel info:
; codeLenInByte = 324
; TotalNumSgprs: 14
; NumVgprs: 9
; ScratchSize: 0
; MemoryBound: 0
; FloatMode: 240
; IeeeMode: 1
; LDSByteSize: 0 bytes/workgroup (compile time only)
; SGPRBlocks: 1
; VGPRBlocks: 2
; NumSGPRsForWavesPerEU: 14
; NumVGPRsForWavesPerEU: 9
; Occupancy: 10
; WaveLimiterHint : 0
; COMPUTE_PGM_RSRC2:SCRATCH_EN: 0
; COMPUTE_PGM_RSRC2:USER_SGPR: 6
; COMPUTE_PGM_RSRC2:TRAP_HANDLER: 0
; COMPUTE_PGM_RSRC2:TGID_X_EN: 1
; COMPUTE_PGM_RSRC2:TGID_Y_EN: 0
; COMPUTE_PGM_RSRC2:TGID_Z_EN: 0
; COMPUTE_PGM_RSRC2:TIDIG_COMP_CNT: 0
	.section	.text._Z16warp_scan_kernelIfLj32ELj8EENSt9enable_ifIXsr10test_utilsE35device_test_enabled_for_warp_size_vIXT1_EEEvE4typeEPT_S4_S4_S3_,"axG",@progbits,_Z16warp_scan_kernelIfLj32ELj8EENSt9enable_ifIXsr10test_utilsE35device_test_enabled_for_warp_size_vIXT1_EEEvE4typeEPT_S4_S4_S3_,comdat
	.protected	_Z16warp_scan_kernelIfLj32ELj8EENSt9enable_ifIXsr10test_utilsE35device_test_enabled_for_warp_size_vIXT1_EEEvE4typeEPT_S4_S4_S3_ ; -- Begin function _Z16warp_scan_kernelIfLj32ELj8EENSt9enable_ifIXsr10test_utilsE35device_test_enabled_for_warp_size_vIXT1_EEEvE4typeEPT_S4_S4_S3_
	.globl	_Z16warp_scan_kernelIfLj32ELj8EENSt9enable_ifIXsr10test_utilsE35device_test_enabled_for_warp_size_vIXT1_EEEvE4typeEPT_S4_S4_S3_
	.p2align	8
	.type	_Z16warp_scan_kernelIfLj32ELj8EENSt9enable_ifIXsr10test_utilsE35device_test_enabled_for_warp_size_vIXT1_EEEvE4typeEPT_S4_S4_S3_,@function
_Z16warp_scan_kernelIfLj32ELj8EENSt9enable_ifIXsr10test_utilsE35device_test_enabled_for_warp_size_vIXT1_EEEvE4typeEPT_S4_S4_S3_: ; @_Z16warp_scan_kernelIfLj32ELj8EENSt9enable_ifIXsr10test_utilsE35device_test_enabled_for_warp_size_vIXT1_EEEvE4typeEPT_S4_S4_S3_
; %bb.0:
	s_load_dword s7, s[4:5], 0x2c
	s_load_dwordx4 s[0:3], s[4:5], 0x0
	s_load_dwordx2 s[8:9], s[4:5], 0x10
	v_mov_b32_e32 v1, 0
	s_load_dword s4, s[4:5], 0x18
	s_waitcnt lgkmcnt(0)
	s_and_b32 s7, s7, 0xffff
	s_mul_i32 s6, s6, s7
	v_add_u32_e32 v0, s6, v0
	v_lshlrev_b64 v[0:1], 2, v[0:1]
	v_mov_b32_e32 v3, s1
	v_add_co_u32_e32 v2, vcc, s0, v0
	v_addc_co_u32_e32 v3, vcc, v3, v1, vcc
	global_load_dword v2, v[2:3], off
	v_mbcnt_lo_u32_b32 v3, -1, 0
	v_mbcnt_hi_u32_b32 v3, -1, v3
	v_add_u32_e32 v5, -1, v3
	v_and_b32_e32 v6, 0x78, v3
	v_and_b32_e32 v4, 7, v3
	v_cmp_lt_i32_e32 vcc, v5, v6
	v_cndmask_b32_e32 v3, v5, v3, vcc
	v_cmp_eq_u32_e32 vcc, 0, v4
	v_cmp_lt_u32_e64 s[0:1], 1, v4
	v_lshlrev_b32_e32 v3, 2, v3
	v_mov_b32_e32 v6, s3
	v_mov_b32_e32 v5, s4
	;; [unrolled: 1-line block ×3, first 2 shown]
	s_waitcnt vmcnt(0)
	v_mov_b32_dpp v8, v2 row_shr:1 row_mask:0xf bank_mask:0xf
	v_add_f32_e32 v8, v2, v8
	v_cndmask_b32_e32 v2, v8, v2, vcc
	s_nop 1
	v_mov_b32_dpp v8, v2 row_shr:2 row_mask:0xf bank_mask:0xf
	v_add_f32_e32 v8, v2, v8
	v_cndmask_b32_e64 v2, v2, v8, s[0:1]
	v_cmp_lt_u32_e64 s[0:1], 3, v4
	s_nop 0
	v_mov_b32_dpp v8, v2 row_shr:4 row_mask:0xf bank_mask:0xf
	v_add_f32_e32 v8, v2, v8
	v_cndmask_b32_e64 v2, v2, v8, s[0:1]
	v_add_f32_e32 v4, s4, v2
	ds_bpermute_b32 v8, v3, v4
	v_add_co_u32_e64 v2, s[0:1], s2, v0
	v_addc_co_u32_e64 v3, s[0:1], v6, v1, s[0:1]
	global_store_dword v[2:3], v4, off
	s_waitcnt lgkmcnt(0)
	v_cndmask_b32_e32 v2, v8, v5, vcc
	v_add_co_u32_e32 v0, vcc, s8, v0
	v_addc_co_u32_e32 v1, vcc, v7, v1, vcc
	global_store_dword v[0:1], v2, off
	s_endpgm
	.section	.rodata,"a",@progbits
	.p2align	6, 0x0
	.amdhsa_kernel _Z16warp_scan_kernelIfLj32ELj8EENSt9enable_ifIXsr10test_utilsE35device_test_enabled_for_warp_size_vIXT1_EEEvE4typeEPT_S4_S4_S3_
		.amdhsa_group_segment_fixed_size 0
		.amdhsa_private_segment_fixed_size 0
		.amdhsa_kernarg_size 288
		.amdhsa_user_sgpr_count 6
		.amdhsa_user_sgpr_private_segment_buffer 1
		.amdhsa_user_sgpr_dispatch_ptr 0
		.amdhsa_user_sgpr_queue_ptr 0
		.amdhsa_user_sgpr_kernarg_segment_ptr 1
		.amdhsa_user_sgpr_dispatch_id 0
		.amdhsa_user_sgpr_flat_scratch_init 0
		.amdhsa_user_sgpr_private_segment_size 0
		.amdhsa_uses_dynamic_stack 0
		.amdhsa_system_sgpr_private_segment_wavefront_offset 0
		.amdhsa_system_sgpr_workgroup_id_x 1
		.amdhsa_system_sgpr_workgroup_id_y 0
		.amdhsa_system_sgpr_workgroup_id_z 0
		.amdhsa_system_sgpr_workgroup_info 0
		.amdhsa_system_vgpr_workitem_id 0
		.amdhsa_next_free_vgpr 9
		.amdhsa_next_free_sgpr 10
		.amdhsa_reserve_vcc 1
		.amdhsa_reserve_flat_scratch 0
		.amdhsa_float_round_mode_32 0
		.amdhsa_float_round_mode_16_64 0
		.amdhsa_float_denorm_mode_32 3
		.amdhsa_float_denorm_mode_16_64 3
		.amdhsa_dx10_clamp 1
		.amdhsa_ieee_mode 1
		.amdhsa_fp16_overflow 0
		.amdhsa_exception_fp_ieee_invalid_op 0
		.amdhsa_exception_fp_denorm_src 0
		.amdhsa_exception_fp_ieee_div_zero 0
		.amdhsa_exception_fp_ieee_overflow 0
		.amdhsa_exception_fp_ieee_underflow 0
		.amdhsa_exception_fp_ieee_inexact 0
		.amdhsa_exception_int_div_zero 0
	.end_amdhsa_kernel
	.section	.text._Z16warp_scan_kernelIfLj32ELj8EENSt9enable_ifIXsr10test_utilsE35device_test_enabled_for_warp_size_vIXT1_EEEvE4typeEPT_S4_S4_S3_,"axG",@progbits,_Z16warp_scan_kernelIfLj32ELj8EENSt9enable_ifIXsr10test_utilsE35device_test_enabled_for_warp_size_vIXT1_EEEvE4typeEPT_S4_S4_S3_,comdat
.Lfunc_end265:
	.size	_Z16warp_scan_kernelIfLj32ELj8EENSt9enable_ifIXsr10test_utilsE35device_test_enabled_for_warp_size_vIXT1_EEEvE4typeEPT_S4_S4_S3_, .Lfunc_end265-_Z16warp_scan_kernelIfLj32ELj8EENSt9enable_ifIXsr10test_utilsE35device_test_enabled_for_warp_size_vIXT1_EEEvE4typeEPT_S4_S4_S3_
                                        ; -- End function
	.set _Z16warp_scan_kernelIfLj32ELj8EENSt9enable_ifIXsr10test_utilsE35device_test_enabled_for_warp_size_vIXT1_EEEvE4typeEPT_S4_S4_S3_.num_vgpr, 9
	.set _Z16warp_scan_kernelIfLj32ELj8EENSt9enable_ifIXsr10test_utilsE35device_test_enabled_for_warp_size_vIXT1_EEEvE4typeEPT_S4_S4_S3_.num_agpr, 0
	.set _Z16warp_scan_kernelIfLj32ELj8EENSt9enable_ifIXsr10test_utilsE35device_test_enabled_for_warp_size_vIXT1_EEEvE4typeEPT_S4_S4_S3_.numbered_sgpr, 10
	.set _Z16warp_scan_kernelIfLj32ELj8EENSt9enable_ifIXsr10test_utilsE35device_test_enabled_for_warp_size_vIXT1_EEEvE4typeEPT_S4_S4_S3_.num_named_barrier, 0
	.set _Z16warp_scan_kernelIfLj32ELj8EENSt9enable_ifIXsr10test_utilsE35device_test_enabled_for_warp_size_vIXT1_EEEvE4typeEPT_S4_S4_S3_.private_seg_size, 0
	.set _Z16warp_scan_kernelIfLj32ELj8EENSt9enable_ifIXsr10test_utilsE35device_test_enabled_for_warp_size_vIXT1_EEEvE4typeEPT_S4_S4_S3_.uses_vcc, 1
	.set _Z16warp_scan_kernelIfLj32ELj8EENSt9enable_ifIXsr10test_utilsE35device_test_enabled_for_warp_size_vIXT1_EEEvE4typeEPT_S4_S4_S3_.uses_flat_scratch, 0
	.set _Z16warp_scan_kernelIfLj32ELj8EENSt9enable_ifIXsr10test_utilsE35device_test_enabled_for_warp_size_vIXT1_EEEvE4typeEPT_S4_S4_S3_.has_dyn_sized_stack, 0
	.set _Z16warp_scan_kernelIfLj32ELj8EENSt9enable_ifIXsr10test_utilsE35device_test_enabled_for_warp_size_vIXT1_EEEvE4typeEPT_S4_S4_S3_.has_recursion, 0
	.set _Z16warp_scan_kernelIfLj32ELj8EENSt9enable_ifIXsr10test_utilsE35device_test_enabled_for_warp_size_vIXT1_EEEvE4typeEPT_S4_S4_S3_.has_indirect_call, 0
	.section	.AMDGPU.csdata,"",@progbits
; Kernel info:
; codeLenInByte = 292
; TotalNumSgprs: 14
; NumVgprs: 9
; ScratchSize: 0
; MemoryBound: 0
; FloatMode: 240
; IeeeMode: 1
; LDSByteSize: 0 bytes/workgroup (compile time only)
; SGPRBlocks: 1
; VGPRBlocks: 2
; NumSGPRsForWavesPerEU: 14
; NumVGPRsForWavesPerEU: 9
; Occupancy: 10
; WaveLimiterHint : 0
; COMPUTE_PGM_RSRC2:SCRATCH_EN: 0
; COMPUTE_PGM_RSRC2:USER_SGPR: 6
; COMPUTE_PGM_RSRC2:TRAP_HANDLER: 0
; COMPUTE_PGM_RSRC2:TGID_X_EN: 1
; COMPUTE_PGM_RSRC2:TGID_Y_EN: 0
; COMPUTE_PGM_RSRC2:TGID_Z_EN: 0
; COMPUTE_PGM_RSRC2:TIDIG_COMP_CNT: 0
	.section	.text._Z16warp_scan_kernelIfLj64ELj8EENSt9enable_ifIXsr10test_utilsE35device_test_enabled_for_warp_size_vIXT1_EEEvE4typeEPT_S4_S4_S3_,"axG",@progbits,_Z16warp_scan_kernelIfLj64ELj8EENSt9enable_ifIXsr10test_utilsE35device_test_enabled_for_warp_size_vIXT1_EEEvE4typeEPT_S4_S4_S3_,comdat
	.protected	_Z16warp_scan_kernelIfLj64ELj8EENSt9enable_ifIXsr10test_utilsE35device_test_enabled_for_warp_size_vIXT1_EEEvE4typeEPT_S4_S4_S3_ ; -- Begin function _Z16warp_scan_kernelIfLj64ELj8EENSt9enable_ifIXsr10test_utilsE35device_test_enabled_for_warp_size_vIXT1_EEEvE4typeEPT_S4_S4_S3_
	.globl	_Z16warp_scan_kernelIfLj64ELj8EENSt9enable_ifIXsr10test_utilsE35device_test_enabled_for_warp_size_vIXT1_EEEvE4typeEPT_S4_S4_S3_
	.p2align	8
	.type	_Z16warp_scan_kernelIfLj64ELj8EENSt9enable_ifIXsr10test_utilsE35device_test_enabled_for_warp_size_vIXT1_EEEvE4typeEPT_S4_S4_S3_,@function
_Z16warp_scan_kernelIfLj64ELj8EENSt9enable_ifIXsr10test_utilsE35device_test_enabled_for_warp_size_vIXT1_EEEvE4typeEPT_S4_S4_S3_: ; @_Z16warp_scan_kernelIfLj64ELj8EENSt9enable_ifIXsr10test_utilsE35device_test_enabled_for_warp_size_vIXT1_EEEvE4typeEPT_S4_S4_S3_
; %bb.0:
	s_load_dword s7, s[4:5], 0x2c
	s_load_dwordx4 s[0:3], s[4:5], 0x0
	s_load_dwordx2 s[8:9], s[4:5], 0x10
	v_mov_b32_e32 v1, 0
	s_load_dword s4, s[4:5], 0x18
	s_waitcnt lgkmcnt(0)
	s_and_b32 s7, s7, 0xffff
	s_mul_i32 s6, s6, s7
	v_add_u32_e32 v0, s6, v0
	v_lshlrev_b64 v[0:1], 2, v[0:1]
	v_mov_b32_e32 v3, s1
	v_add_co_u32_e32 v2, vcc, s0, v0
	v_addc_co_u32_e32 v3, vcc, v3, v1, vcc
	global_load_dword v2, v[2:3], off
	v_mbcnt_lo_u32_b32 v3, -1, 0
	v_mbcnt_hi_u32_b32 v3, -1, v3
	v_add_u32_e32 v5, -1, v3
	v_and_b32_e32 v6, 0x78, v3
	v_and_b32_e32 v4, 7, v3
	v_cmp_lt_i32_e32 vcc, v5, v6
	v_cndmask_b32_e32 v3, v5, v3, vcc
	v_cmp_eq_u32_e32 vcc, 0, v4
	v_cmp_lt_u32_e64 s[0:1], 1, v4
	v_lshlrev_b32_e32 v3, 2, v3
	v_mov_b32_e32 v6, s3
	v_mov_b32_e32 v5, s4
	;; [unrolled: 1-line block ×3, first 2 shown]
	s_waitcnt vmcnt(0)
	v_mov_b32_dpp v8, v2 row_shr:1 row_mask:0xf bank_mask:0xf
	v_add_f32_e32 v8, v2, v8
	v_cndmask_b32_e32 v2, v8, v2, vcc
	s_nop 1
	v_mov_b32_dpp v8, v2 row_shr:2 row_mask:0xf bank_mask:0xf
	v_add_f32_e32 v8, v2, v8
	v_cndmask_b32_e64 v2, v2, v8, s[0:1]
	v_cmp_lt_u32_e64 s[0:1], 3, v4
	s_nop 0
	v_mov_b32_dpp v8, v2 row_shr:4 row_mask:0xf bank_mask:0xf
	v_add_f32_e32 v8, v2, v8
	v_cndmask_b32_e64 v2, v2, v8, s[0:1]
	v_add_f32_e32 v4, s4, v2
	ds_bpermute_b32 v8, v3, v4
	v_add_co_u32_e64 v2, s[0:1], s2, v0
	v_addc_co_u32_e64 v3, s[0:1], v6, v1, s[0:1]
	global_store_dword v[2:3], v4, off
	s_waitcnt lgkmcnt(0)
	v_cndmask_b32_e32 v2, v8, v5, vcc
	v_add_co_u32_e32 v0, vcc, s8, v0
	v_addc_co_u32_e32 v1, vcc, v7, v1, vcc
	global_store_dword v[0:1], v2, off
	s_endpgm
	.section	.rodata,"a",@progbits
	.p2align	6, 0x0
	.amdhsa_kernel _Z16warp_scan_kernelIfLj64ELj8EENSt9enable_ifIXsr10test_utilsE35device_test_enabled_for_warp_size_vIXT1_EEEvE4typeEPT_S4_S4_S3_
		.amdhsa_group_segment_fixed_size 0
		.amdhsa_private_segment_fixed_size 0
		.amdhsa_kernarg_size 288
		.amdhsa_user_sgpr_count 6
		.amdhsa_user_sgpr_private_segment_buffer 1
		.amdhsa_user_sgpr_dispatch_ptr 0
		.amdhsa_user_sgpr_queue_ptr 0
		.amdhsa_user_sgpr_kernarg_segment_ptr 1
		.amdhsa_user_sgpr_dispatch_id 0
		.amdhsa_user_sgpr_flat_scratch_init 0
		.amdhsa_user_sgpr_private_segment_size 0
		.amdhsa_uses_dynamic_stack 0
		.amdhsa_system_sgpr_private_segment_wavefront_offset 0
		.amdhsa_system_sgpr_workgroup_id_x 1
		.amdhsa_system_sgpr_workgroup_id_y 0
		.amdhsa_system_sgpr_workgroup_id_z 0
		.amdhsa_system_sgpr_workgroup_info 0
		.amdhsa_system_vgpr_workitem_id 0
		.amdhsa_next_free_vgpr 9
		.amdhsa_next_free_sgpr 10
		.amdhsa_reserve_vcc 1
		.amdhsa_reserve_flat_scratch 0
		.amdhsa_float_round_mode_32 0
		.amdhsa_float_round_mode_16_64 0
		.amdhsa_float_denorm_mode_32 3
		.amdhsa_float_denorm_mode_16_64 3
		.amdhsa_dx10_clamp 1
		.amdhsa_ieee_mode 1
		.amdhsa_fp16_overflow 0
		.amdhsa_exception_fp_ieee_invalid_op 0
		.amdhsa_exception_fp_denorm_src 0
		.amdhsa_exception_fp_ieee_div_zero 0
		.amdhsa_exception_fp_ieee_overflow 0
		.amdhsa_exception_fp_ieee_underflow 0
		.amdhsa_exception_fp_ieee_inexact 0
		.amdhsa_exception_int_div_zero 0
	.end_amdhsa_kernel
	.section	.text._Z16warp_scan_kernelIfLj64ELj8EENSt9enable_ifIXsr10test_utilsE35device_test_enabled_for_warp_size_vIXT1_EEEvE4typeEPT_S4_S4_S3_,"axG",@progbits,_Z16warp_scan_kernelIfLj64ELj8EENSt9enable_ifIXsr10test_utilsE35device_test_enabled_for_warp_size_vIXT1_EEEvE4typeEPT_S4_S4_S3_,comdat
.Lfunc_end266:
	.size	_Z16warp_scan_kernelIfLj64ELj8EENSt9enable_ifIXsr10test_utilsE35device_test_enabled_for_warp_size_vIXT1_EEEvE4typeEPT_S4_S4_S3_, .Lfunc_end266-_Z16warp_scan_kernelIfLj64ELj8EENSt9enable_ifIXsr10test_utilsE35device_test_enabled_for_warp_size_vIXT1_EEEvE4typeEPT_S4_S4_S3_
                                        ; -- End function
	.set _Z16warp_scan_kernelIfLj64ELj8EENSt9enable_ifIXsr10test_utilsE35device_test_enabled_for_warp_size_vIXT1_EEEvE4typeEPT_S4_S4_S3_.num_vgpr, 9
	.set _Z16warp_scan_kernelIfLj64ELj8EENSt9enable_ifIXsr10test_utilsE35device_test_enabled_for_warp_size_vIXT1_EEEvE4typeEPT_S4_S4_S3_.num_agpr, 0
	.set _Z16warp_scan_kernelIfLj64ELj8EENSt9enable_ifIXsr10test_utilsE35device_test_enabled_for_warp_size_vIXT1_EEEvE4typeEPT_S4_S4_S3_.numbered_sgpr, 10
	.set _Z16warp_scan_kernelIfLj64ELj8EENSt9enable_ifIXsr10test_utilsE35device_test_enabled_for_warp_size_vIXT1_EEEvE4typeEPT_S4_S4_S3_.num_named_barrier, 0
	.set _Z16warp_scan_kernelIfLj64ELj8EENSt9enable_ifIXsr10test_utilsE35device_test_enabled_for_warp_size_vIXT1_EEEvE4typeEPT_S4_S4_S3_.private_seg_size, 0
	.set _Z16warp_scan_kernelIfLj64ELj8EENSt9enable_ifIXsr10test_utilsE35device_test_enabled_for_warp_size_vIXT1_EEEvE4typeEPT_S4_S4_S3_.uses_vcc, 1
	.set _Z16warp_scan_kernelIfLj64ELj8EENSt9enable_ifIXsr10test_utilsE35device_test_enabled_for_warp_size_vIXT1_EEEvE4typeEPT_S4_S4_S3_.uses_flat_scratch, 0
	.set _Z16warp_scan_kernelIfLj64ELj8EENSt9enable_ifIXsr10test_utilsE35device_test_enabled_for_warp_size_vIXT1_EEEvE4typeEPT_S4_S4_S3_.has_dyn_sized_stack, 0
	.set _Z16warp_scan_kernelIfLj64ELj8EENSt9enable_ifIXsr10test_utilsE35device_test_enabled_for_warp_size_vIXT1_EEEvE4typeEPT_S4_S4_S3_.has_recursion, 0
	.set _Z16warp_scan_kernelIfLj64ELj8EENSt9enable_ifIXsr10test_utilsE35device_test_enabled_for_warp_size_vIXT1_EEEvE4typeEPT_S4_S4_S3_.has_indirect_call, 0
	.section	.AMDGPU.csdata,"",@progbits
; Kernel info:
; codeLenInByte = 292
; TotalNumSgprs: 14
; NumVgprs: 9
; ScratchSize: 0
; MemoryBound: 0
; FloatMode: 240
; IeeeMode: 1
; LDSByteSize: 0 bytes/workgroup (compile time only)
; SGPRBlocks: 1
; VGPRBlocks: 2
; NumSGPRsForWavesPerEU: 14
; NumVGPRsForWavesPerEU: 9
; Occupancy: 10
; WaveLimiterHint : 0
; COMPUTE_PGM_RSRC2:SCRATCH_EN: 0
; COMPUTE_PGM_RSRC2:USER_SGPR: 6
; COMPUTE_PGM_RSRC2:TRAP_HANDLER: 0
; COMPUTE_PGM_RSRC2:TGID_X_EN: 1
; COMPUTE_PGM_RSRC2:TGID_Y_EN: 0
; COMPUTE_PGM_RSRC2:TGID_Z_EN: 0
; COMPUTE_PGM_RSRC2:TIDIG_COMP_CNT: 0
	.section	.text._Z16warp_scan_kernelIfLj32ELj4EENSt9enable_ifIXsr10test_utilsE35device_test_enabled_for_warp_size_vIXT1_EEEvE4typeEPT_S4_S4_S3_,"axG",@progbits,_Z16warp_scan_kernelIfLj32ELj4EENSt9enable_ifIXsr10test_utilsE35device_test_enabled_for_warp_size_vIXT1_EEEvE4typeEPT_S4_S4_S3_,comdat
	.protected	_Z16warp_scan_kernelIfLj32ELj4EENSt9enable_ifIXsr10test_utilsE35device_test_enabled_for_warp_size_vIXT1_EEEvE4typeEPT_S4_S4_S3_ ; -- Begin function _Z16warp_scan_kernelIfLj32ELj4EENSt9enable_ifIXsr10test_utilsE35device_test_enabled_for_warp_size_vIXT1_EEEvE4typeEPT_S4_S4_S3_
	.globl	_Z16warp_scan_kernelIfLj32ELj4EENSt9enable_ifIXsr10test_utilsE35device_test_enabled_for_warp_size_vIXT1_EEEvE4typeEPT_S4_S4_S3_
	.p2align	8
	.type	_Z16warp_scan_kernelIfLj32ELj4EENSt9enable_ifIXsr10test_utilsE35device_test_enabled_for_warp_size_vIXT1_EEEvE4typeEPT_S4_S4_S3_,@function
_Z16warp_scan_kernelIfLj32ELj4EENSt9enable_ifIXsr10test_utilsE35device_test_enabled_for_warp_size_vIXT1_EEEvE4typeEPT_S4_S4_S3_: ; @_Z16warp_scan_kernelIfLj32ELj4EENSt9enable_ifIXsr10test_utilsE35device_test_enabled_for_warp_size_vIXT1_EEEvE4typeEPT_S4_S4_S3_
; %bb.0:
	s_load_dword s7, s[4:5], 0x2c
	s_load_dwordx4 s[0:3], s[4:5], 0x0
	s_load_dwordx2 s[8:9], s[4:5], 0x10
	v_mov_b32_e32 v1, 0
	s_load_dword s4, s[4:5], 0x18
	s_waitcnt lgkmcnt(0)
	s_and_b32 s7, s7, 0xffff
	s_mul_i32 s6, s6, s7
	v_add_u32_e32 v0, s6, v0
	v_lshlrev_b64 v[0:1], 2, v[0:1]
	v_mov_b32_e32 v3, s1
	v_add_co_u32_e32 v2, vcc, s0, v0
	v_addc_co_u32_e32 v3, vcc, v3, v1, vcc
	global_load_dword v2, v[2:3], off
	v_mbcnt_lo_u32_b32 v3, -1, 0
	v_mbcnt_hi_u32_b32 v3, -1, v3
	v_add_u32_e32 v5, -1, v3
	v_and_b32_e32 v6, 0x7c, v3
	v_and_b32_e32 v4, 3, v3
	v_cmp_lt_i32_e32 vcc, v5, v6
	v_cndmask_b32_e32 v3, v5, v3, vcc
	v_cmp_eq_u32_e32 vcc, 0, v4
	v_cmp_lt_u32_e64 s[0:1], 1, v4
	v_lshlrev_b32_e32 v3, 2, v3
	v_mov_b32_e32 v6, s3
	v_mov_b32_e32 v5, s4
	;; [unrolled: 1-line block ×3, first 2 shown]
	s_waitcnt vmcnt(0)
	v_mov_b32_dpp v8, v2 row_shr:1 row_mask:0xf bank_mask:0xf
	v_add_f32_e32 v8, v2, v8
	v_cndmask_b32_e32 v2, v8, v2, vcc
	s_nop 1
	v_mov_b32_dpp v8, v2 row_shr:2 row_mask:0xf bank_mask:0xf
	v_add_f32_e32 v8, v2, v8
	v_cndmask_b32_e64 v2, v2, v8, s[0:1]
	v_add_f32_e32 v4, s4, v2
	ds_bpermute_b32 v8, v3, v4
	v_add_co_u32_e64 v2, s[0:1], s2, v0
	v_addc_co_u32_e64 v3, s[0:1], v6, v1, s[0:1]
	global_store_dword v[2:3], v4, off
	s_waitcnt lgkmcnt(0)
	v_cndmask_b32_e32 v2, v8, v5, vcc
	v_add_co_u32_e32 v0, vcc, s8, v0
	v_addc_co_u32_e32 v1, vcc, v7, v1, vcc
	global_store_dword v[0:1], v2, off
	s_endpgm
	.section	.rodata,"a",@progbits
	.p2align	6, 0x0
	.amdhsa_kernel _Z16warp_scan_kernelIfLj32ELj4EENSt9enable_ifIXsr10test_utilsE35device_test_enabled_for_warp_size_vIXT1_EEEvE4typeEPT_S4_S4_S3_
		.amdhsa_group_segment_fixed_size 0
		.amdhsa_private_segment_fixed_size 0
		.amdhsa_kernarg_size 288
		.amdhsa_user_sgpr_count 6
		.amdhsa_user_sgpr_private_segment_buffer 1
		.amdhsa_user_sgpr_dispatch_ptr 0
		.amdhsa_user_sgpr_queue_ptr 0
		.amdhsa_user_sgpr_kernarg_segment_ptr 1
		.amdhsa_user_sgpr_dispatch_id 0
		.amdhsa_user_sgpr_flat_scratch_init 0
		.amdhsa_user_sgpr_private_segment_size 0
		.amdhsa_uses_dynamic_stack 0
		.amdhsa_system_sgpr_private_segment_wavefront_offset 0
		.amdhsa_system_sgpr_workgroup_id_x 1
		.amdhsa_system_sgpr_workgroup_id_y 0
		.amdhsa_system_sgpr_workgroup_id_z 0
		.amdhsa_system_sgpr_workgroup_info 0
		.amdhsa_system_vgpr_workitem_id 0
		.amdhsa_next_free_vgpr 9
		.amdhsa_next_free_sgpr 10
		.amdhsa_reserve_vcc 1
		.amdhsa_reserve_flat_scratch 0
		.amdhsa_float_round_mode_32 0
		.amdhsa_float_round_mode_16_64 0
		.amdhsa_float_denorm_mode_32 3
		.amdhsa_float_denorm_mode_16_64 3
		.amdhsa_dx10_clamp 1
		.amdhsa_ieee_mode 1
		.amdhsa_fp16_overflow 0
		.amdhsa_exception_fp_ieee_invalid_op 0
		.amdhsa_exception_fp_denorm_src 0
		.amdhsa_exception_fp_ieee_div_zero 0
		.amdhsa_exception_fp_ieee_overflow 0
		.amdhsa_exception_fp_ieee_underflow 0
		.amdhsa_exception_fp_ieee_inexact 0
		.amdhsa_exception_int_div_zero 0
	.end_amdhsa_kernel
	.section	.text._Z16warp_scan_kernelIfLj32ELj4EENSt9enable_ifIXsr10test_utilsE35device_test_enabled_for_warp_size_vIXT1_EEEvE4typeEPT_S4_S4_S3_,"axG",@progbits,_Z16warp_scan_kernelIfLj32ELj4EENSt9enable_ifIXsr10test_utilsE35device_test_enabled_for_warp_size_vIXT1_EEEvE4typeEPT_S4_S4_S3_,comdat
.Lfunc_end267:
	.size	_Z16warp_scan_kernelIfLj32ELj4EENSt9enable_ifIXsr10test_utilsE35device_test_enabled_for_warp_size_vIXT1_EEEvE4typeEPT_S4_S4_S3_, .Lfunc_end267-_Z16warp_scan_kernelIfLj32ELj4EENSt9enable_ifIXsr10test_utilsE35device_test_enabled_for_warp_size_vIXT1_EEEvE4typeEPT_S4_S4_S3_
                                        ; -- End function
	.set _Z16warp_scan_kernelIfLj32ELj4EENSt9enable_ifIXsr10test_utilsE35device_test_enabled_for_warp_size_vIXT1_EEEvE4typeEPT_S4_S4_S3_.num_vgpr, 9
	.set _Z16warp_scan_kernelIfLj32ELj4EENSt9enable_ifIXsr10test_utilsE35device_test_enabled_for_warp_size_vIXT1_EEEvE4typeEPT_S4_S4_S3_.num_agpr, 0
	.set _Z16warp_scan_kernelIfLj32ELj4EENSt9enable_ifIXsr10test_utilsE35device_test_enabled_for_warp_size_vIXT1_EEEvE4typeEPT_S4_S4_S3_.numbered_sgpr, 10
	.set _Z16warp_scan_kernelIfLj32ELj4EENSt9enable_ifIXsr10test_utilsE35device_test_enabled_for_warp_size_vIXT1_EEEvE4typeEPT_S4_S4_S3_.num_named_barrier, 0
	.set _Z16warp_scan_kernelIfLj32ELj4EENSt9enable_ifIXsr10test_utilsE35device_test_enabled_for_warp_size_vIXT1_EEEvE4typeEPT_S4_S4_S3_.private_seg_size, 0
	.set _Z16warp_scan_kernelIfLj32ELj4EENSt9enable_ifIXsr10test_utilsE35device_test_enabled_for_warp_size_vIXT1_EEEvE4typeEPT_S4_S4_S3_.uses_vcc, 1
	.set _Z16warp_scan_kernelIfLj32ELj4EENSt9enable_ifIXsr10test_utilsE35device_test_enabled_for_warp_size_vIXT1_EEEvE4typeEPT_S4_S4_S3_.uses_flat_scratch, 0
	.set _Z16warp_scan_kernelIfLj32ELj4EENSt9enable_ifIXsr10test_utilsE35device_test_enabled_for_warp_size_vIXT1_EEEvE4typeEPT_S4_S4_S3_.has_dyn_sized_stack, 0
	.set _Z16warp_scan_kernelIfLj32ELj4EENSt9enable_ifIXsr10test_utilsE35device_test_enabled_for_warp_size_vIXT1_EEEvE4typeEPT_S4_S4_S3_.has_recursion, 0
	.set _Z16warp_scan_kernelIfLj32ELj4EENSt9enable_ifIXsr10test_utilsE35device_test_enabled_for_warp_size_vIXT1_EEEvE4typeEPT_S4_S4_S3_.has_indirect_call, 0
	.section	.AMDGPU.csdata,"",@progbits
; Kernel info:
; codeLenInByte = 260
; TotalNumSgprs: 14
; NumVgprs: 9
; ScratchSize: 0
; MemoryBound: 0
; FloatMode: 240
; IeeeMode: 1
; LDSByteSize: 0 bytes/workgroup (compile time only)
; SGPRBlocks: 1
; VGPRBlocks: 2
; NumSGPRsForWavesPerEU: 14
; NumVGPRsForWavesPerEU: 9
; Occupancy: 10
; WaveLimiterHint : 0
; COMPUTE_PGM_RSRC2:SCRATCH_EN: 0
; COMPUTE_PGM_RSRC2:USER_SGPR: 6
; COMPUTE_PGM_RSRC2:TRAP_HANDLER: 0
; COMPUTE_PGM_RSRC2:TGID_X_EN: 1
; COMPUTE_PGM_RSRC2:TGID_Y_EN: 0
; COMPUTE_PGM_RSRC2:TGID_Z_EN: 0
; COMPUTE_PGM_RSRC2:TIDIG_COMP_CNT: 0
	.section	.text._Z16warp_scan_kernelIfLj64ELj4EENSt9enable_ifIXsr10test_utilsE35device_test_enabled_for_warp_size_vIXT1_EEEvE4typeEPT_S4_S4_S3_,"axG",@progbits,_Z16warp_scan_kernelIfLj64ELj4EENSt9enable_ifIXsr10test_utilsE35device_test_enabled_for_warp_size_vIXT1_EEEvE4typeEPT_S4_S4_S3_,comdat
	.protected	_Z16warp_scan_kernelIfLj64ELj4EENSt9enable_ifIXsr10test_utilsE35device_test_enabled_for_warp_size_vIXT1_EEEvE4typeEPT_S4_S4_S3_ ; -- Begin function _Z16warp_scan_kernelIfLj64ELj4EENSt9enable_ifIXsr10test_utilsE35device_test_enabled_for_warp_size_vIXT1_EEEvE4typeEPT_S4_S4_S3_
	.globl	_Z16warp_scan_kernelIfLj64ELj4EENSt9enable_ifIXsr10test_utilsE35device_test_enabled_for_warp_size_vIXT1_EEEvE4typeEPT_S4_S4_S3_
	.p2align	8
	.type	_Z16warp_scan_kernelIfLj64ELj4EENSt9enable_ifIXsr10test_utilsE35device_test_enabled_for_warp_size_vIXT1_EEEvE4typeEPT_S4_S4_S3_,@function
_Z16warp_scan_kernelIfLj64ELj4EENSt9enable_ifIXsr10test_utilsE35device_test_enabled_for_warp_size_vIXT1_EEEvE4typeEPT_S4_S4_S3_: ; @_Z16warp_scan_kernelIfLj64ELj4EENSt9enable_ifIXsr10test_utilsE35device_test_enabled_for_warp_size_vIXT1_EEEvE4typeEPT_S4_S4_S3_
; %bb.0:
	s_load_dword s7, s[4:5], 0x2c
	s_load_dwordx4 s[0:3], s[4:5], 0x0
	s_load_dwordx2 s[8:9], s[4:5], 0x10
	v_mov_b32_e32 v1, 0
	s_load_dword s4, s[4:5], 0x18
	s_waitcnt lgkmcnt(0)
	s_and_b32 s7, s7, 0xffff
	s_mul_i32 s6, s6, s7
	v_add_u32_e32 v0, s6, v0
	v_lshlrev_b64 v[0:1], 2, v[0:1]
	v_mov_b32_e32 v3, s1
	v_add_co_u32_e32 v2, vcc, s0, v0
	v_addc_co_u32_e32 v3, vcc, v3, v1, vcc
	global_load_dword v2, v[2:3], off
	v_mbcnt_lo_u32_b32 v3, -1, 0
	v_mbcnt_hi_u32_b32 v3, -1, v3
	v_add_u32_e32 v5, -1, v3
	v_and_b32_e32 v6, 0x7c, v3
	v_and_b32_e32 v4, 3, v3
	v_cmp_lt_i32_e32 vcc, v5, v6
	v_cndmask_b32_e32 v3, v5, v3, vcc
	v_cmp_eq_u32_e32 vcc, 0, v4
	v_cmp_lt_u32_e64 s[0:1], 1, v4
	v_lshlrev_b32_e32 v3, 2, v3
	v_mov_b32_e32 v6, s3
	v_mov_b32_e32 v5, s4
	;; [unrolled: 1-line block ×3, first 2 shown]
	s_waitcnt vmcnt(0)
	v_mov_b32_dpp v8, v2 row_shr:1 row_mask:0xf bank_mask:0xf
	v_add_f32_e32 v8, v2, v8
	v_cndmask_b32_e32 v2, v8, v2, vcc
	s_nop 1
	v_mov_b32_dpp v8, v2 row_shr:2 row_mask:0xf bank_mask:0xf
	v_add_f32_e32 v8, v2, v8
	v_cndmask_b32_e64 v2, v2, v8, s[0:1]
	v_add_f32_e32 v4, s4, v2
	ds_bpermute_b32 v8, v3, v4
	v_add_co_u32_e64 v2, s[0:1], s2, v0
	v_addc_co_u32_e64 v3, s[0:1], v6, v1, s[0:1]
	global_store_dword v[2:3], v4, off
	s_waitcnt lgkmcnt(0)
	v_cndmask_b32_e32 v2, v8, v5, vcc
	v_add_co_u32_e32 v0, vcc, s8, v0
	v_addc_co_u32_e32 v1, vcc, v7, v1, vcc
	global_store_dword v[0:1], v2, off
	s_endpgm
	.section	.rodata,"a",@progbits
	.p2align	6, 0x0
	.amdhsa_kernel _Z16warp_scan_kernelIfLj64ELj4EENSt9enable_ifIXsr10test_utilsE35device_test_enabled_for_warp_size_vIXT1_EEEvE4typeEPT_S4_S4_S3_
		.amdhsa_group_segment_fixed_size 0
		.amdhsa_private_segment_fixed_size 0
		.amdhsa_kernarg_size 288
		.amdhsa_user_sgpr_count 6
		.amdhsa_user_sgpr_private_segment_buffer 1
		.amdhsa_user_sgpr_dispatch_ptr 0
		.amdhsa_user_sgpr_queue_ptr 0
		.amdhsa_user_sgpr_kernarg_segment_ptr 1
		.amdhsa_user_sgpr_dispatch_id 0
		.amdhsa_user_sgpr_flat_scratch_init 0
		.amdhsa_user_sgpr_private_segment_size 0
		.amdhsa_uses_dynamic_stack 0
		.amdhsa_system_sgpr_private_segment_wavefront_offset 0
		.amdhsa_system_sgpr_workgroup_id_x 1
		.amdhsa_system_sgpr_workgroup_id_y 0
		.amdhsa_system_sgpr_workgroup_id_z 0
		.amdhsa_system_sgpr_workgroup_info 0
		.amdhsa_system_vgpr_workitem_id 0
		.amdhsa_next_free_vgpr 9
		.amdhsa_next_free_sgpr 10
		.amdhsa_reserve_vcc 1
		.amdhsa_reserve_flat_scratch 0
		.amdhsa_float_round_mode_32 0
		.amdhsa_float_round_mode_16_64 0
		.amdhsa_float_denorm_mode_32 3
		.amdhsa_float_denorm_mode_16_64 3
		.amdhsa_dx10_clamp 1
		.amdhsa_ieee_mode 1
		.amdhsa_fp16_overflow 0
		.amdhsa_exception_fp_ieee_invalid_op 0
		.amdhsa_exception_fp_denorm_src 0
		.amdhsa_exception_fp_ieee_div_zero 0
		.amdhsa_exception_fp_ieee_overflow 0
		.amdhsa_exception_fp_ieee_underflow 0
		.amdhsa_exception_fp_ieee_inexact 0
		.amdhsa_exception_int_div_zero 0
	.end_amdhsa_kernel
	.section	.text._Z16warp_scan_kernelIfLj64ELj4EENSt9enable_ifIXsr10test_utilsE35device_test_enabled_for_warp_size_vIXT1_EEEvE4typeEPT_S4_S4_S3_,"axG",@progbits,_Z16warp_scan_kernelIfLj64ELj4EENSt9enable_ifIXsr10test_utilsE35device_test_enabled_for_warp_size_vIXT1_EEEvE4typeEPT_S4_S4_S3_,comdat
.Lfunc_end268:
	.size	_Z16warp_scan_kernelIfLj64ELj4EENSt9enable_ifIXsr10test_utilsE35device_test_enabled_for_warp_size_vIXT1_EEEvE4typeEPT_S4_S4_S3_, .Lfunc_end268-_Z16warp_scan_kernelIfLj64ELj4EENSt9enable_ifIXsr10test_utilsE35device_test_enabled_for_warp_size_vIXT1_EEEvE4typeEPT_S4_S4_S3_
                                        ; -- End function
	.set _Z16warp_scan_kernelIfLj64ELj4EENSt9enable_ifIXsr10test_utilsE35device_test_enabled_for_warp_size_vIXT1_EEEvE4typeEPT_S4_S4_S3_.num_vgpr, 9
	.set _Z16warp_scan_kernelIfLj64ELj4EENSt9enable_ifIXsr10test_utilsE35device_test_enabled_for_warp_size_vIXT1_EEEvE4typeEPT_S4_S4_S3_.num_agpr, 0
	.set _Z16warp_scan_kernelIfLj64ELj4EENSt9enable_ifIXsr10test_utilsE35device_test_enabled_for_warp_size_vIXT1_EEEvE4typeEPT_S4_S4_S3_.numbered_sgpr, 10
	.set _Z16warp_scan_kernelIfLj64ELj4EENSt9enable_ifIXsr10test_utilsE35device_test_enabled_for_warp_size_vIXT1_EEEvE4typeEPT_S4_S4_S3_.num_named_barrier, 0
	.set _Z16warp_scan_kernelIfLj64ELj4EENSt9enable_ifIXsr10test_utilsE35device_test_enabled_for_warp_size_vIXT1_EEEvE4typeEPT_S4_S4_S3_.private_seg_size, 0
	.set _Z16warp_scan_kernelIfLj64ELj4EENSt9enable_ifIXsr10test_utilsE35device_test_enabled_for_warp_size_vIXT1_EEEvE4typeEPT_S4_S4_S3_.uses_vcc, 1
	.set _Z16warp_scan_kernelIfLj64ELj4EENSt9enable_ifIXsr10test_utilsE35device_test_enabled_for_warp_size_vIXT1_EEEvE4typeEPT_S4_S4_S3_.uses_flat_scratch, 0
	.set _Z16warp_scan_kernelIfLj64ELj4EENSt9enable_ifIXsr10test_utilsE35device_test_enabled_for_warp_size_vIXT1_EEEvE4typeEPT_S4_S4_S3_.has_dyn_sized_stack, 0
	.set _Z16warp_scan_kernelIfLj64ELj4EENSt9enable_ifIXsr10test_utilsE35device_test_enabled_for_warp_size_vIXT1_EEEvE4typeEPT_S4_S4_S3_.has_recursion, 0
	.set _Z16warp_scan_kernelIfLj64ELj4EENSt9enable_ifIXsr10test_utilsE35device_test_enabled_for_warp_size_vIXT1_EEEvE4typeEPT_S4_S4_S3_.has_indirect_call, 0
	.section	.AMDGPU.csdata,"",@progbits
; Kernel info:
; codeLenInByte = 260
; TotalNumSgprs: 14
; NumVgprs: 9
; ScratchSize: 0
; MemoryBound: 0
; FloatMode: 240
; IeeeMode: 1
; LDSByteSize: 0 bytes/workgroup (compile time only)
; SGPRBlocks: 1
; VGPRBlocks: 2
; NumSGPRsForWavesPerEU: 14
; NumVGPRsForWavesPerEU: 9
; Occupancy: 10
; WaveLimiterHint : 0
; COMPUTE_PGM_RSRC2:SCRATCH_EN: 0
; COMPUTE_PGM_RSRC2:USER_SGPR: 6
; COMPUTE_PGM_RSRC2:TRAP_HANDLER: 0
; COMPUTE_PGM_RSRC2:TGID_X_EN: 1
; COMPUTE_PGM_RSRC2:TGID_Y_EN: 0
; COMPUTE_PGM_RSRC2:TGID_Z_EN: 0
; COMPUTE_PGM_RSRC2:TIDIG_COMP_CNT: 0
	.section	.text._Z16warp_scan_kernelIfLj32ELj2EENSt9enable_ifIXsr10test_utilsE35device_test_enabled_for_warp_size_vIXT1_EEEvE4typeEPT_S4_S4_S3_,"axG",@progbits,_Z16warp_scan_kernelIfLj32ELj2EENSt9enable_ifIXsr10test_utilsE35device_test_enabled_for_warp_size_vIXT1_EEEvE4typeEPT_S4_S4_S3_,comdat
	.protected	_Z16warp_scan_kernelIfLj32ELj2EENSt9enable_ifIXsr10test_utilsE35device_test_enabled_for_warp_size_vIXT1_EEEvE4typeEPT_S4_S4_S3_ ; -- Begin function _Z16warp_scan_kernelIfLj32ELj2EENSt9enable_ifIXsr10test_utilsE35device_test_enabled_for_warp_size_vIXT1_EEEvE4typeEPT_S4_S4_S3_
	.globl	_Z16warp_scan_kernelIfLj32ELj2EENSt9enable_ifIXsr10test_utilsE35device_test_enabled_for_warp_size_vIXT1_EEEvE4typeEPT_S4_S4_S3_
	.p2align	8
	.type	_Z16warp_scan_kernelIfLj32ELj2EENSt9enable_ifIXsr10test_utilsE35device_test_enabled_for_warp_size_vIXT1_EEEvE4typeEPT_S4_S4_S3_,@function
_Z16warp_scan_kernelIfLj32ELj2EENSt9enable_ifIXsr10test_utilsE35device_test_enabled_for_warp_size_vIXT1_EEEvE4typeEPT_S4_S4_S3_: ; @_Z16warp_scan_kernelIfLj32ELj2EENSt9enable_ifIXsr10test_utilsE35device_test_enabled_for_warp_size_vIXT1_EEEvE4typeEPT_S4_S4_S3_
; %bb.0:
	s_load_dword s7, s[4:5], 0x2c
	s_load_dwordx4 s[0:3], s[4:5], 0x0
	s_load_dwordx2 s[8:9], s[4:5], 0x10
	v_mov_b32_e32 v1, 0
	s_waitcnt lgkmcnt(0)
	s_and_b32 s7, s7, 0xffff
	s_mul_i32 s6, s6, s7
	v_add_u32_e32 v0, s6, v0
	v_lshlrev_b64 v[0:1], 2, v[0:1]
	v_mov_b32_e32 v3, s1
	v_add_co_u32_e32 v2, vcc, s0, v0
	v_addc_co_u32_e32 v3, vcc, v3, v1, vcc
	global_load_dword v2, v[2:3], off
	v_mbcnt_lo_u32_b32 v3, -1, 0
	s_load_dword s0, s[4:5], 0x18
	v_mbcnt_hi_u32_b32 v3, -1, v3
	v_add_u32_e32 v5, -1, v3
	v_and_b32_e32 v6, 0x7e, v3
	v_and_b32_e32 v4, 1, v3
	v_cmp_lt_i32_e32 vcc, v5, v6
	v_cndmask_b32_e32 v3, v5, v3, vcc
	v_cmp_eq_u32_e32 vcc, 0, v4
	v_lshlrev_b32_e32 v3, 2, v3
	s_waitcnt lgkmcnt(0)
	v_mov_b32_e32 v5, s0
	v_mov_b32_e32 v6, s3
	;; [unrolled: 1-line block ×3, first 2 shown]
	s_waitcnt vmcnt(0)
	v_mov_b32_dpp v8, v2 row_shr:1 row_mask:0xf bank_mask:0xf
	v_add_f32_e32 v8, v2, v8
	v_cndmask_b32_e32 v2, v8, v2, vcc
	v_add_f32_e32 v4, s0, v2
	ds_bpermute_b32 v8, v3, v4
	v_add_co_u32_e64 v2, s[0:1], s2, v0
	v_addc_co_u32_e64 v3, s[0:1], v6, v1, s[0:1]
	global_store_dword v[2:3], v4, off
	s_waitcnt lgkmcnt(0)
	v_cndmask_b32_e32 v2, v8, v5, vcc
	v_add_co_u32_e32 v0, vcc, s8, v0
	v_addc_co_u32_e32 v1, vcc, v7, v1, vcc
	global_store_dword v[0:1], v2, off
	s_endpgm
	.section	.rodata,"a",@progbits
	.p2align	6, 0x0
	.amdhsa_kernel _Z16warp_scan_kernelIfLj32ELj2EENSt9enable_ifIXsr10test_utilsE35device_test_enabled_for_warp_size_vIXT1_EEEvE4typeEPT_S4_S4_S3_
		.amdhsa_group_segment_fixed_size 0
		.amdhsa_private_segment_fixed_size 0
		.amdhsa_kernarg_size 288
		.amdhsa_user_sgpr_count 6
		.amdhsa_user_sgpr_private_segment_buffer 1
		.amdhsa_user_sgpr_dispatch_ptr 0
		.amdhsa_user_sgpr_queue_ptr 0
		.amdhsa_user_sgpr_kernarg_segment_ptr 1
		.amdhsa_user_sgpr_dispatch_id 0
		.amdhsa_user_sgpr_flat_scratch_init 0
		.amdhsa_user_sgpr_private_segment_size 0
		.amdhsa_uses_dynamic_stack 0
		.amdhsa_system_sgpr_private_segment_wavefront_offset 0
		.amdhsa_system_sgpr_workgroup_id_x 1
		.amdhsa_system_sgpr_workgroup_id_y 0
		.amdhsa_system_sgpr_workgroup_id_z 0
		.amdhsa_system_sgpr_workgroup_info 0
		.amdhsa_system_vgpr_workitem_id 0
		.amdhsa_next_free_vgpr 9
		.amdhsa_next_free_sgpr 10
		.amdhsa_reserve_vcc 1
		.amdhsa_reserve_flat_scratch 0
		.amdhsa_float_round_mode_32 0
		.amdhsa_float_round_mode_16_64 0
		.amdhsa_float_denorm_mode_32 3
		.amdhsa_float_denorm_mode_16_64 3
		.amdhsa_dx10_clamp 1
		.amdhsa_ieee_mode 1
		.amdhsa_fp16_overflow 0
		.amdhsa_exception_fp_ieee_invalid_op 0
		.amdhsa_exception_fp_denorm_src 0
		.amdhsa_exception_fp_ieee_div_zero 0
		.amdhsa_exception_fp_ieee_overflow 0
		.amdhsa_exception_fp_ieee_underflow 0
		.amdhsa_exception_fp_ieee_inexact 0
		.amdhsa_exception_int_div_zero 0
	.end_amdhsa_kernel
	.section	.text._Z16warp_scan_kernelIfLj32ELj2EENSt9enable_ifIXsr10test_utilsE35device_test_enabled_for_warp_size_vIXT1_EEEvE4typeEPT_S4_S4_S3_,"axG",@progbits,_Z16warp_scan_kernelIfLj32ELj2EENSt9enable_ifIXsr10test_utilsE35device_test_enabled_for_warp_size_vIXT1_EEEvE4typeEPT_S4_S4_S3_,comdat
.Lfunc_end269:
	.size	_Z16warp_scan_kernelIfLj32ELj2EENSt9enable_ifIXsr10test_utilsE35device_test_enabled_for_warp_size_vIXT1_EEEvE4typeEPT_S4_S4_S3_, .Lfunc_end269-_Z16warp_scan_kernelIfLj32ELj2EENSt9enable_ifIXsr10test_utilsE35device_test_enabled_for_warp_size_vIXT1_EEEvE4typeEPT_S4_S4_S3_
                                        ; -- End function
	.set _Z16warp_scan_kernelIfLj32ELj2EENSt9enable_ifIXsr10test_utilsE35device_test_enabled_for_warp_size_vIXT1_EEEvE4typeEPT_S4_S4_S3_.num_vgpr, 9
	.set _Z16warp_scan_kernelIfLj32ELj2EENSt9enable_ifIXsr10test_utilsE35device_test_enabled_for_warp_size_vIXT1_EEEvE4typeEPT_S4_S4_S3_.num_agpr, 0
	.set _Z16warp_scan_kernelIfLj32ELj2EENSt9enable_ifIXsr10test_utilsE35device_test_enabled_for_warp_size_vIXT1_EEEvE4typeEPT_S4_S4_S3_.numbered_sgpr, 10
	.set _Z16warp_scan_kernelIfLj32ELj2EENSt9enable_ifIXsr10test_utilsE35device_test_enabled_for_warp_size_vIXT1_EEEvE4typeEPT_S4_S4_S3_.num_named_barrier, 0
	.set _Z16warp_scan_kernelIfLj32ELj2EENSt9enable_ifIXsr10test_utilsE35device_test_enabled_for_warp_size_vIXT1_EEEvE4typeEPT_S4_S4_S3_.private_seg_size, 0
	.set _Z16warp_scan_kernelIfLj32ELj2EENSt9enable_ifIXsr10test_utilsE35device_test_enabled_for_warp_size_vIXT1_EEEvE4typeEPT_S4_S4_S3_.uses_vcc, 1
	.set _Z16warp_scan_kernelIfLj32ELj2EENSt9enable_ifIXsr10test_utilsE35device_test_enabled_for_warp_size_vIXT1_EEEvE4typeEPT_S4_S4_S3_.uses_flat_scratch, 0
	.set _Z16warp_scan_kernelIfLj32ELj2EENSt9enable_ifIXsr10test_utilsE35device_test_enabled_for_warp_size_vIXT1_EEEvE4typeEPT_S4_S4_S3_.has_dyn_sized_stack, 0
	.set _Z16warp_scan_kernelIfLj32ELj2EENSt9enable_ifIXsr10test_utilsE35device_test_enabled_for_warp_size_vIXT1_EEEvE4typeEPT_S4_S4_S3_.has_recursion, 0
	.set _Z16warp_scan_kernelIfLj32ELj2EENSt9enable_ifIXsr10test_utilsE35device_test_enabled_for_warp_size_vIXT1_EEEvE4typeEPT_S4_S4_S3_.has_indirect_call, 0
	.section	.AMDGPU.csdata,"",@progbits
; Kernel info:
; codeLenInByte = 232
; TotalNumSgprs: 14
; NumVgprs: 9
; ScratchSize: 0
; MemoryBound: 0
; FloatMode: 240
; IeeeMode: 1
; LDSByteSize: 0 bytes/workgroup (compile time only)
; SGPRBlocks: 1
; VGPRBlocks: 2
; NumSGPRsForWavesPerEU: 14
; NumVGPRsForWavesPerEU: 9
; Occupancy: 10
; WaveLimiterHint : 0
; COMPUTE_PGM_RSRC2:SCRATCH_EN: 0
; COMPUTE_PGM_RSRC2:USER_SGPR: 6
; COMPUTE_PGM_RSRC2:TRAP_HANDLER: 0
; COMPUTE_PGM_RSRC2:TGID_X_EN: 1
; COMPUTE_PGM_RSRC2:TGID_Y_EN: 0
; COMPUTE_PGM_RSRC2:TGID_Z_EN: 0
; COMPUTE_PGM_RSRC2:TIDIG_COMP_CNT: 0
	.section	.text._Z16warp_scan_kernelIfLj64ELj2EENSt9enable_ifIXsr10test_utilsE35device_test_enabled_for_warp_size_vIXT1_EEEvE4typeEPT_S4_S4_S3_,"axG",@progbits,_Z16warp_scan_kernelIfLj64ELj2EENSt9enable_ifIXsr10test_utilsE35device_test_enabled_for_warp_size_vIXT1_EEEvE4typeEPT_S4_S4_S3_,comdat
	.protected	_Z16warp_scan_kernelIfLj64ELj2EENSt9enable_ifIXsr10test_utilsE35device_test_enabled_for_warp_size_vIXT1_EEEvE4typeEPT_S4_S4_S3_ ; -- Begin function _Z16warp_scan_kernelIfLj64ELj2EENSt9enable_ifIXsr10test_utilsE35device_test_enabled_for_warp_size_vIXT1_EEEvE4typeEPT_S4_S4_S3_
	.globl	_Z16warp_scan_kernelIfLj64ELj2EENSt9enable_ifIXsr10test_utilsE35device_test_enabled_for_warp_size_vIXT1_EEEvE4typeEPT_S4_S4_S3_
	.p2align	8
	.type	_Z16warp_scan_kernelIfLj64ELj2EENSt9enable_ifIXsr10test_utilsE35device_test_enabled_for_warp_size_vIXT1_EEEvE4typeEPT_S4_S4_S3_,@function
_Z16warp_scan_kernelIfLj64ELj2EENSt9enable_ifIXsr10test_utilsE35device_test_enabled_for_warp_size_vIXT1_EEEvE4typeEPT_S4_S4_S3_: ; @_Z16warp_scan_kernelIfLj64ELj2EENSt9enable_ifIXsr10test_utilsE35device_test_enabled_for_warp_size_vIXT1_EEEvE4typeEPT_S4_S4_S3_
; %bb.0:
	s_load_dword s7, s[4:5], 0x2c
	s_load_dwordx4 s[0:3], s[4:5], 0x0
	s_load_dwordx2 s[8:9], s[4:5], 0x10
	v_mov_b32_e32 v1, 0
	s_waitcnt lgkmcnt(0)
	s_and_b32 s7, s7, 0xffff
	s_mul_i32 s6, s6, s7
	v_add_u32_e32 v0, s6, v0
	v_lshlrev_b64 v[0:1], 2, v[0:1]
	v_mov_b32_e32 v3, s1
	v_add_co_u32_e32 v2, vcc, s0, v0
	v_addc_co_u32_e32 v3, vcc, v3, v1, vcc
	global_load_dword v2, v[2:3], off
	v_mbcnt_lo_u32_b32 v3, -1, 0
	s_load_dword s0, s[4:5], 0x18
	v_mbcnt_hi_u32_b32 v3, -1, v3
	v_add_u32_e32 v5, -1, v3
	v_and_b32_e32 v6, 0x7e, v3
	v_and_b32_e32 v4, 1, v3
	v_cmp_lt_i32_e32 vcc, v5, v6
	v_cndmask_b32_e32 v3, v5, v3, vcc
	v_cmp_eq_u32_e32 vcc, 0, v4
	v_lshlrev_b32_e32 v3, 2, v3
	s_waitcnt lgkmcnt(0)
	v_mov_b32_e32 v5, s0
	v_mov_b32_e32 v6, s3
	v_mov_b32_e32 v7, s9
	s_waitcnt vmcnt(0)
	v_mov_b32_dpp v8, v2 row_shr:1 row_mask:0xf bank_mask:0xf
	v_add_f32_e32 v8, v2, v8
	v_cndmask_b32_e32 v2, v8, v2, vcc
	v_add_f32_e32 v4, s0, v2
	ds_bpermute_b32 v8, v3, v4
	v_add_co_u32_e64 v2, s[0:1], s2, v0
	v_addc_co_u32_e64 v3, s[0:1], v6, v1, s[0:1]
	global_store_dword v[2:3], v4, off
	s_waitcnt lgkmcnt(0)
	v_cndmask_b32_e32 v2, v8, v5, vcc
	v_add_co_u32_e32 v0, vcc, s8, v0
	v_addc_co_u32_e32 v1, vcc, v7, v1, vcc
	global_store_dword v[0:1], v2, off
	s_endpgm
	.section	.rodata,"a",@progbits
	.p2align	6, 0x0
	.amdhsa_kernel _Z16warp_scan_kernelIfLj64ELj2EENSt9enable_ifIXsr10test_utilsE35device_test_enabled_for_warp_size_vIXT1_EEEvE4typeEPT_S4_S4_S3_
		.amdhsa_group_segment_fixed_size 0
		.amdhsa_private_segment_fixed_size 0
		.amdhsa_kernarg_size 288
		.amdhsa_user_sgpr_count 6
		.amdhsa_user_sgpr_private_segment_buffer 1
		.amdhsa_user_sgpr_dispatch_ptr 0
		.amdhsa_user_sgpr_queue_ptr 0
		.amdhsa_user_sgpr_kernarg_segment_ptr 1
		.amdhsa_user_sgpr_dispatch_id 0
		.amdhsa_user_sgpr_flat_scratch_init 0
		.amdhsa_user_sgpr_private_segment_size 0
		.amdhsa_uses_dynamic_stack 0
		.amdhsa_system_sgpr_private_segment_wavefront_offset 0
		.amdhsa_system_sgpr_workgroup_id_x 1
		.amdhsa_system_sgpr_workgroup_id_y 0
		.amdhsa_system_sgpr_workgroup_id_z 0
		.amdhsa_system_sgpr_workgroup_info 0
		.amdhsa_system_vgpr_workitem_id 0
		.amdhsa_next_free_vgpr 9
		.amdhsa_next_free_sgpr 10
		.amdhsa_reserve_vcc 1
		.amdhsa_reserve_flat_scratch 0
		.amdhsa_float_round_mode_32 0
		.amdhsa_float_round_mode_16_64 0
		.amdhsa_float_denorm_mode_32 3
		.amdhsa_float_denorm_mode_16_64 3
		.amdhsa_dx10_clamp 1
		.amdhsa_ieee_mode 1
		.amdhsa_fp16_overflow 0
		.amdhsa_exception_fp_ieee_invalid_op 0
		.amdhsa_exception_fp_denorm_src 0
		.amdhsa_exception_fp_ieee_div_zero 0
		.amdhsa_exception_fp_ieee_overflow 0
		.amdhsa_exception_fp_ieee_underflow 0
		.amdhsa_exception_fp_ieee_inexact 0
		.amdhsa_exception_int_div_zero 0
	.end_amdhsa_kernel
	.section	.text._Z16warp_scan_kernelIfLj64ELj2EENSt9enable_ifIXsr10test_utilsE35device_test_enabled_for_warp_size_vIXT1_EEEvE4typeEPT_S4_S4_S3_,"axG",@progbits,_Z16warp_scan_kernelIfLj64ELj2EENSt9enable_ifIXsr10test_utilsE35device_test_enabled_for_warp_size_vIXT1_EEEvE4typeEPT_S4_S4_S3_,comdat
.Lfunc_end270:
	.size	_Z16warp_scan_kernelIfLj64ELj2EENSt9enable_ifIXsr10test_utilsE35device_test_enabled_for_warp_size_vIXT1_EEEvE4typeEPT_S4_S4_S3_, .Lfunc_end270-_Z16warp_scan_kernelIfLj64ELj2EENSt9enable_ifIXsr10test_utilsE35device_test_enabled_for_warp_size_vIXT1_EEEvE4typeEPT_S4_S4_S3_
                                        ; -- End function
	.set _Z16warp_scan_kernelIfLj64ELj2EENSt9enable_ifIXsr10test_utilsE35device_test_enabled_for_warp_size_vIXT1_EEEvE4typeEPT_S4_S4_S3_.num_vgpr, 9
	.set _Z16warp_scan_kernelIfLj64ELj2EENSt9enable_ifIXsr10test_utilsE35device_test_enabled_for_warp_size_vIXT1_EEEvE4typeEPT_S4_S4_S3_.num_agpr, 0
	.set _Z16warp_scan_kernelIfLj64ELj2EENSt9enable_ifIXsr10test_utilsE35device_test_enabled_for_warp_size_vIXT1_EEEvE4typeEPT_S4_S4_S3_.numbered_sgpr, 10
	.set _Z16warp_scan_kernelIfLj64ELj2EENSt9enable_ifIXsr10test_utilsE35device_test_enabled_for_warp_size_vIXT1_EEEvE4typeEPT_S4_S4_S3_.num_named_barrier, 0
	.set _Z16warp_scan_kernelIfLj64ELj2EENSt9enable_ifIXsr10test_utilsE35device_test_enabled_for_warp_size_vIXT1_EEEvE4typeEPT_S4_S4_S3_.private_seg_size, 0
	.set _Z16warp_scan_kernelIfLj64ELj2EENSt9enable_ifIXsr10test_utilsE35device_test_enabled_for_warp_size_vIXT1_EEEvE4typeEPT_S4_S4_S3_.uses_vcc, 1
	.set _Z16warp_scan_kernelIfLj64ELj2EENSt9enable_ifIXsr10test_utilsE35device_test_enabled_for_warp_size_vIXT1_EEEvE4typeEPT_S4_S4_S3_.uses_flat_scratch, 0
	.set _Z16warp_scan_kernelIfLj64ELj2EENSt9enable_ifIXsr10test_utilsE35device_test_enabled_for_warp_size_vIXT1_EEEvE4typeEPT_S4_S4_S3_.has_dyn_sized_stack, 0
	.set _Z16warp_scan_kernelIfLj64ELj2EENSt9enable_ifIXsr10test_utilsE35device_test_enabled_for_warp_size_vIXT1_EEEvE4typeEPT_S4_S4_S3_.has_recursion, 0
	.set _Z16warp_scan_kernelIfLj64ELj2EENSt9enable_ifIXsr10test_utilsE35device_test_enabled_for_warp_size_vIXT1_EEEvE4typeEPT_S4_S4_S3_.has_indirect_call, 0
	.section	.AMDGPU.csdata,"",@progbits
; Kernel info:
; codeLenInByte = 232
; TotalNumSgprs: 14
; NumVgprs: 9
; ScratchSize: 0
; MemoryBound: 0
; FloatMode: 240
; IeeeMode: 1
; LDSByteSize: 0 bytes/workgroup (compile time only)
; SGPRBlocks: 1
; VGPRBlocks: 2
; NumSGPRsForWavesPerEU: 14
; NumVGPRsForWavesPerEU: 9
; Occupancy: 10
; WaveLimiterHint : 0
; COMPUTE_PGM_RSRC2:SCRATCH_EN: 0
; COMPUTE_PGM_RSRC2:USER_SGPR: 6
; COMPUTE_PGM_RSRC2:TRAP_HANDLER: 0
; COMPUTE_PGM_RSRC2:TGID_X_EN: 1
; COMPUTE_PGM_RSRC2:TGID_Y_EN: 0
; COMPUTE_PGM_RSRC2:TGID_Z_EN: 0
; COMPUTE_PGM_RSRC2:TIDIG_COMP_CNT: 0
	.section	.text._Z16warp_scan_kernelIiLj256ELj64EENSt9enable_ifIXsr10test_utilsE35device_test_enabled_for_warp_size_vIXT1_EEEvE4typeEPT_S4_S4_S3_,"axG",@progbits,_Z16warp_scan_kernelIiLj256ELj64EENSt9enable_ifIXsr10test_utilsE35device_test_enabled_for_warp_size_vIXT1_EEEvE4typeEPT_S4_S4_S3_,comdat
	.protected	_Z16warp_scan_kernelIiLj256ELj64EENSt9enable_ifIXsr10test_utilsE35device_test_enabled_for_warp_size_vIXT1_EEEvE4typeEPT_S4_S4_S3_ ; -- Begin function _Z16warp_scan_kernelIiLj256ELj64EENSt9enable_ifIXsr10test_utilsE35device_test_enabled_for_warp_size_vIXT1_EEEvE4typeEPT_S4_S4_S3_
	.globl	_Z16warp_scan_kernelIiLj256ELj64EENSt9enable_ifIXsr10test_utilsE35device_test_enabled_for_warp_size_vIXT1_EEEvE4typeEPT_S4_S4_S3_
	.p2align	8
	.type	_Z16warp_scan_kernelIiLj256ELj64EENSt9enable_ifIXsr10test_utilsE35device_test_enabled_for_warp_size_vIXT1_EEEvE4typeEPT_S4_S4_S3_,@function
_Z16warp_scan_kernelIiLj256ELj64EENSt9enable_ifIXsr10test_utilsE35device_test_enabled_for_warp_size_vIXT1_EEEvE4typeEPT_S4_S4_S3_: ; @_Z16warp_scan_kernelIiLj256ELj64EENSt9enable_ifIXsr10test_utilsE35device_test_enabled_for_warp_size_vIXT1_EEEvE4typeEPT_S4_S4_S3_
; %bb.0:
	s_load_dword s7, s[4:5], 0x2c
	s_load_dwordx4 s[0:3], s[4:5], 0x0
	s_load_dwordx2 s[8:9], s[4:5], 0x10
	v_mov_b32_e32 v1, 0
	s_load_dword s4, s[4:5], 0x18
	s_waitcnt lgkmcnt(0)
	s_and_b32 s7, s7, 0xffff
	s_mul_i32 s6, s6, s7
	v_add_u32_e32 v0, s6, v0
	v_lshlrev_b64 v[0:1], 2, v[0:1]
	v_mov_b32_e32 v3, s1
	v_add_co_u32_e32 v2, vcc, s0, v0
	v_addc_co_u32_e32 v3, vcc, v3, v1, vcc
	global_load_dword v2, v[2:3], off
	v_mbcnt_lo_u32_b32 v3, -1, 0
	v_mbcnt_hi_u32_b32 v3, -1, v3
	v_and_b32_e32 v6, 64, v3
	v_subrev_co_u32_e32 v8, vcc, 1, v3
	v_and_b32_e32 v4, 15, v3
	v_cmp_lt_i32_e64 s[0:1], v8, v6
	v_cndmask_b32_e64 v6, v8, v3, s[0:1]
	v_cmp_ne_u32_e64 s[0:1], 0, v4
	v_bfe_i32 v5, v3, 4, 1
	v_lshlrev_b32_e32 v6, 2, v6
	v_mov_b32_e32 v9, s3
	v_mov_b32_e32 v7, s4
	;; [unrolled: 1-line block ×3, first 2 shown]
	s_waitcnt vmcnt(0)
	v_mov_b32_dpp v8, v2 row_shr:1 row_mask:0xf bank_mask:0xf
	v_cndmask_b32_e64 v8, 0, v8, s[0:1]
	v_add_u32_e32 v2, v8, v2
	v_cmp_lt_u32_e64 s[0:1], 1, v4
	s_nop 0
	v_mov_b32_dpp v8, v2 row_shr:2 row_mask:0xf bank_mask:0xf
	v_cndmask_b32_e64 v8, 0, v8, s[0:1]
	v_add_u32_e32 v2, v2, v8
	v_cmp_lt_u32_e64 s[0:1], 3, v4
	s_nop 0
	;; [unrolled: 5-line block ×4, first 2 shown]
	v_mov_b32_dpp v4, v2 row_bcast:15 row_mask:0xf bank_mask:0xf
	v_and_b32_e32 v4, v5, v4
	v_add_u32_e32 v2, v2, v4
	s_nop 1
	v_mov_b32_dpp v4, v2 row_bcast:31 row_mask:0xf bank_mask:0xf
	v_cndmask_b32_e64 v3, 0, v4, s[0:1]
	v_add3_u32 v4, v3, s4, v2
	ds_bpermute_b32 v5, v6, v4
	v_add_co_u32_e64 v2, s[0:1], s2, v0
	v_addc_co_u32_e64 v3, s[0:1], v9, v1, s[0:1]
	global_store_dword v[2:3], v4, off
	s_waitcnt lgkmcnt(0)
	v_cndmask_b32_e32 v2, v5, v7, vcc
	v_add_co_u32_e32 v0, vcc, s8, v0
	v_addc_co_u32_e32 v1, vcc, v10, v1, vcc
	global_store_dword v[0:1], v2, off
	s_endpgm
	.section	.rodata,"a",@progbits
	.p2align	6, 0x0
	.amdhsa_kernel _Z16warp_scan_kernelIiLj256ELj64EENSt9enable_ifIXsr10test_utilsE35device_test_enabled_for_warp_size_vIXT1_EEEvE4typeEPT_S4_S4_S3_
		.amdhsa_group_segment_fixed_size 0
		.amdhsa_private_segment_fixed_size 0
		.amdhsa_kernarg_size 288
		.amdhsa_user_sgpr_count 6
		.amdhsa_user_sgpr_private_segment_buffer 1
		.amdhsa_user_sgpr_dispatch_ptr 0
		.amdhsa_user_sgpr_queue_ptr 0
		.amdhsa_user_sgpr_kernarg_segment_ptr 1
		.amdhsa_user_sgpr_dispatch_id 0
		.amdhsa_user_sgpr_flat_scratch_init 0
		.amdhsa_user_sgpr_private_segment_size 0
		.amdhsa_uses_dynamic_stack 0
		.amdhsa_system_sgpr_private_segment_wavefront_offset 0
		.amdhsa_system_sgpr_workgroup_id_x 1
		.amdhsa_system_sgpr_workgroup_id_y 0
		.amdhsa_system_sgpr_workgroup_id_z 0
		.amdhsa_system_sgpr_workgroup_info 0
		.amdhsa_system_vgpr_workitem_id 0
		.amdhsa_next_free_vgpr 11
		.amdhsa_next_free_sgpr 10
		.amdhsa_reserve_vcc 1
		.amdhsa_reserve_flat_scratch 0
		.amdhsa_float_round_mode_32 0
		.amdhsa_float_round_mode_16_64 0
		.amdhsa_float_denorm_mode_32 3
		.amdhsa_float_denorm_mode_16_64 3
		.amdhsa_dx10_clamp 1
		.amdhsa_ieee_mode 1
		.amdhsa_fp16_overflow 0
		.amdhsa_exception_fp_ieee_invalid_op 0
		.amdhsa_exception_fp_denorm_src 0
		.amdhsa_exception_fp_ieee_div_zero 0
		.amdhsa_exception_fp_ieee_overflow 0
		.amdhsa_exception_fp_ieee_underflow 0
		.amdhsa_exception_fp_ieee_inexact 0
		.amdhsa_exception_int_div_zero 0
	.end_amdhsa_kernel
	.section	.text._Z16warp_scan_kernelIiLj256ELj64EENSt9enable_ifIXsr10test_utilsE35device_test_enabled_for_warp_size_vIXT1_EEEvE4typeEPT_S4_S4_S3_,"axG",@progbits,_Z16warp_scan_kernelIiLj256ELj64EENSt9enable_ifIXsr10test_utilsE35device_test_enabled_for_warp_size_vIXT1_EEEvE4typeEPT_S4_S4_S3_,comdat
.Lfunc_end271:
	.size	_Z16warp_scan_kernelIiLj256ELj64EENSt9enable_ifIXsr10test_utilsE35device_test_enabled_for_warp_size_vIXT1_EEEvE4typeEPT_S4_S4_S3_, .Lfunc_end271-_Z16warp_scan_kernelIiLj256ELj64EENSt9enable_ifIXsr10test_utilsE35device_test_enabled_for_warp_size_vIXT1_EEEvE4typeEPT_S4_S4_S3_
                                        ; -- End function
	.set _Z16warp_scan_kernelIiLj256ELj64EENSt9enable_ifIXsr10test_utilsE35device_test_enabled_for_warp_size_vIXT1_EEEvE4typeEPT_S4_S4_S3_.num_vgpr, 11
	.set _Z16warp_scan_kernelIiLj256ELj64EENSt9enable_ifIXsr10test_utilsE35device_test_enabled_for_warp_size_vIXT1_EEEvE4typeEPT_S4_S4_S3_.num_agpr, 0
	.set _Z16warp_scan_kernelIiLj256ELj64EENSt9enable_ifIXsr10test_utilsE35device_test_enabled_for_warp_size_vIXT1_EEEvE4typeEPT_S4_S4_S3_.numbered_sgpr, 10
	.set _Z16warp_scan_kernelIiLj256ELj64EENSt9enable_ifIXsr10test_utilsE35device_test_enabled_for_warp_size_vIXT1_EEEvE4typeEPT_S4_S4_S3_.num_named_barrier, 0
	.set _Z16warp_scan_kernelIiLj256ELj64EENSt9enable_ifIXsr10test_utilsE35device_test_enabled_for_warp_size_vIXT1_EEEvE4typeEPT_S4_S4_S3_.private_seg_size, 0
	.set _Z16warp_scan_kernelIiLj256ELj64EENSt9enable_ifIXsr10test_utilsE35device_test_enabled_for_warp_size_vIXT1_EEEvE4typeEPT_S4_S4_S3_.uses_vcc, 1
	.set _Z16warp_scan_kernelIiLj256ELj64EENSt9enable_ifIXsr10test_utilsE35device_test_enabled_for_warp_size_vIXT1_EEEvE4typeEPT_S4_S4_S3_.uses_flat_scratch, 0
	.set _Z16warp_scan_kernelIiLj256ELj64EENSt9enable_ifIXsr10test_utilsE35device_test_enabled_for_warp_size_vIXT1_EEEvE4typeEPT_S4_S4_S3_.has_dyn_sized_stack, 0
	.set _Z16warp_scan_kernelIiLj256ELj64EENSt9enable_ifIXsr10test_utilsE35device_test_enabled_for_warp_size_vIXT1_EEEvE4typeEPT_S4_S4_S3_.has_recursion, 0
	.set _Z16warp_scan_kernelIiLj256ELj64EENSt9enable_ifIXsr10test_utilsE35device_test_enabled_for_warp_size_vIXT1_EEEvE4typeEPT_S4_S4_S3_.has_indirect_call, 0
	.section	.AMDGPU.csdata,"",@progbits
; Kernel info:
; codeLenInByte = 396
; TotalNumSgprs: 14
; NumVgprs: 11
; ScratchSize: 0
; MemoryBound: 0
; FloatMode: 240
; IeeeMode: 1
; LDSByteSize: 0 bytes/workgroup (compile time only)
; SGPRBlocks: 1
; VGPRBlocks: 2
; NumSGPRsForWavesPerEU: 14
; NumVGPRsForWavesPerEU: 11
; Occupancy: 10
; WaveLimiterHint : 0
; COMPUTE_PGM_RSRC2:SCRATCH_EN: 0
; COMPUTE_PGM_RSRC2:USER_SGPR: 6
; COMPUTE_PGM_RSRC2:TRAP_HANDLER: 0
; COMPUTE_PGM_RSRC2:TGID_X_EN: 1
; COMPUTE_PGM_RSRC2:TGID_Y_EN: 0
; COMPUTE_PGM_RSRC2:TGID_Z_EN: 0
; COMPUTE_PGM_RSRC2:TIDIG_COMP_CNT: 0
	.section	.text._Z16warp_scan_kernelIiLj128ELj32EENSt9enable_ifIXsr10test_utilsE35device_test_enabled_for_warp_size_vIXT1_EEEvE4typeEPT_S4_S4_S3_,"axG",@progbits,_Z16warp_scan_kernelIiLj128ELj32EENSt9enable_ifIXsr10test_utilsE35device_test_enabled_for_warp_size_vIXT1_EEEvE4typeEPT_S4_S4_S3_,comdat
	.protected	_Z16warp_scan_kernelIiLj128ELj32EENSt9enable_ifIXsr10test_utilsE35device_test_enabled_for_warp_size_vIXT1_EEEvE4typeEPT_S4_S4_S3_ ; -- Begin function _Z16warp_scan_kernelIiLj128ELj32EENSt9enable_ifIXsr10test_utilsE35device_test_enabled_for_warp_size_vIXT1_EEEvE4typeEPT_S4_S4_S3_
	.globl	_Z16warp_scan_kernelIiLj128ELj32EENSt9enable_ifIXsr10test_utilsE35device_test_enabled_for_warp_size_vIXT1_EEEvE4typeEPT_S4_S4_S3_
	.p2align	8
	.type	_Z16warp_scan_kernelIiLj128ELj32EENSt9enable_ifIXsr10test_utilsE35device_test_enabled_for_warp_size_vIXT1_EEEvE4typeEPT_S4_S4_S3_,@function
_Z16warp_scan_kernelIiLj128ELj32EENSt9enable_ifIXsr10test_utilsE35device_test_enabled_for_warp_size_vIXT1_EEEvE4typeEPT_S4_S4_S3_: ; @_Z16warp_scan_kernelIiLj128ELj32EENSt9enable_ifIXsr10test_utilsE35device_test_enabled_for_warp_size_vIXT1_EEEvE4typeEPT_S4_S4_S3_
; %bb.0:
	s_load_dword s7, s[4:5], 0x2c
	s_load_dwordx4 s[0:3], s[4:5], 0x0
	s_load_dwordx2 s[8:9], s[4:5], 0x10
	v_mov_b32_e32 v1, 0
	s_waitcnt lgkmcnt(0)
	s_and_b32 s7, s7, 0xffff
	s_mul_i32 s6, s6, s7
	v_add_u32_e32 v0, s6, v0
	v_lshlrev_b64 v[0:1], 2, v[0:1]
	v_mov_b32_e32 v3, s1
	v_add_co_u32_e32 v2, vcc, s0, v0
	v_addc_co_u32_e32 v3, vcc, v3, v1, vcc
	global_load_dword v2, v[2:3], off
	v_mbcnt_lo_u32_b32 v3, -1, 0
	v_mbcnt_hi_u32_b32 v3, -1, v3
	v_add_u32_e32 v6, -1, v3
	v_and_b32_e32 v7, 0x60, v3
	v_and_b32_e32 v4, 15, v3
	v_cmp_lt_i32_e32 vcc, v6, v7
	v_bfe_i32 v5, v3, 4, 1
	v_and_b32_e32 v8, 31, v3
	v_cndmask_b32_e32 v3, v6, v3, vcc
	v_cmp_ne_u32_e32 vcc, 0, v4
	s_load_dword s0, s[4:5], 0x18
	v_lshlrev_b32_e32 v3, 2, v3
	v_mov_b32_e32 v7, s3
	v_mov_b32_e32 v9, s9
	s_waitcnt lgkmcnt(0)
	v_mov_b32_e32 v6, s0
	s_waitcnt vmcnt(0)
	v_mov_b32_dpp v10, v2 row_shr:1 row_mask:0xf bank_mask:0xf
	v_cndmask_b32_e32 v10, 0, v10, vcc
	v_add_u32_e32 v2, v10, v2
	v_cmp_lt_u32_e32 vcc, 1, v4
	s_nop 0
	v_mov_b32_dpp v10, v2 row_shr:2 row_mask:0xf bank_mask:0xf
	v_cndmask_b32_e32 v10, 0, v10, vcc
	v_add_u32_e32 v2, v2, v10
	v_cmp_lt_u32_e32 vcc, 3, v4
	s_nop 0
	;; [unrolled: 5-line block ×3, first 2 shown]
	v_mov_b32_dpp v10, v2 row_shr:8 row_mask:0xf bank_mask:0xf
	v_cndmask_b32_e32 v4, 0, v10, vcc
	v_add_u32_e32 v2, v2, v4
	s_nop 1
	v_mov_b32_dpp v4, v2 row_bcast:15 row_mask:0xf bank_mask:0xf
	v_and_b32_e32 v4, v5, v4
	v_add3_u32 v4, v4, s0, v2
	ds_bpermute_b32 v5, v3, v4
	v_add_co_u32_e32 v2, vcc, s2, v0
	v_addc_co_u32_e32 v3, vcc, v7, v1, vcc
	v_cmp_eq_u32_e32 vcc, 0, v8
	global_store_dword v[2:3], v4, off
	s_waitcnt lgkmcnt(0)
	v_cndmask_b32_e32 v2, v5, v6, vcc
	v_add_co_u32_e32 v0, vcc, s8, v0
	v_addc_co_u32_e32 v1, vcc, v9, v1, vcc
	global_store_dword v[0:1], v2, off
	s_endpgm
	.section	.rodata,"a",@progbits
	.p2align	6, 0x0
	.amdhsa_kernel _Z16warp_scan_kernelIiLj128ELj32EENSt9enable_ifIXsr10test_utilsE35device_test_enabled_for_warp_size_vIXT1_EEEvE4typeEPT_S4_S4_S3_
		.amdhsa_group_segment_fixed_size 0
		.amdhsa_private_segment_fixed_size 0
		.amdhsa_kernarg_size 288
		.amdhsa_user_sgpr_count 6
		.amdhsa_user_sgpr_private_segment_buffer 1
		.amdhsa_user_sgpr_dispatch_ptr 0
		.amdhsa_user_sgpr_queue_ptr 0
		.amdhsa_user_sgpr_kernarg_segment_ptr 1
		.amdhsa_user_sgpr_dispatch_id 0
		.amdhsa_user_sgpr_flat_scratch_init 0
		.amdhsa_user_sgpr_private_segment_size 0
		.amdhsa_uses_dynamic_stack 0
		.amdhsa_system_sgpr_private_segment_wavefront_offset 0
		.amdhsa_system_sgpr_workgroup_id_x 1
		.amdhsa_system_sgpr_workgroup_id_y 0
		.amdhsa_system_sgpr_workgroup_id_z 0
		.amdhsa_system_sgpr_workgroup_info 0
		.amdhsa_system_vgpr_workitem_id 0
		.amdhsa_next_free_vgpr 11
		.amdhsa_next_free_sgpr 10
		.amdhsa_reserve_vcc 1
		.amdhsa_reserve_flat_scratch 0
		.amdhsa_float_round_mode_32 0
		.amdhsa_float_round_mode_16_64 0
		.amdhsa_float_denorm_mode_32 3
		.amdhsa_float_denorm_mode_16_64 3
		.amdhsa_dx10_clamp 1
		.amdhsa_ieee_mode 1
		.amdhsa_fp16_overflow 0
		.amdhsa_exception_fp_ieee_invalid_op 0
		.amdhsa_exception_fp_denorm_src 0
		.amdhsa_exception_fp_ieee_div_zero 0
		.amdhsa_exception_fp_ieee_overflow 0
		.amdhsa_exception_fp_ieee_underflow 0
		.amdhsa_exception_fp_ieee_inexact 0
		.amdhsa_exception_int_div_zero 0
	.end_amdhsa_kernel
	.section	.text._Z16warp_scan_kernelIiLj128ELj32EENSt9enable_ifIXsr10test_utilsE35device_test_enabled_for_warp_size_vIXT1_EEEvE4typeEPT_S4_S4_S3_,"axG",@progbits,_Z16warp_scan_kernelIiLj128ELj32EENSt9enable_ifIXsr10test_utilsE35device_test_enabled_for_warp_size_vIXT1_EEEvE4typeEPT_S4_S4_S3_,comdat
.Lfunc_end272:
	.size	_Z16warp_scan_kernelIiLj128ELj32EENSt9enable_ifIXsr10test_utilsE35device_test_enabled_for_warp_size_vIXT1_EEEvE4typeEPT_S4_S4_S3_, .Lfunc_end272-_Z16warp_scan_kernelIiLj128ELj32EENSt9enable_ifIXsr10test_utilsE35device_test_enabled_for_warp_size_vIXT1_EEEvE4typeEPT_S4_S4_S3_
                                        ; -- End function
	.set _Z16warp_scan_kernelIiLj128ELj32EENSt9enable_ifIXsr10test_utilsE35device_test_enabled_for_warp_size_vIXT1_EEEvE4typeEPT_S4_S4_S3_.num_vgpr, 11
	.set _Z16warp_scan_kernelIiLj128ELj32EENSt9enable_ifIXsr10test_utilsE35device_test_enabled_for_warp_size_vIXT1_EEEvE4typeEPT_S4_S4_S3_.num_agpr, 0
	.set _Z16warp_scan_kernelIiLj128ELj32EENSt9enable_ifIXsr10test_utilsE35device_test_enabled_for_warp_size_vIXT1_EEEvE4typeEPT_S4_S4_S3_.numbered_sgpr, 10
	.set _Z16warp_scan_kernelIiLj128ELj32EENSt9enable_ifIXsr10test_utilsE35device_test_enabled_for_warp_size_vIXT1_EEEvE4typeEPT_S4_S4_S3_.num_named_barrier, 0
	.set _Z16warp_scan_kernelIiLj128ELj32EENSt9enable_ifIXsr10test_utilsE35device_test_enabled_for_warp_size_vIXT1_EEEvE4typeEPT_S4_S4_S3_.private_seg_size, 0
	.set _Z16warp_scan_kernelIiLj128ELj32EENSt9enable_ifIXsr10test_utilsE35device_test_enabled_for_warp_size_vIXT1_EEEvE4typeEPT_S4_S4_S3_.uses_vcc, 1
	.set _Z16warp_scan_kernelIiLj128ELj32EENSt9enable_ifIXsr10test_utilsE35device_test_enabled_for_warp_size_vIXT1_EEEvE4typeEPT_S4_S4_S3_.uses_flat_scratch, 0
	.set _Z16warp_scan_kernelIiLj128ELj32EENSt9enable_ifIXsr10test_utilsE35device_test_enabled_for_warp_size_vIXT1_EEEvE4typeEPT_S4_S4_S3_.has_dyn_sized_stack, 0
	.set _Z16warp_scan_kernelIiLj128ELj32EENSt9enable_ifIXsr10test_utilsE35device_test_enabled_for_warp_size_vIXT1_EEEvE4typeEPT_S4_S4_S3_.has_recursion, 0
	.set _Z16warp_scan_kernelIiLj128ELj32EENSt9enable_ifIXsr10test_utilsE35device_test_enabled_for_warp_size_vIXT1_EEEvE4typeEPT_S4_S4_S3_.has_indirect_call, 0
	.section	.AMDGPU.csdata,"",@progbits
; Kernel info:
; codeLenInByte = 332
; TotalNumSgprs: 14
; NumVgprs: 11
; ScratchSize: 0
; MemoryBound: 0
; FloatMode: 240
; IeeeMode: 1
; LDSByteSize: 0 bytes/workgroup (compile time only)
; SGPRBlocks: 1
; VGPRBlocks: 2
; NumSGPRsForWavesPerEU: 14
; NumVGPRsForWavesPerEU: 11
; Occupancy: 10
; WaveLimiterHint : 0
; COMPUTE_PGM_RSRC2:SCRATCH_EN: 0
; COMPUTE_PGM_RSRC2:USER_SGPR: 6
; COMPUTE_PGM_RSRC2:TRAP_HANDLER: 0
; COMPUTE_PGM_RSRC2:TGID_X_EN: 1
; COMPUTE_PGM_RSRC2:TGID_Y_EN: 0
; COMPUTE_PGM_RSRC2:TGID_Z_EN: 0
; COMPUTE_PGM_RSRC2:TIDIG_COMP_CNT: 0
	.section	.text._Z16warp_scan_kernelIiLj64ELj16EENSt9enable_ifIXsr10test_utilsE35device_test_enabled_for_warp_size_vIXT1_EEEvE4typeEPT_S4_S4_S3_,"axG",@progbits,_Z16warp_scan_kernelIiLj64ELj16EENSt9enable_ifIXsr10test_utilsE35device_test_enabled_for_warp_size_vIXT1_EEEvE4typeEPT_S4_S4_S3_,comdat
	.protected	_Z16warp_scan_kernelIiLj64ELj16EENSt9enable_ifIXsr10test_utilsE35device_test_enabled_for_warp_size_vIXT1_EEEvE4typeEPT_S4_S4_S3_ ; -- Begin function _Z16warp_scan_kernelIiLj64ELj16EENSt9enable_ifIXsr10test_utilsE35device_test_enabled_for_warp_size_vIXT1_EEEvE4typeEPT_S4_S4_S3_
	.globl	_Z16warp_scan_kernelIiLj64ELj16EENSt9enable_ifIXsr10test_utilsE35device_test_enabled_for_warp_size_vIXT1_EEEvE4typeEPT_S4_S4_S3_
	.p2align	8
	.type	_Z16warp_scan_kernelIiLj64ELj16EENSt9enable_ifIXsr10test_utilsE35device_test_enabled_for_warp_size_vIXT1_EEEvE4typeEPT_S4_S4_S3_,@function
_Z16warp_scan_kernelIiLj64ELj16EENSt9enable_ifIXsr10test_utilsE35device_test_enabled_for_warp_size_vIXT1_EEEvE4typeEPT_S4_S4_S3_: ; @_Z16warp_scan_kernelIiLj64ELj16EENSt9enable_ifIXsr10test_utilsE35device_test_enabled_for_warp_size_vIXT1_EEEvE4typeEPT_S4_S4_S3_
; %bb.0:
	s_load_dword s7, s[4:5], 0x2c
	s_load_dwordx4 s[0:3], s[4:5], 0x0
	s_load_dwordx2 s[8:9], s[4:5], 0x10
	v_mov_b32_e32 v1, 0
	s_load_dword s4, s[4:5], 0x18
	s_waitcnt lgkmcnt(0)
	s_and_b32 s7, s7, 0xffff
	s_mul_i32 s6, s6, s7
	v_add_u32_e32 v0, s6, v0
	v_lshlrev_b64 v[0:1], 2, v[0:1]
	v_mov_b32_e32 v3, s1
	v_add_co_u32_e32 v2, vcc, s0, v0
	v_addc_co_u32_e32 v3, vcc, v3, v1, vcc
	global_load_dword v2, v[2:3], off
	v_mbcnt_lo_u32_b32 v3, -1, 0
	v_mbcnt_hi_u32_b32 v3, -1, v3
	v_add_u32_e32 v5, -1, v3
	v_and_b32_e32 v6, 0x70, v3
	v_and_b32_e32 v4, 15, v3
	v_cmp_lt_i32_e32 vcc, v5, v6
	v_cndmask_b32_e32 v3, v5, v3, vcc
	v_cmp_eq_u32_e32 vcc, 0, v4
	v_cmp_lt_u32_e64 s[0:1], 1, v4
	v_lshlrev_b32_e32 v3, 2, v3
	v_mov_b32_e32 v6, s3
	v_mov_b32_e32 v5, s4
	;; [unrolled: 1-line block ×3, first 2 shown]
	s_waitcnt vmcnt(0)
	v_mov_b32_dpp v8, v2 row_shr:1 row_mask:0xf bank_mask:0xf
	v_cndmask_b32_e64 v8, v8, 0, vcc
	v_add_u32_e32 v2, v8, v2
	s_nop 1
	v_mov_b32_dpp v8, v2 row_shr:2 row_mask:0xf bank_mask:0xf
	v_cndmask_b32_e64 v8, 0, v8, s[0:1]
	v_add_u32_e32 v2, v2, v8
	v_cmp_lt_u32_e64 s[0:1], 3, v4
	s_nop 0
	v_mov_b32_dpp v8, v2 row_shr:4 row_mask:0xf bank_mask:0xf
	v_cndmask_b32_e64 v8, 0, v8, s[0:1]
	v_add_u32_e32 v2, v2, v8
	v_cmp_lt_u32_e64 s[0:1], 7, v4
	s_nop 0
	v_mov_b32_dpp v8, v2 row_shr:8 row_mask:0xf bank_mask:0xf
	v_cndmask_b32_e64 v4, 0, v8, s[0:1]
	v_add3_u32 v4, v4, s4, v2
	ds_bpermute_b32 v8, v3, v4
	v_add_co_u32_e64 v2, s[0:1], s2, v0
	v_addc_co_u32_e64 v3, s[0:1], v6, v1, s[0:1]
	global_store_dword v[2:3], v4, off
	s_waitcnt lgkmcnt(0)
	v_cndmask_b32_e32 v2, v8, v5, vcc
	v_add_co_u32_e32 v0, vcc, s8, v0
	v_addc_co_u32_e32 v1, vcc, v7, v1, vcc
	global_store_dword v[0:1], v2, off
	s_endpgm
	.section	.rodata,"a",@progbits
	.p2align	6, 0x0
	.amdhsa_kernel _Z16warp_scan_kernelIiLj64ELj16EENSt9enable_ifIXsr10test_utilsE35device_test_enabled_for_warp_size_vIXT1_EEEvE4typeEPT_S4_S4_S3_
		.amdhsa_group_segment_fixed_size 0
		.amdhsa_private_segment_fixed_size 0
		.amdhsa_kernarg_size 288
		.amdhsa_user_sgpr_count 6
		.amdhsa_user_sgpr_private_segment_buffer 1
		.amdhsa_user_sgpr_dispatch_ptr 0
		.amdhsa_user_sgpr_queue_ptr 0
		.amdhsa_user_sgpr_kernarg_segment_ptr 1
		.amdhsa_user_sgpr_dispatch_id 0
		.amdhsa_user_sgpr_flat_scratch_init 0
		.amdhsa_user_sgpr_private_segment_size 0
		.amdhsa_uses_dynamic_stack 0
		.amdhsa_system_sgpr_private_segment_wavefront_offset 0
		.amdhsa_system_sgpr_workgroup_id_x 1
		.amdhsa_system_sgpr_workgroup_id_y 0
		.amdhsa_system_sgpr_workgroup_id_z 0
		.amdhsa_system_sgpr_workgroup_info 0
		.amdhsa_system_vgpr_workitem_id 0
		.amdhsa_next_free_vgpr 9
		.amdhsa_next_free_sgpr 10
		.amdhsa_reserve_vcc 1
		.amdhsa_reserve_flat_scratch 0
		.amdhsa_float_round_mode_32 0
		.amdhsa_float_round_mode_16_64 0
		.amdhsa_float_denorm_mode_32 3
		.amdhsa_float_denorm_mode_16_64 3
		.amdhsa_dx10_clamp 1
		.amdhsa_ieee_mode 1
		.amdhsa_fp16_overflow 0
		.amdhsa_exception_fp_ieee_invalid_op 0
		.amdhsa_exception_fp_denorm_src 0
		.amdhsa_exception_fp_ieee_div_zero 0
		.amdhsa_exception_fp_ieee_overflow 0
		.amdhsa_exception_fp_ieee_underflow 0
		.amdhsa_exception_fp_ieee_inexact 0
		.amdhsa_exception_int_div_zero 0
	.end_amdhsa_kernel
	.section	.text._Z16warp_scan_kernelIiLj64ELj16EENSt9enable_ifIXsr10test_utilsE35device_test_enabled_for_warp_size_vIXT1_EEEvE4typeEPT_S4_S4_S3_,"axG",@progbits,_Z16warp_scan_kernelIiLj64ELj16EENSt9enable_ifIXsr10test_utilsE35device_test_enabled_for_warp_size_vIXT1_EEEvE4typeEPT_S4_S4_S3_,comdat
.Lfunc_end273:
	.size	_Z16warp_scan_kernelIiLj64ELj16EENSt9enable_ifIXsr10test_utilsE35device_test_enabled_for_warp_size_vIXT1_EEEvE4typeEPT_S4_S4_S3_, .Lfunc_end273-_Z16warp_scan_kernelIiLj64ELj16EENSt9enable_ifIXsr10test_utilsE35device_test_enabled_for_warp_size_vIXT1_EEEvE4typeEPT_S4_S4_S3_
                                        ; -- End function
	.set _Z16warp_scan_kernelIiLj64ELj16EENSt9enable_ifIXsr10test_utilsE35device_test_enabled_for_warp_size_vIXT1_EEEvE4typeEPT_S4_S4_S3_.num_vgpr, 9
	.set _Z16warp_scan_kernelIiLj64ELj16EENSt9enable_ifIXsr10test_utilsE35device_test_enabled_for_warp_size_vIXT1_EEEvE4typeEPT_S4_S4_S3_.num_agpr, 0
	.set _Z16warp_scan_kernelIiLj64ELj16EENSt9enable_ifIXsr10test_utilsE35device_test_enabled_for_warp_size_vIXT1_EEEvE4typeEPT_S4_S4_S3_.numbered_sgpr, 10
	.set _Z16warp_scan_kernelIiLj64ELj16EENSt9enable_ifIXsr10test_utilsE35device_test_enabled_for_warp_size_vIXT1_EEEvE4typeEPT_S4_S4_S3_.num_named_barrier, 0
	.set _Z16warp_scan_kernelIiLj64ELj16EENSt9enable_ifIXsr10test_utilsE35device_test_enabled_for_warp_size_vIXT1_EEEvE4typeEPT_S4_S4_S3_.private_seg_size, 0
	.set _Z16warp_scan_kernelIiLj64ELj16EENSt9enable_ifIXsr10test_utilsE35device_test_enabled_for_warp_size_vIXT1_EEEvE4typeEPT_S4_S4_S3_.uses_vcc, 1
	.set _Z16warp_scan_kernelIiLj64ELj16EENSt9enable_ifIXsr10test_utilsE35device_test_enabled_for_warp_size_vIXT1_EEEvE4typeEPT_S4_S4_S3_.uses_flat_scratch, 0
	.set _Z16warp_scan_kernelIiLj64ELj16EENSt9enable_ifIXsr10test_utilsE35device_test_enabled_for_warp_size_vIXT1_EEEvE4typeEPT_S4_S4_S3_.has_dyn_sized_stack, 0
	.set _Z16warp_scan_kernelIiLj64ELj16EENSt9enable_ifIXsr10test_utilsE35device_test_enabled_for_warp_size_vIXT1_EEEvE4typeEPT_S4_S4_S3_.has_recursion, 0
	.set _Z16warp_scan_kernelIiLj64ELj16EENSt9enable_ifIXsr10test_utilsE35device_test_enabled_for_warp_size_vIXT1_EEEvE4typeEPT_S4_S4_S3_.has_indirect_call, 0
	.section	.AMDGPU.csdata,"",@progbits
; Kernel info:
; codeLenInByte = 328
; TotalNumSgprs: 14
; NumVgprs: 9
; ScratchSize: 0
; MemoryBound: 0
; FloatMode: 240
; IeeeMode: 1
; LDSByteSize: 0 bytes/workgroup (compile time only)
; SGPRBlocks: 1
; VGPRBlocks: 2
; NumSGPRsForWavesPerEU: 14
; NumVGPRsForWavesPerEU: 9
; Occupancy: 10
; WaveLimiterHint : 0
; COMPUTE_PGM_RSRC2:SCRATCH_EN: 0
; COMPUTE_PGM_RSRC2:USER_SGPR: 6
; COMPUTE_PGM_RSRC2:TRAP_HANDLER: 0
; COMPUTE_PGM_RSRC2:TGID_X_EN: 1
; COMPUTE_PGM_RSRC2:TGID_Y_EN: 0
; COMPUTE_PGM_RSRC2:TGID_Z_EN: 0
; COMPUTE_PGM_RSRC2:TIDIG_COMP_CNT: 0
	.section	.text._Z16warp_scan_kernelIiLj32ELj8EENSt9enable_ifIXsr10test_utilsE35device_test_enabled_for_warp_size_vIXT1_EEEvE4typeEPT_S4_S4_S3_,"axG",@progbits,_Z16warp_scan_kernelIiLj32ELj8EENSt9enable_ifIXsr10test_utilsE35device_test_enabled_for_warp_size_vIXT1_EEEvE4typeEPT_S4_S4_S3_,comdat
	.protected	_Z16warp_scan_kernelIiLj32ELj8EENSt9enable_ifIXsr10test_utilsE35device_test_enabled_for_warp_size_vIXT1_EEEvE4typeEPT_S4_S4_S3_ ; -- Begin function _Z16warp_scan_kernelIiLj32ELj8EENSt9enable_ifIXsr10test_utilsE35device_test_enabled_for_warp_size_vIXT1_EEEvE4typeEPT_S4_S4_S3_
	.globl	_Z16warp_scan_kernelIiLj32ELj8EENSt9enable_ifIXsr10test_utilsE35device_test_enabled_for_warp_size_vIXT1_EEEvE4typeEPT_S4_S4_S3_
	.p2align	8
	.type	_Z16warp_scan_kernelIiLj32ELj8EENSt9enable_ifIXsr10test_utilsE35device_test_enabled_for_warp_size_vIXT1_EEEvE4typeEPT_S4_S4_S3_,@function
_Z16warp_scan_kernelIiLj32ELj8EENSt9enable_ifIXsr10test_utilsE35device_test_enabled_for_warp_size_vIXT1_EEEvE4typeEPT_S4_S4_S3_: ; @_Z16warp_scan_kernelIiLj32ELj8EENSt9enable_ifIXsr10test_utilsE35device_test_enabled_for_warp_size_vIXT1_EEEvE4typeEPT_S4_S4_S3_
; %bb.0:
	s_load_dword s7, s[4:5], 0x2c
	s_load_dwordx4 s[0:3], s[4:5], 0x0
	s_load_dwordx2 s[8:9], s[4:5], 0x10
	v_mov_b32_e32 v1, 0
	s_load_dword s4, s[4:5], 0x18
	s_waitcnt lgkmcnt(0)
	s_and_b32 s7, s7, 0xffff
	s_mul_i32 s6, s6, s7
	v_add_u32_e32 v0, s6, v0
	v_lshlrev_b64 v[0:1], 2, v[0:1]
	v_mov_b32_e32 v3, s1
	v_add_co_u32_e32 v2, vcc, s0, v0
	v_addc_co_u32_e32 v3, vcc, v3, v1, vcc
	global_load_dword v2, v[2:3], off
	v_mbcnt_lo_u32_b32 v3, -1, 0
	v_mbcnt_hi_u32_b32 v3, -1, v3
	v_add_u32_e32 v5, -1, v3
	v_and_b32_e32 v6, 0x78, v3
	v_and_b32_e32 v4, 7, v3
	v_cmp_lt_i32_e32 vcc, v5, v6
	v_cndmask_b32_e32 v3, v5, v3, vcc
	v_cmp_eq_u32_e32 vcc, 0, v4
	v_cmp_lt_u32_e64 s[0:1], 1, v4
	v_lshlrev_b32_e32 v3, 2, v3
	v_mov_b32_e32 v6, s3
	v_mov_b32_e32 v5, s4
	;; [unrolled: 1-line block ×3, first 2 shown]
	s_waitcnt vmcnt(0)
	v_mov_b32_dpp v8, v2 row_shr:1 row_mask:0xf bank_mask:0xf
	v_cndmask_b32_e64 v8, v8, 0, vcc
	v_add_u32_e32 v2, v8, v2
	s_nop 1
	v_mov_b32_dpp v8, v2 row_shr:2 row_mask:0xf bank_mask:0xf
	v_cndmask_b32_e64 v8, 0, v8, s[0:1]
	v_add_u32_e32 v2, v2, v8
	v_cmp_lt_u32_e64 s[0:1], 3, v4
	s_nop 0
	v_mov_b32_dpp v8, v2 row_shr:4 row_mask:0xf bank_mask:0xf
	v_cndmask_b32_e64 v4, 0, v8, s[0:1]
	v_add3_u32 v4, v4, s4, v2
	ds_bpermute_b32 v8, v3, v4
	v_add_co_u32_e64 v2, s[0:1], s2, v0
	v_addc_co_u32_e64 v3, s[0:1], v6, v1, s[0:1]
	global_store_dword v[2:3], v4, off
	s_waitcnt lgkmcnt(0)
	v_cndmask_b32_e32 v2, v8, v5, vcc
	v_add_co_u32_e32 v0, vcc, s8, v0
	v_addc_co_u32_e32 v1, vcc, v7, v1, vcc
	global_store_dword v[0:1], v2, off
	s_endpgm
	.section	.rodata,"a",@progbits
	.p2align	6, 0x0
	.amdhsa_kernel _Z16warp_scan_kernelIiLj32ELj8EENSt9enable_ifIXsr10test_utilsE35device_test_enabled_for_warp_size_vIXT1_EEEvE4typeEPT_S4_S4_S3_
		.amdhsa_group_segment_fixed_size 0
		.amdhsa_private_segment_fixed_size 0
		.amdhsa_kernarg_size 288
		.amdhsa_user_sgpr_count 6
		.amdhsa_user_sgpr_private_segment_buffer 1
		.amdhsa_user_sgpr_dispatch_ptr 0
		.amdhsa_user_sgpr_queue_ptr 0
		.amdhsa_user_sgpr_kernarg_segment_ptr 1
		.amdhsa_user_sgpr_dispatch_id 0
		.amdhsa_user_sgpr_flat_scratch_init 0
		.amdhsa_user_sgpr_private_segment_size 0
		.amdhsa_uses_dynamic_stack 0
		.amdhsa_system_sgpr_private_segment_wavefront_offset 0
		.amdhsa_system_sgpr_workgroup_id_x 1
		.amdhsa_system_sgpr_workgroup_id_y 0
		.amdhsa_system_sgpr_workgroup_id_z 0
		.amdhsa_system_sgpr_workgroup_info 0
		.amdhsa_system_vgpr_workitem_id 0
		.amdhsa_next_free_vgpr 9
		.amdhsa_next_free_sgpr 10
		.amdhsa_reserve_vcc 1
		.amdhsa_reserve_flat_scratch 0
		.amdhsa_float_round_mode_32 0
		.amdhsa_float_round_mode_16_64 0
		.amdhsa_float_denorm_mode_32 3
		.amdhsa_float_denorm_mode_16_64 3
		.amdhsa_dx10_clamp 1
		.amdhsa_ieee_mode 1
		.amdhsa_fp16_overflow 0
		.amdhsa_exception_fp_ieee_invalid_op 0
		.amdhsa_exception_fp_denorm_src 0
		.amdhsa_exception_fp_ieee_div_zero 0
		.amdhsa_exception_fp_ieee_overflow 0
		.amdhsa_exception_fp_ieee_underflow 0
		.amdhsa_exception_fp_ieee_inexact 0
		.amdhsa_exception_int_div_zero 0
	.end_amdhsa_kernel
	.section	.text._Z16warp_scan_kernelIiLj32ELj8EENSt9enable_ifIXsr10test_utilsE35device_test_enabled_for_warp_size_vIXT1_EEEvE4typeEPT_S4_S4_S3_,"axG",@progbits,_Z16warp_scan_kernelIiLj32ELj8EENSt9enable_ifIXsr10test_utilsE35device_test_enabled_for_warp_size_vIXT1_EEEvE4typeEPT_S4_S4_S3_,comdat
.Lfunc_end274:
	.size	_Z16warp_scan_kernelIiLj32ELj8EENSt9enable_ifIXsr10test_utilsE35device_test_enabled_for_warp_size_vIXT1_EEEvE4typeEPT_S4_S4_S3_, .Lfunc_end274-_Z16warp_scan_kernelIiLj32ELj8EENSt9enable_ifIXsr10test_utilsE35device_test_enabled_for_warp_size_vIXT1_EEEvE4typeEPT_S4_S4_S3_
                                        ; -- End function
	.set _Z16warp_scan_kernelIiLj32ELj8EENSt9enable_ifIXsr10test_utilsE35device_test_enabled_for_warp_size_vIXT1_EEEvE4typeEPT_S4_S4_S3_.num_vgpr, 9
	.set _Z16warp_scan_kernelIiLj32ELj8EENSt9enable_ifIXsr10test_utilsE35device_test_enabled_for_warp_size_vIXT1_EEEvE4typeEPT_S4_S4_S3_.num_agpr, 0
	.set _Z16warp_scan_kernelIiLj32ELj8EENSt9enable_ifIXsr10test_utilsE35device_test_enabled_for_warp_size_vIXT1_EEEvE4typeEPT_S4_S4_S3_.numbered_sgpr, 10
	.set _Z16warp_scan_kernelIiLj32ELj8EENSt9enable_ifIXsr10test_utilsE35device_test_enabled_for_warp_size_vIXT1_EEEvE4typeEPT_S4_S4_S3_.num_named_barrier, 0
	.set _Z16warp_scan_kernelIiLj32ELj8EENSt9enable_ifIXsr10test_utilsE35device_test_enabled_for_warp_size_vIXT1_EEEvE4typeEPT_S4_S4_S3_.private_seg_size, 0
	.set _Z16warp_scan_kernelIiLj32ELj8EENSt9enable_ifIXsr10test_utilsE35device_test_enabled_for_warp_size_vIXT1_EEEvE4typeEPT_S4_S4_S3_.uses_vcc, 1
	.set _Z16warp_scan_kernelIiLj32ELj8EENSt9enable_ifIXsr10test_utilsE35device_test_enabled_for_warp_size_vIXT1_EEEvE4typeEPT_S4_S4_S3_.uses_flat_scratch, 0
	.set _Z16warp_scan_kernelIiLj32ELj8EENSt9enable_ifIXsr10test_utilsE35device_test_enabled_for_warp_size_vIXT1_EEEvE4typeEPT_S4_S4_S3_.has_dyn_sized_stack, 0
	.set _Z16warp_scan_kernelIiLj32ELj8EENSt9enable_ifIXsr10test_utilsE35device_test_enabled_for_warp_size_vIXT1_EEEvE4typeEPT_S4_S4_S3_.has_recursion, 0
	.set _Z16warp_scan_kernelIiLj32ELj8EENSt9enable_ifIXsr10test_utilsE35device_test_enabled_for_warp_size_vIXT1_EEEvE4typeEPT_S4_S4_S3_.has_indirect_call, 0
	.section	.AMDGPU.csdata,"",@progbits
; Kernel info:
; codeLenInByte = 296
; TotalNumSgprs: 14
; NumVgprs: 9
; ScratchSize: 0
; MemoryBound: 0
; FloatMode: 240
; IeeeMode: 1
; LDSByteSize: 0 bytes/workgroup (compile time only)
; SGPRBlocks: 1
; VGPRBlocks: 2
; NumSGPRsForWavesPerEU: 14
; NumVGPRsForWavesPerEU: 9
; Occupancy: 10
; WaveLimiterHint : 0
; COMPUTE_PGM_RSRC2:SCRATCH_EN: 0
; COMPUTE_PGM_RSRC2:USER_SGPR: 6
; COMPUTE_PGM_RSRC2:TRAP_HANDLER: 0
; COMPUTE_PGM_RSRC2:TGID_X_EN: 1
; COMPUTE_PGM_RSRC2:TGID_Y_EN: 0
; COMPUTE_PGM_RSRC2:TGID_Z_EN: 0
; COMPUTE_PGM_RSRC2:TIDIG_COMP_CNT: 0
	.section	.text._Z16warp_scan_kernelIiLj64ELj8EENSt9enable_ifIXsr10test_utilsE35device_test_enabled_for_warp_size_vIXT1_EEEvE4typeEPT_S4_S4_S3_,"axG",@progbits,_Z16warp_scan_kernelIiLj64ELj8EENSt9enable_ifIXsr10test_utilsE35device_test_enabled_for_warp_size_vIXT1_EEEvE4typeEPT_S4_S4_S3_,comdat
	.protected	_Z16warp_scan_kernelIiLj64ELj8EENSt9enable_ifIXsr10test_utilsE35device_test_enabled_for_warp_size_vIXT1_EEEvE4typeEPT_S4_S4_S3_ ; -- Begin function _Z16warp_scan_kernelIiLj64ELj8EENSt9enable_ifIXsr10test_utilsE35device_test_enabled_for_warp_size_vIXT1_EEEvE4typeEPT_S4_S4_S3_
	.globl	_Z16warp_scan_kernelIiLj64ELj8EENSt9enable_ifIXsr10test_utilsE35device_test_enabled_for_warp_size_vIXT1_EEEvE4typeEPT_S4_S4_S3_
	.p2align	8
	.type	_Z16warp_scan_kernelIiLj64ELj8EENSt9enable_ifIXsr10test_utilsE35device_test_enabled_for_warp_size_vIXT1_EEEvE4typeEPT_S4_S4_S3_,@function
_Z16warp_scan_kernelIiLj64ELj8EENSt9enable_ifIXsr10test_utilsE35device_test_enabled_for_warp_size_vIXT1_EEEvE4typeEPT_S4_S4_S3_: ; @_Z16warp_scan_kernelIiLj64ELj8EENSt9enable_ifIXsr10test_utilsE35device_test_enabled_for_warp_size_vIXT1_EEEvE4typeEPT_S4_S4_S3_
; %bb.0:
	s_load_dword s7, s[4:5], 0x2c
	s_load_dwordx4 s[0:3], s[4:5], 0x0
	s_load_dwordx2 s[8:9], s[4:5], 0x10
	v_mov_b32_e32 v1, 0
	s_load_dword s4, s[4:5], 0x18
	s_waitcnt lgkmcnt(0)
	s_and_b32 s7, s7, 0xffff
	s_mul_i32 s6, s6, s7
	v_add_u32_e32 v0, s6, v0
	v_lshlrev_b64 v[0:1], 2, v[0:1]
	v_mov_b32_e32 v3, s1
	v_add_co_u32_e32 v2, vcc, s0, v0
	v_addc_co_u32_e32 v3, vcc, v3, v1, vcc
	global_load_dword v2, v[2:3], off
	v_mbcnt_lo_u32_b32 v3, -1, 0
	v_mbcnt_hi_u32_b32 v3, -1, v3
	v_add_u32_e32 v5, -1, v3
	v_and_b32_e32 v6, 0x78, v3
	v_and_b32_e32 v4, 7, v3
	v_cmp_lt_i32_e32 vcc, v5, v6
	v_cndmask_b32_e32 v3, v5, v3, vcc
	v_cmp_eq_u32_e32 vcc, 0, v4
	v_cmp_lt_u32_e64 s[0:1], 1, v4
	v_lshlrev_b32_e32 v3, 2, v3
	v_mov_b32_e32 v6, s3
	v_mov_b32_e32 v5, s4
	;; [unrolled: 1-line block ×3, first 2 shown]
	s_waitcnt vmcnt(0)
	v_mov_b32_dpp v8, v2 row_shr:1 row_mask:0xf bank_mask:0xf
	v_cndmask_b32_e64 v8, v8, 0, vcc
	v_add_u32_e32 v2, v8, v2
	s_nop 1
	v_mov_b32_dpp v8, v2 row_shr:2 row_mask:0xf bank_mask:0xf
	v_cndmask_b32_e64 v8, 0, v8, s[0:1]
	v_add_u32_e32 v2, v2, v8
	v_cmp_lt_u32_e64 s[0:1], 3, v4
	s_nop 0
	v_mov_b32_dpp v8, v2 row_shr:4 row_mask:0xf bank_mask:0xf
	v_cndmask_b32_e64 v4, 0, v8, s[0:1]
	v_add3_u32 v4, v4, s4, v2
	ds_bpermute_b32 v8, v3, v4
	v_add_co_u32_e64 v2, s[0:1], s2, v0
	v_addc_co_u32_e64 v3, s[0:1], v6, v1, s[0:1]
	global_store_dword v[2:3], v4, off
	s_waitcnt lgkmcnt(0)
	v_cndmask_b32_e32 v2, v8, v5, vcc
	v_add_co_u32_e32 v0, vcc, s8, v0
	v_addc_co_u32_e32 v1, vcc, v7, v1, vcc
	global_store_dword v[0:1], v2, off
	s_endpgm
	.section	.rodata,"a",@progbits
	.p2align	6, 0x0
	.amdhsa_kernel _Z16warp_scan_kernelIiLj64ELj8EENSt9enable_ifIXsr10test_utilsE35device_test_enabled_for_warp_size_vIXT1_EEEvE4typeEPT_S4_S4_S3_
		.amdhsa_group_segment_fixed_size 0
		.amdhsa_private_segment_fixed_size 0
		.amdhsa_kernarg_size 288
		.amdhsa_user_sgpr_count 6
		.amdhsa_user_sgpr_private_segment_buffer 1
		.amdhsa_user_sgpr_dispatch_ptr 0
		.amdhsa_user_sgpr_queue_ptr 0
		.amdhsa_user_sgpr_kernarg_segment_ptr 1
		.amdhsa_user_sgpr_dispatch_id 0
		.amdhsa_user_sgpr_flat_scratch_init 0
		.amdhsa_user_sgpr_private_segment_size 0
		.amdhsa_uses_dynamic_stack 0
		.amdhsa_system_sgpr_private_segment_wavefront_offset 0
		.amdhsa_system_sgpr_workgroup_id_x 1
		.amdhsa_system_sgpr_workgroup_id_y 0
		.amdhsa_system_sgpr_workgroup_id_z 0
		.amdhsa_system_sgpr_workgroup_info 0
		.amdhsa_system_vgpr_workitem_id 0
		.amdhsa_next_free_vgpr 9
		.amdhsa_next_free_sgpr 10
		.amdhsa_reserve_vcc 1
		.amdhsa_reserve_flat_scratch 0
		.amdhsa_float_round_mode_32 0
		.amdhsa_float_round_mode_16_64 0
		.amdhsa_float_denorm_mode_32 3
		.amdhsa_float_denorm_mode_16_64 3
		.amdhsa_dx10_clamp 1
		.amdhsa_ieee_mode 1
		.amdhsa_fp16_overflow 0
		.amdhsa_exception_fp_ieee_invalid_op 0
		.amdhsa_exception_fp_denorm_src 0
		.amdhsa_exception_fp_ieee_div_zero 0
		.amdhsa_exception_fp_ieee_overflow 0
		.amdhsa_exception_fp_ieee_underflow 0
		.amdhsa_exception_fp_ieee_inexact 0
		.amdhsa_exception_int_div_zero 0
	.end_amdhsa_kernel
	.section	.text._Z16warp_scan_kernelIiLj64ELj8EENSt9enable_ifIXsr10test_utilsE35device_test_enabled_for_warp_size_vIXT1_EEEvE4typeEPT_S4_S4_S3_,"axG",@progbits,_Z16warp_scan_kernelIiLj64ELj8EENSt9enable_ifIXsr10test_utilsE35device_test_enabled_for_warp_size_vIXT1_EEEvE4typeEPT_S4_S4_S3_,comdat
.Lfunc_end275:
	.size	_Z16warp_scan_kernelIiLj64ELj8EENSt9enable_ifIXsr10test_utilsE35device_test_enabled_for_warp_size_vIXT1_EEEvE4typeEPT_S4_S4_S3_, .Lfunc_end275-_Z16warp_scan_kernelIiLj64ELj8EENSt9enable_ifIXsr10test_utilsE35device_test_enabled_for_warp_size_vIXT1_EEEvE4typeEPT_S4_S4_S3_
                                        ; -- End function
	.set _Z16warp_scan_kernelIiLj64ELj8EENSt9enable_ifIXsr10test_utilsE35device_test_enabled_for_warp_size_vIXT1_EEEvE4typeEPT_S4_S4_S3_.num_vgpr, 9
	.set _Z16warp_scan_kernelIiLj64ELj8EENSt9enable_ifIXsr10test_utilsE35device_test_enabled_for_warp_size_vIXT1_EEEvE4typeEPT_S4_S4_S3_.num_agpr, 0
	.set _Z16warp_scan_kernelIiLj64ELj8EENSt9enable_ifIXsr10test_utilsE35device_test_enabled_for_warp_size_vIXT1_EEEvE4typeEPT_S4_S4_S3_.numbered_sgpr, 10
	.set _Z16warp_scan_kernelIiLj64ELj8EENSt9enable_ifIXsr10test_utilsE35device_test_enabled_for_warp_size_vIXT1_EEEvE4typeEPT_S4_S4_S3_.num_named_barrier, 0
	.set _Z16warp_scan_kernelIiLj64ELj8EENSt9enable_ifIXsr10test_utilsE35device_test_enabled_for_warp_size_vIXT1_EEEvE4typeEPT_S4_S4_S3_.private_seg_size, 0
	.set _Z16warp_scan_kernelIiLj64ELj8EENSt9enable_ifIXsr10test_utilsE35device_test_enabled_for_warp_size_vIXT1_EEEvE4typeEPT_S4_S4_S3_.uses_vcc, 1
	.set _Z16warp_scan_kernelIiLj64ELj8EENSt9enable_ifIXsr10test_utilsE35device_test_enabled_for_warp_size_vIXT1_EEEvE4typeEPT_S4_S4_S3_.uses_flat_scratch, 0
	.set _Z16warp_scan_kernelIiLj64ELj8EENSt9enable_ifIXsr10test_utilsE35device_test_enabled_for_warp_size_vIXT1_EEEvE4typeEPT_S4_S4_S3_.has_dyn_sized_stack, 0
	.set _Z16warp_scan_kernelIiLj64ELj8EENSt9enable_ifIXsr10test_utilsE35device_test_enabled_for_warp_size_vIXT1_EEEvE4typeEPT_S4_S4_S3_.has_recursion, 0
	.set _Z16warp_scan_kernelIiLj64ELj8EENSt9enable_ifIXsr10test_utilsE35device_test_enabled_for_warp_size_vIXT1_EEEvE4typeEPT_S4_S4_S3_.has_indirect_call, 0
	.section	.AMDGPU.csdata,"",@progbits
; Kernel info:
; codeLenInByte = 296
; TotalNumSgprs: 14
; NumVgprs: 9
; ScratchSize: 0
; MemoryBound: 0
; FloatMode: 240
; IeeeMode: 1
; LDSByteSize: 0 bytes/workgroup (compile time only)
; SGPRBlocks: 1
; VGPRBlocks: 2
; NumSGPRsForWavesPerEU: 14
; NumVGPRsForWavesPerEU: 9
; Occupancy: 10
; WaveLimiterHint : 0
; COMPUTE_PGM_RSRC2:SCRATCH_EN: 0
; COMPUTE_PGM_RSRC2:USER_SGPR: 6
; COMPUTE_PGM_RSRC2:TRAP_HANDLER: 0
; COMPUTE_PGM_RSRC2:TGID_X_EN: 1
; COMPUTE_PGM_RSRC2:TGID_Y_EN: 0
; COMPUTE_PGM_RSRC2:TGID_Z_EN: 0
; COMPUTE_PGM_RSRC2:TIDIG_COMP_CNT: 0
	.section	.text._Z16warp_scan_kernelIiLj32ELj4EENSt9enable_ifIXsr10test_utilsE35device_test_enabled_for_warp_size_vIXT1_EEEvE4typeEPT_S4_S4_S3_,"axG",@progbits,_Z16warp_scan_kernelIiLj32ELj4EENSt9enable_ifIXsr10test_utilsE35device_test_enabled_for_warp_size_vIXT1_EEEvE4typeEPT_S4_S4_S3_,comdat
	.protected	_Z16warp_scan_kernelIiLj32ELj4EENSt9enable_ifIXsr10test_utilsE35device_test_enabled_for_warp_size_vIXT1_EEEvE4typeEPT_S4_S4_S3_ ; -- Begin function _Z16warp_scan_kernelIiLj32ELj4EENSt9enable_ifIXsr10test_utilsE35device_test_enabled_for_warp_size_vIXT1_EEEvE4typeEPT_S4_S4_S3_
	.globl	_Z16warp_scan_kernelIiLj32ELj4EENSt9enable_ifIXsr10test_utilsE35device_test_enabled_for_warp_size_vIXT1_EEEvE4typeEPT_S4_S4_S3_
	.p2align	8
	.type	_Z16warp_scan_kernelIiLj32ELj4EENSt9enable_ifIXsr10test_utilsE35device_test_enabled_for_warp_size_vIXT1_EEEvE4typeEPT_S4_S4_S3_,@function
_Z16warp_scan_kernelIiLj32ELj4EENSt9enable_ifIXsr10test_utilsE35device_test_enabled_for_warp_size_vIXT1_EEEvE4typeEPT_S4_S4_S3_: ; @_Z16warp_scan_kernelIiLj32ELj4EENSt9enable_ifIXsr10test_utilsE35device_test_enabled_for_warp_size_vIXT1_EEEvE4typeEPT_S4_S4_S3_
; %bb.0:
	s_load_dword s7, s[4:5], 0x2c
	s_load_dwordx4 s[0:3], s[4:5], 0x0
	s_load_dwordx2 s[8:9], s[4:5], 0x10
	v_mov_b32_e32 v1, 0
	s_load_dword s4, s[4:5], 0x18
	s_waitcnt lgkmcnt(0)
	s_and_b32 s7, s7, 0xffff
	s_mul_i32 s6, s6, s7
	v_add_u32_e32 v0, s6, v0
	v_lshlrev_b64 v[0:1], 2, v[0:1]
	v_mov_b32_e32 v3, s1
	v_add_co_u32_e32 v2, vcc, s0, v0
	v_addc_co_u32_e32 v3, vcc, v3, v1, vcc
	global_load_dword v2, v[2:3], off
	v_mbcnt_lo_u32_b32 v3, -1, 0
	v_mbcnt_hi_u32_b32 v3, -1, v3
	v_add_u32_e32 v5, -1, v3
	v_and_b32_e32 v6, 0x7c, v3
	v_and_b32_e32 v4, 3, v3
	v_cmp_lt_i32_e32 vcc, v5, v6
	v_cndmask_b32_e32 v3, v5, v3, vcc
	v_cmp_eq_u32_e32 vcc, 0, v4
	v_cmp_lt_u32_e64 s[0:1], 1, v4
	v_lshlrev_b32_e32 v3, 2, v3
	v_mov_b32_e32 v6, s3
	v_mov_b32_e32 v5, s4
	;; [unrolled: 1-line block ×3, first 2 shown]
	s_waitcnt vmcnt(0)
	v_mov_b32_dpp v8, v2 row_shr:1 row_mask:0xf bank_mask:0xf
	v_cndmask_b32_e64 v8, v8, 0, vcc
	v_add_u32_e32 v2, v8, v2
	s_nop 1
	v_mov_b32_dpp v8, v2 row_shr:2 row_mask:0xf bank_mask:0xf
	v_cndmask_b32_e64 v4, 0, v8, s[0:1]
	v_add3_u32 v4, v4, s4, v2
	ds_bpermute_b32 v8, v3, v4
	v_add_co_u32_e64 v2, s[0:1], s2, v0
	v_addc_co_u32_e64 v3, s[0:1], v6, v1, s[0:1]
	global_store_dword v[2:3], v4, off
	s_waitcnt lgkmcnt(0)
	v_cndmask_b32_e32 v2, v8, v5, vcc
	v_add_co_u32_e32 v0, vcc, s8, v0
	v_addc_co_u32_e32 v1, vcc, v7, v1, vcc
	global_store_dword v[0:1], v2, off
	s_endpgm
	.section	.rodata,"a",@progbits
	.p2align	6, 0x0
	.amdhsa_kernel _Z16warp_scan_kernelIiLj32ELj4EENSt9enable_ifIXsr10test_utilsE35device_test_enabled_for_warp_size_vIXT1_EEEvE4typeEPT_S4_S4_S3_
		.amdhsa_group_segment_fixed_size 0
		.amdhsa_private_segment_fixed_size 0
		.amdhsa_kernarg_size 288
		.amdhsa_user_sgpr_count 6
		.amdhsa_user_sgpr_private_segment_buffer 1
		.amdhsa_user_sgpr_dispatch_ptr 0
		.amdhsa_user_sgpr_queue_ptr 0
		.amdhsa_user_sgpr_kernarg_segment_ptr 1
		.amdhsa_user_sgpr_dispatch_id 0
		.amdhsa_user_sgpr_flat_scratch_init 0
		.amdhsa_user_sgpr_private_segment_size 0
		.amdhsa_uses_dynamic_stack 0
		.amdhsa_system_sgpr_private_segment_wavefront_offset 0
		.amdhsa_system_sgpr_workgroup_id_x 1
		.amdhsa_system_sgpr_workgroup_id_y 0
		.amdhsa_system_sgpr_workgroup_id_z 0
		.amdhsa_system_sgpr_workgroup_info 0
		.amdhsa_system_vgpr_workitem_id 0
		.amdhsa_next_free_vgpr 9
		.amdhsa_next_free_sgpr 10
		.amdhsa_reserve_vcc 1
		.amdhsa_reserve_flat_scratch 0
		.amdhsa_float_round_mode_32 0
		.amdhsa_float_round_mode_16_64 0
		.amdhsa_float_denorm_mode_32 3
		.amdhsa_float_denorm_mode_16_64 3
		.amdhsa_dx10_clamp 1
		.amdhsa_ieee_mode 1
		.amdhsa_fp16_overflow 0
		.amdhsa_exception_fp_ieee_invalid_op 0
		.amdhsa_exception_fp_denorm_src 0
		.amdhsa_exception_fp_ieee_div_zero 0
		.amdhsa_exception_fp_ieee_overflow 0
		.amdhsa_exception_fp_ieee_underflow 0
		.amdhsa_exception_fp_ieee_inexact 0
		.amdhsa_exception_int_div_zero 0
	.end_amdhsa_kernel
	.section	.text._Z16warp_scan_kernelIiLj32ELj4EENSt9enable_ifIXsr10test_utilsE35device_test_enabled_for_warp_size_vIXT1_EEEvE4typeEPT_S4_S4_S3_,"axG",@progbits,_Z16warp_scan_kernelIiLj32ELj4EENSt9enable_ifIXsr10test_utilsE35device_test_enabled_for_warp_size_vIXT1_EEEvE4typeEPT_S4_S4_S3_,comdat
.Lfunc_end276:
	.size	_Z16warp_scan_kernelIiLj32ELj4EENSt9enable_ifIXsr10test_utilsE35device_test_enabled_for_warp_size_vIXT1_EEEvE4typeEPT_S4_S4_S3_, .Lfunc_end276-_Z16warp_scan_kernelIiLj32ELj4EENSt9enable_ifIXsr10test_utilsE35device_test_enabled_for_warp_size_vIXT1_EEEvE4typeEPT_S4_S4_S3_
                                        ; -- End function
	.set _Z16warp_scan_kernelIiLj32ELj4EENSt9enable_ifIXsr10test_utilsE35device_test_enabled_for_warp_size_vIXT1_EEEvE4typeEPT_S4_S4_S3_.num_vgpr, 9
	.set _Z16warp_scan_kernelIiLj32ELj4EENSt9enable_ifIXsr10test_utilsE35device_test_enabled_for_warp_size_vIXT1_EEEvE4typeEPT_S4_S4_S3_.num_agpr, 0
	.set _Z16warp_scan_kernelIiLj32ELj4EENSt9enable_ifIXsr10test_utilsE35device_test_enabled_for_warp_size_vIXT1_EEEvE4typeEPT_S4_S4_S3_.numbered_sgpr, 10
	.set _Z16warp_scan_kernelIiLj32ELj4EENSt9enable_ifIXsr10test_utilsE35device_test_enabled_for_warp_size_vIXT1_EEEvE4typeEPT_S4_S4_S3_.num_named_barrier, 0
	.set _Z16warp_scan_kernelIiLj32ELj4EENSt9enable_ifIXsr10test_utilsE35device_test_enabled_for_warp_size_vIXT1_EEEvE4typeEPT_S4_S4_S3_.private_seg_size, 0
	.set _Z16warp_scan_kernelIiLj32ELj4EENSt9enable_ifIXsr10test_utilsE35device_test_enabled_for_warp_size_vIXT1_EEEvE4typeEPT_S4_S4_S3_.uses_vcc, 1
	.set _Z16warp_scan_kernelIiLj32ELj4EENSt9enable_ifIXsr10test_utilsE35device_test_enabled_for_warp_size_vIXT1_EEEvE4typeEPT_S4_S4_S3_.uses_flat_scratch, 0
	.set _Z16warp_scan_kernelIiLj32ELj4EENSt9enable_ifIXsr10test_utilsE35device_test_enabled_for_warp_size_vIXT1_EEEvE4typeEPT_S4_S4_S3_.has_dyn_sized_stack, 0
	.set _Z16warp_scan_kernelIiLj32ELj4EENSt9enable_ifIXsr10test_utilsE35device_test_enabled_for_warp_size_vIXT1_EEEvE4typeEPT_S4_S4_S3_.has_recursion, 0
	.set _Z16warp_scan_kernelIiLj32ELj4EENSt9enable_ifIXsr10test_utilsE35device_test_enabled_for_warp_size_vIXT1_EEEvE4typeEPT_S4_S4_S3_.has_indirect_call, 0
	.section	.AMDGPU.csdata,"",@progbits
; Kernel info:
; codeLenInByte = 264
; TotalNumSgprs: 14
; NumVgprs: 9
; ScratchSize: 0
; MemoryBound: 0
; FloatMode: 240
; IeeeMode: 1
; LDSByteSize: 0 bytes/workgroup (compile time only)
; SGPRBlocks: 1
; VGPRBlocks: 2
; NumSGPRsForWavesPerEU: 14
; NumVGPRsForWavesPerEU: 9
; Occupancy: 10
; WaveLimiterHint : 0
; COMPUTE_PGM_RSRC2:SCRATCH_EN: 0
; COMPUTE_PGM_RSRC2:USER_SGPR: 6
; COMPUTE_PGM_RSRC2:TRAP_HANDLER: 0
; COMPUTE_PGM_RSRC2:TGID_X_EN: 1
; COMPUTE_PGM_RSRC2:TGID_Y_EN: 0
; COMPUTE_PGM_RSRC2:TGID_Z_EN: 0
; COMPUTE_PGM_RSRC2:TIDIG_COMP_CNT: 0
	.section	.text._Z16warp_scan_kernelIiLj64ELj4EENSt9enable_ifIXsr10test_utilsE35device_test_enabled_for_warp_size_vIXT1_EEEvE4typeEPT_S4_S4_S3_,"axG",@progbits,_Z16warp_scan_kernelIiLj64ELj4EENSt9enable_ifIXsr10test_utilsE35device_test_enabled_for_warp_size_vIXT1_EEEvE4typeEPT_S4_S4_S3_,comdat
	.protected	_Z16warp_scan_kernelIiLj64ELj4EENSt9enable_ifIXsr10test_utilsE35device_test_enabled_for_warp_size_vIXT1_EEEvE4typeEPT_S4_S4_S3_ ; -- Begin function _Z16warp_scan_kernelIiLj64ELj4EENSt9enable_ifIXsr10test_utilsE35device_test_enabled_for_warp_size_vIXT1_EEEvE4typeEPT_S4_S4_S3_
	.globl	_Z16warp_scan_kernelIiLj64ELj4EENSt9enable_ifIXsr10test_utilsE35device_test_enabled_for_warp_size_vIXT1_EEEvE4typeEPT_S4_S4_S3_
	.p2align	8
	.type	_Z16warp_scan_kernelIiLj64ELj4EENSt9enable_ifIXsr10test_utilsE35device_test_enabled_for_warp_size_vIXT1_EEEvE4typeEPT_S4_S4_S3_,@function
_Z16warp_scan_kernelIiLj64ELj4EENSt9enable_ifIXsr10test_utilsE35device_test_enabled_for_warp_size_vIXT1_EEEvE4typeEPT_S4_S4_S3_: ; @_Z16warp_scan_kernelIiLj64ELj4EENSt9enable_ifIXsr10test_utilsE35device_test_enabled_for_warp_size_vIXT1_EEEvE4typeEPT_S4_S4_S3_
; %bb.0:
	s_load_dword s7, s[4:5], 0x2c
	s_load_dwordx4 s[0:3], s[4:5], 0x0
	s_load_dwordx2 s[8:9], s[4:5], 0x10
	v_mov_b32_e32 v1, 0
	s_load_dword s4, s[4:5], 0x18
	s_waitcnt lgkmcnt(0)
	s_and_b32 s7, s7, 0xffff
	s_mul_i32 s6, s6, s7
	v_add_u32_e32 v0, s6, v0
	v_lshlrev_b64 v[0:1], 2, v[0:1]
	v_mov_b32_e32 v3, s1
	v_add_co_u32_e32 v2, vcc, s0, v0
	v_addc_co_u32_e32 v3, vcc, v3, v1, vcc
	global_load_dword v2, v[2:3], off
	v_mbcnt_lo_u32_b32 v3, -1, 0
	v_mbcnt_hi_u32_b32 v3, -1, v3
	v_add_u32_e32 v5, -1, v3
	v_and_b32_e32 v6, 0x7c, v3
	v_and_b32_e32 v4, 3, v3
	v_cmp_lt_i32_e32 vcc, v5, v6
	v_cndmask_b32_e32 v3, v5, v3, vcc
	v_cmp_eq_u32_e32 vcc, 0, v4
	v_cmp_lt_u32_e64 s[0:1], 1, v4
	v_lshlrev_b32_e32 v3, 2, v3
	v_mov_b32_e32 v6, s3
	v_mov_b32_e32 v5, s4
	;; [unrolled: 1-line block ×3, first 2 shown]
	s_waitcnt vmcnt(0)
	v_mov_b32_dpp v8, v2 row_shr:1 row_mask:0xf bank_mask:0xf
	v_cndmask_b32_e64 v8, v8, 0, vcc
	v_add_u32_e32 v2, v8, v2
	s_nop 1
	v_mov_b32_dpp v8, v2 row_shr:2 row_mask:0xf bank_mask:0xf
	v_cndmask_b32_e64 v4, 0, v8, s[0:1]
	v_add3_u32 v4, v4, s4, v2
	ds_bpermute_b32 v8, v3, v4
	v_add_co_u32_e64 v2, s[0:1], s2, v0
	v_addc_co_u32_e64 v3, s[0:1], v6, v1, s[0:1]
	global_store_dword v[2:3], v4, off
	s_waitcnt lgkmcnt(0)
	v_cndmask_b32_e32 v2, v8, v5, vcc
	v_add_co_u32_e32 v0, vcc, s8, v0
	v_addc_co_u32_e32 v1, vcc, v7, v1, vcc
	global_store_dword v[0:1], v2, off
	s_endpgm
	.section	.rodata,"a",@progbits
	.p2align	6, 0x0
	.amdhsa_kernel _Z16warp_scan_kernelIiLj64ELj4EENSt9enable_ifIXsr10test_utilsE35device_test_enabled_for_warp_size_vIXT1_EEEvE4typeEPT_S4_S4_S3_
		.amdhsa_group_segment_fixed_size 0
		.amdhsa_private_segment_fixed_size 0
		.amdhsa_kernarg_size 288
		.amdhsa_user_sgpr_count 6
		.amdhsa_user_sgpr_private_segment_buffer 1
		.amdhsa_user_sgpr_dispatch_ptr 0
		.amdhsa_user_sgpr_queue_ptr 0
		.amdhsa_user_sgpr_kernarg_segment_ptr 1
		.amdhsa_user_sgpr_dispatch_id 0
		.amdhsa_user_sgpr_flat_scratch_init 0
		.amdhsa_user_sgpr_private_segment_size 0
		.amdhsa_uses_dynamic_stack 0
		.amdhsa_system_sgpr_private_segment_wavefront_offset 0
		.amdhsa_system_sgpr_workgroup_id_x 1
		.amdhsa_system_sgpr_workgroup_id_y 0
		.amdhsa_system_sgpr_workgroup_id_z 0
		.amdhsa_system_sgpr_workgroup_info 0
		.amdhsa_system_vgpr_workitem_id 0
		.amdhsa_next_free_vgpr 9
		.amdhsa_next_free_sgpr 10
		.amdhsa_reserve_vcc 1
		.amdhsa_reserve_flat_scratch 0
		.amdhsa_float_round_mode_32 0
		.amdhsa_float_round_mode_16_64 0
		.amdhsa_float_denorm_mode_32 3
		.amdhsa_float_denorm_mode_16_64 3
		.amdhsa_dx10_clamp 1
		.amdhsa_ieee_mode 1
		.amdhsa_fp16_overflow 0
		.amdhsa_exception_fp_ieee_invalid_op 0
		.amdhsa_exception_fp_denorm_src 0
		.amdhsa_exception_fp_ieee_div_zero 0
		.amdhsa_exception_fp_ieee_overflow 0
		.amdhsa_exception_fp_ieee_underflow 0
		.amdhsa_exception_fp_ieee_inexact 0
		.amdhsa_exception_int_div_zero 0
	.end_amdhsa_kernel
	.section	.text._Z16warp_scan_kernelIiLj64ELj4EENSt9enable_ifIXsr10test_utilsE35device_test_enabled_for_warp_size_vIXT1_EEEvE4typeEPT_S4_S4_S3_,"axG",@progbits,_Z16warp_scan_kernelIiLj64ELj4EENSt9enable_ifIXsr10test_utilsE35device_test_enabled_for_warp_size_vIXT1_EEEvE4typeEPT_S4_S4_S3_,comdat
.Lfunc_end277:
	.size	_Z16warp_scan_kernelIiLj64ELj4EENSt9enable_ifIXsr10test_utilsE35device_test_enabled_for_warp_size_vIXT1_EEEvE4typeEPT_S4_S4_S3_, .Lfunc_end277-_Z16warp_scan_kernelIiLj64ELj4EENSt9enable_ifIXsr10test_utilsE35device_test_enabled_for_warp_size_vIXT1_EEEvE4typeEPT_S4_S4_S3_
                                        ; -- End function
	.set _Z16warp_scan_kernelIiLj64ELj4EENSt9enable_ifIXsr10test_utilsE35device_test_enabled_for_warp_size_vIXT1_EEEvE4typeEPT_S4_S4_S3_.num_vgpr, 9
	.set _Z16warp_scan_kernelIiLj64ELj4EENSt9enable_ifIXsr10test_utilsE35device_test_enabled_for_warp_size_vIXT1_EEEvE4typeEPT_S4_S4_S3_.num_agpr, 0
	.set _Z16warp_scan_kernelIiLj64ELj4EENSt9enable_ifIXsr10test_utilsE35device_test_enabled_for_warp_size_vIXT1_EEEvE4typeEPT_S4_S4_S3_.numbered_sgpr, 10
	.set _Z16warp_scan_kernelIiLj64ELj4EENSt9enable_ifIXsr10test_utilsE35device_test_enabled_for_warp_size_vIXT1_EEEvE4typeEPT_S4_S4_S3_.num_named_barrier, 0
	.set _Z16warp_scan_kernelIiLj64ELj4EENSt9enable_ifIXsr10test_utilsE35device_test_enabled_for_warp_size_vIXT1_EEEvE4typeEPT_S4_S4_S3_.private_seg_size, 0
	.set _Z16warp_scan_kernelIiLj64ELj4EENSt9enable_ifIXsr10test_utilsE35device_test_enabled_for_warp_size_vIXT1_EEEvE4typeEPT_S4_S4_S3_.uses_vcc, 1
	.set _Z16warp_scan_kernelIiLj64ELj4EENSt9enable_ifIXsr10test_utilsE35device_test_enabled_for_warp_size_vIXT1_EEEvE4typeEPT_S4_S4_S3_.uses_flat_scratch, 0
	.set _Z16warp_scan_kernelIiLj64ELj4EENSt9enable_ifIXsr10test_utilsE35device_test_enabled_for_warp_size_vIXT1_EEEvE4typeEPT_S4_S4_S3_.has_dyn_sized_stack, 0
	.set _Z16warp_scan_kernelIiLj64ELj4EENSt9enable_ifIXsr10test_utilsE35device_test_enabled_for_warp_size_vIXT1_EEEvE4typeEPT_S4_S4_S3_.has_recursion, 0
	.set _Z16warp_scan_kernelIiLj64ELj4EENSt9enable_ifIXsr10test_utilsE35device_test_enabled_for_warp_size_vIXT1_EEEvE4typeEPT_S4_S4_S3_.has_indirect_call, 0
	.section	.AMDGPU.csdata,"",@progbits
; Kernel info:
; codeLenInByte = 264
; TotalNumSgprs: 14
; NumVgprs: 9
; ScratchSize: 0
; MemoryBound: 0
; FloatMode: 240
; IeeeMode: 1
; LDSByteSize: 0 bytes/workgroup (compile time only)
; SGPRBlocks: 1
; VGPRBlocks: 2
; NumSGPRsForWavesPerEU: 14
; NumVGPRsForWavesPerEU: 9
; Occupancy: 10
; WaveLimiterHint : 0
; COMPUTE_PGM_RSRC2:SCRATCH_EN: 0
; COMPUTE_PGM_RSRC2:USER_SGPR: 6
; COMPUTE_PGM_RSRC2:TRAP_HANDLER: 0
; COMPUTE_PGM_RSRC2:TGID_X_EN: 1
; COMPUTE_PGM_RSRC2:TGID_Y_EN: 0
; COMPUTE_PGM_RSRC2:TGID_Z_EN: 0
; COMPUTE_PGM_RSRC2:TIDIG_COMP_CNT: 0
	.section	.text._Z16warp_scan_kernelIiLj32ELj2EENSt9enable_ifIXsr10test_utilsE35device_test_enabled_for_warp_size_vIXT1_EEEvE4typeEPT_S4_S4_S3_,"axG",@progbits,_Z16warp_scan_kernelIiLj32ELj2EENSt9enable_ifIXsr10test_utilsE35device_test_enabled_for_warp_size_vIXT1_EEEvE4typeEPT_S4_S4_S3_,comdat
	.protected	_Z16warp_scan_kernelIiLj32ELj2EENSt9enable_ifIXsr10test_utilsE35device_test_enabled_for_warp_size_vIXT1_EEEvE4typeEPT_S4_S4_S3_ ; -- Begin function _Z16warp_scan_kernelIiLj32ELj2EENSt9enable_ifIXsr10test_utilsE35device_test_enabled_for_warp_size_vIXT1_EEEvE4typeEPT_S4_S4_S3_
	.globl	_Z16warp_scan_kernelIiLj32ELj2EENSt9enable_ifIXsr10test_utilsE35device_test_enabled_for_warp_size_vIXT1_EEEvE4typeEPT_S4_S4_S3_
	.p2align	8
	.type	_Z16warp_scan_kernelIiLj32ELj2EENSt9enable_ifIXsr10test_utilsE35device_test_enabled_for_warp_size_vIXT1_EEEvE4typeEPT_S4_S4_S3_,@function
_Z16warp_scan_kernelIiLj32ELj2EENSt9enable_ifIXsr10test_utilsE35device_test_enabled_for_warp_size_vIXT1_EEEvE4typeEPT_S4_S4_S3_: ; @_Z16warp_scan_kernelIiLj32ELj2EENSt9enable_ifIXsr10test_utilsE35device_test_enabled_for_warp_size_vIXT1_EEEvE4typeEPT_S4_S4_S3_
; %bb.0:
	s_load_dword s7, s[4:5], 0x2c
	s_load_dwordx4 s[0:3], s[4:5], 0x0
	s_load_dwordx2 s[8:9], s[4:5], 0x10
	v_mov_b32_e32 v1, 0
	s_waitcnt lgkmcnt(0)
	s_and_b32 s7, s7, 0xffff
	s_mul_i32 s6, s6, s7
	v_add_u32_e32 v0, s6, v0
	v_lshlrev_b64 v[0:1], 2, v[0:1]
	v_mov_b32_e32 v3, s1
	v_add_co_u32_e32 v2, vcc, s0, v0
	v_addc_co_u32_e32 v3, vcc, v3, v1, vcc
	global_load_dword v2, v[2:3], off
	s_load_dword s0, s[4:5], 0x18
	v_mbcnt_lo_u32_b32 v3, -1, 0
	v_mbcnt_hi_u32_b32 v3, -1, v3
	v_add_u32_e32 v6, -1, v3
	v_and_b32_e32 v7, 0x7e, v3
	v_bfe_i32 v4, v3, 0, 1
	v_cmp_lt_i32_e32 vcc, v6, v7
	v_and_b32_e32 v5, 1, v3
	v_cndmask_b32_e32 v3, v6, v3, vcc
	v_lshlrev_b32_e32 v3, 2, v3
	v_mov_b32_e32 v7, s3
	s_waitcnt lgkmcnt(0)
	v_mov_b32_e32 v6, s0
	v_mov_b32_e32 v8, s9
	s_waitcnt vmcnt(0)
	v_mov_b32_dpp v9, v2 row_shr:1 row_mask:0xf bank_mask:0xf
	v_and_b32_e32 v4, v4, v9
	v_add3_u32 v4, v2, s0, v4
	ds_bpermute_b32 v9, v3, v4
	v_add_co_u32_e32 v2, vcc, s2, v0
	v_addc_co_u32_e32 v3, vcc, v7, v1, vcc
	v_cmp_eq_u32_e32 vcc, 0, v5
	global_store_dword v[2:3], v4, off
	s_waitcnt lgkmcnt(0)
	v_cndmask_b32_e32 v2, v9, v6, vcc
	v_add_co_u32_e32 v0, vcc, s8, v0
	v_addc_co_u32_e32 v1, vcc, v8, v1, vcc
	global_store_dword v[0:1], v2, off
	s_endpgm
	.section	.rodata,"a",@progbits
	.p2align	6, 0x0
	.amdhsa_kernel _Z16warp_scan_kernelIiLj32ELj2EENSt9enable_ifIXsr10test_utilsE35device_test_enabled_for_warp_size_vIXT1_EEEvE4typeEPT_S4_S4_S3_
		.amdhsa_group_segment_fixed_size 0
		.amdhsa_private_segment_fixed_size 0
		.amdhsa_kernarg_size 288
		.amdhsa_user_sgpr_count 6
		.amdhsa_user_sgpr_private_segment_buffer 1
		.amdhsa_user_sgpr_dispatch_ptr 0
		.amdhsa_user_sgpr_queue_ptr 0
		.amdhsa_user_sgpr_kernarg_segment_ptr 1
		.amdhsa_user_sgpr_dispatch_id 0
		.amdhsa_user_sgpr_flat_scratch_init 0
		.amdhsa_user_sgpr_private_segment_size 0
		.amdhsa_uses_dynamic_stack 0
		.amdhsa_system_sgpr_private_segment_wavefront_offset 0
		.amdhsa_system_sgpr_workgroup_id_x 1
		.amdhsa_system_sgpr_workgroup_id_y 0
		.amdhsa_system_sgpr_workgroup_id_z 0
		.amdhsa_system_sgpr_workgroup_info 0
		.amdhsa_system_vgpr_workitem_id 0
		.amdhsa_next_free_vgpr 10
		.amdhsa_next_free_sgpr 10
		.amdhsa_reserve_vcc 1
		.amdhsa_reserve_flat_scratch 0
		.amdhsa_float_round_mode_32 0
		.amdhsa_float_round_mode_16_64 0
		.amdhsa_float_denorm_mode_32 3
		.amdhsa_float_denorm_mode_16_64 3
		.amdhsa_dx10_clamp 1
		.amdhsa_ieee_mode 1
		.amdhsa_fp16_overflow 0
		.amdhsa_exception_fp_ieee_invalid_op 0
		.amdhsa_exception_fp_denorm_src 0
		.amdhsa_exception_fp_ieee_div_zero 0
		.amdhsa_exception_fp_ieee_overflow 0
		.amdhsa_exception_fp_ieee_underflow 0
		.amdhsa_exception_fp_ieee_inexact 0
		.amdhsa_exception_int_div_zero 0
	.end_amdhsa_kernel
	.section	.text._Z16warp_scan_kernelIiLj32ELj2EENSt9enable_ifIXsr10test_utilsE35device_test_enabled_for_warp_size_vIXT1_EEEvE4typeEPT_S4_S4_S3_,"axG",@progbits,_Z16warp_scan_kernelIiLj32ELj2EENSt9enable_ifIXsr10test_utilsE35device_test_enabled_for_warp_size_vIXT1_EEEvE4typeEPT_S4_S4_S3_,comdat
.Lfunc_end278:
	.size	_Z16warp_scan_kernelIiLj32ELj2EENSt9enable_ifIXsr10test_utilsE35device_test_enabled_for_warp_size_vIXT1_EEEvE4typeEPT_S4_S4_S3_, .Lfunc_end278-_Z16warp_scan_kernelIiLj32ELj2EENSt9enable_ifIXsr10test_utilsE35device_test_enabled_for_warp_size_vIXT1_EEEvE4typeEPT_S4_S4_S3_
                                        ; -- End function
	.set _Z16warp_scan_kernelIiLj32ELj2EENSt9enable_ifIXsr10test_utilsE35device_test_enabled_for_warp_size_vIXT1_EEEvE4typeEPT_S4_S4_S3_.num_vgpr, 10
	.set _Z16warp_scan_kernelIiLj32ELj2EENSt9enable_ifIXsr10test_utilsE35device_test_enabled_for_warp_size_vIXT1_EEEvE4typeEPT_S4_S4_S3_.num_agpr, 0
	.set _Z16warp_scan_kernelIiLj32ELj2EENSt9enable_ifIXsr10test_utilsE35device_test_enabled_for_warp_size_vIXT1_EEEvE4typeEPT_S4_S4_S3_.numbered_sgpr, 10
	.set _Z16warp_scan_kernelIiLj32ELj2EENSt9enable_ifIXsr10test_utilsE35device_test_enabled_for_warp_size_vIXT1_EEEvE4typeEPT_S4_S4_S3_.num_named_barrier, 0
	.set _Z16warp_scan_kernelIiLj32ELj2EENSt9enable_ifIXsr10test_utilsE35device_test_enabled_for_warp_size_vIXT1_EEEvE4typeEPT_S4_S4_S3_.private_seg_size, 0
	.set _Z16warp_scan_kernelIiLj32ELj2EENSt9enable_ifIXsr10test_utilsE35device_test_enabled_for_warp_size_vIXT1_EEEvE4typeEPT_S4_S4_S3_.uses_vcc, 1
	.set _Z16warp_scan_kernelIiLj32ELj2EENSt9enable_ifIXsr10test_utilsE35device_test_enabled_for_warp_size_vIXT1_EEEvE4typeEPT_S4_S4_S3_.uses_flat_scratch, 0
	.set _Z16warp_scan_kernelIiLj32ELj2EENSt9enable_ifIXsr10test_utilsE35device_test_enabled_for_warp_size_vIXT1_EEEvE4typeEPT_S4_S4_S3_.has_dyn_sized_stack, 0
	.set _Z16warp_scan_kernelIiLj32ELj2EENSt9enable_ifIXsr10test_utilsE35device_test_enabled_for_warp_size_vIXT1_EEEvE4typeEPT_S4_S4_S3_.has_recursion, 0
	.set _Z16warp_scan_kernelIiLj32ELj2EENSt9enable_ifIXsr10test_utilsE35device_test_enabled_for_warp_size_vIXT1_EEEvE4typeEPT_S4_S4_S3_.has_indirect_call, 0
	.section	.AMDGPU.csdata,"",@progbits
; Kernel info:
; codeLenInByte = 232
; TotalNumSgprs: 14
; NumVgprs: 10
; ScratchSize: 0
; MemoryBound: 0
; FloatMode: 240
; IeeeMode: 1
; LDSByteSize: 0 bytes/workgroup (compile time only)
; SGPRBlocks: 1
; VGPRBlocks: 2
; NumSGPRsForWavesPerEU: 14
; NumVGPRsForWavesPerEU: 10
; Occupancy: 10
; WaveLimiterHint : 0
; COMPUTE_PGM_RSRC2:SCRATCH_EN: 0
; COMPUTE_PGM_RSRC2:USER_SGPR: 6
; COMPUTE_PGM_RSRC2:TRAP_HANDLER: 0
; COMPUTE_PGM_RSRC2:TGID_X_EN: 1
; COMPUTE_PGM_RSRC2:TGID_Y_EN: 0
; COMPUTE_PGM_RSRC2:TGID_Z_EN: 0
; COMPUTE_PGM_RSRC2:TIDIG_COMP_CNT: 0
	.section	.text._Z16warp_scan_kernelIiLj64ELj2EENSt9enable_ifIXsr10test_utilsE35device_test_enabled_for_warp_size_vIXT1_EEEvE4typeEPT_S4_S4_S3_,"axG",@progbits,_Z16warp_scan_kernelIiLj64ELj2EENSt9enable_ifIXsr10test_utilsE35device_test_enabled_for_warp_size_vIXT1_EEEvE4typeEPT_S4_S4_S3_,comdat
	.protected	_Z16warp_scan_kernelIiLj64ELj2EENSt9enable_ifIXsr10test_utilsE35device_test_enabled_for_warp_size_vIXT1_EEEvE4typeEPT_S4_S4_S3_ ; -- Begin function _Z16warp_scan_kernelIiLj64ELj2EENSt9enable_ifIXsr10test_utilsE35device_test_enabled_for_warp_size_vIXT1_EEEvE4typeEPT_S4_S4_S3_
	.globl	_Z16warp_scan_kernelIiLj64ELj2EENSt9enable_ifIXsr10test_utilsE35device_test_enabled_for_warp_size_vIXT1_EEEvE4typeEPT_S4_S4_S3_
	.p2align	8
	.type	_Z16warp_scan_kernelIiLj64ELj2EENSt9enable_ifIXsr10test_utilsE35device_test_enabled_for_warp_size_vIXT1_EEEvE4typeEPT_S4_S4_S3_,@function
_Z16warp_scan_kernelIiLj64ELj2EENSt9enable_ifIXsr10test_utilsE35device_test_enabled_for_warp_size_vIXT1_EEEvE4typeEPT_S4_S4_S3_: ; @_Z16warp_scan_kernelIiLj64ELj2EENSt9enable_ifIXsr10test_utilsE35device_test_enabled_for_warp_size_vIXT1_EEEvE4typeEPT_S4_S4_S3_
; %bb.0:
	s_load_dword s7, s[4:5], 0x2c
	s_load_dwordx4 s[0:3], s[4:5], 0x0
	s_load_dwordx2 s[8:9], s[4:5], 0x10
	v_mov_b32_e32 v1, 0
	s_waitcnt lgkmcnt(0)
	s_and_b32 s7, s7, 0xffff
	s_mul_i32 s6, s6, s7
	v_add_u32_e32 v0, s6, v0
	v_lshlrev_b64 v[0:1], 2, v[0:1]
	v_mov_b32_e32 v3, s1
	v_add_co_u32_e32 v2, vcc, s0, v0
	v_addc_co_u32_e32 v3, vcc, v3, v1, vcc
	global_load_dword v2, v[2:3], off
	s_load_dword s0, s[4:5], 0x18
	v_mbcnt_lo_u32_b32 v3, -1, 0
	v_mbcnt_hi_u32_b32 v3, -1, v3
	v_add_u32_e32 v6, -1, v3
	v_and_b32_e32 v7, 0x7e, v3
	v_bfe_i32 v4, v3, 0, 1
	v_cmp_lt_i32_e32 vcc, v6, v7
	v_and_b32_e32 v5, 1, v3
	v_cndmask_b32_e32 v3, v6, v3, vcc
	v_lshlrev_b32_e32 v3, 2, v3
	v_mov_b32_e32 v7, s3
	s_waitcnt lgkmcnt(0)
	v_mov_b32_e32 v6, s0
	v_mov_b32_e32 v8, s9
	s_waitcnt vmcnt(0)
	v_mov_b32_dpp v9, v2 row_shr:1 row_mask:0xf bank_mask:0xf
	v_and_b32_e32 v4, v4, v9
	v_add3_u32 v4, v2, s0, v4
	ds_bpermute_b32 v9, v3, v4
	v_add_co_u32_e32 v2, vcc, s2, v0
	v_addc_co_u32_e32 v3, vcc, v7, v1, vcc
	v_cmp_eq_u32_e32 vcc, 0, v5
	global_store_dword v[2:3], v4, off
	s_waitcnt lgkmcnt(0)
	v_cndmask_b32_e32 v2, v9, v6, vcc
	v_add_co_u32_e32 v0, vcc, s8, v0
	v_addc_co_u32_e32 v1, vcc, v8, v1, vcc
	global_store_dword v[0:1], v2, off
	s_endpgm
	.section	.rodata,"a",@progbits
	.p2align	6, 0x0
	.amdhsa_kernel _Z16warp_scan_kernelIiLj64ELj2EENSt9enable_ifIXsr10test_utilsE35device_test_enabled_for_warp_size_vIXT1_EEEvE4typeEPT_S4_S4_S3_
		.amdhsa_group_segment_fixed_size 0
		.amdhsa_private_segment_fixed_size 0
		.amdhsa_kernarg_size 288
		.amdhsa_user_sgpr_count 6
		.amdhsa_user_sgpr_private_segment_buffer 1
		.amdhsa_user_sgpr_dispatch_ptr 0
		.amdhsa_user_sgpr_queue_ptr 0
		.amdhsa_user_sgpr_kernarg_segment_ptr 1
		.amdhsa_user_sgpr_dispatch_id 0
		.amdhsa_user_sgpr_flat_scratch_init 0
		.amdhsa_user_sgpr_private_segment_size 0
		.amdhsa_uses_dynamic_stack 0
		.amdhsa_system_sgpr_private_segment_wavefront_offset 0
		.amdhsa_system_sgpr_workgroup_id_x 1
		.amdhsa_system_sgpr_workgroup_id_y 0
		.amdhsa_system_sgpr_workgroup_id_z 0
		.amdhsa_system_sgpr_workgroup_info 0
		.amdhsa_system_vgpr_workitem_id 0
		.amdhsa_next_free_vgpr 10
		.amdhsa_next_free_sgpr 10
		.amdhsa_reserve_vcc 1
		.amdhsa_reserve_flat_scratch 0
		.amdhsa_float_round_mode_32 0
		.amdhsa_float_round_mode_16_64 0
		.amdhsa_float_denorm_mode_32 3
		.amdhsa_float_denorm_mode_16_64 3
		.amdhsa_dx10_clamp 1
		.amdhsa_ieee_mode 1
		.amdhsa_fp16_overflow 0
		.amdhsa_exception_fp_ieee_invalid_op 0
		.amdhsa_exception_fp_denorm_src 0
		.amdhsa_exception_fp_ieee_div_zero 0
		.amdhsa_exception_fp_ieee_overflow 0
		.amdhsa_exception_fp_ieee_underflow 0
		.amdhsa_exception_fp_ieee_inexact 0
		.amdhsa_exception_int_div_zero 0
	.end_amdhsa_kernel
	.section	.text._Z16warp_scan_kernelIiLj64ELj2EENSt9enable_ifIXsr10test_utilsE35device_test_enabled_for_warp_size_vIXT1_EEEvE4typeEPT_S4_S4_S3_,"axG",@progbits,_Z16warp_scan_kernelIiLj64ELj2EENSt9enable_ifIXsr10test_utilsE35device_test_enabled_for_warp_size_vIXT1_EEEvE4typeEPT_S4_S4_S3_,comdat
.Lfunc_end279:
	.size	_Z16warp_scan_kernelIiLj64ELj2EENSt9enable_ifIXsr10test_utilsE35device_test_enabled_for_warp_size_vIXT1_EEEvE4typeEPT_S4_S4_S3_, .Lfunc_end279-_Z16warp_scan_kernelIiLj64ELj2EENSt9enable_ifIXsr10test_utilsE35device_test_enabled_for_warp_size_vIXT1_EEEvE4typeEPT_S4_S4_S3_
                                        ; -- End function
	.set _Z16warp_scan_kernelIiLj64ELj2EENSt9enable_ifIXsr10test_utilsE35device_test_enabled_for_warp_size_vIXT1_EEEvE4typeEPT_S4_S4_S3_.num_vgpr, 10
	.set _Z16warp_scan_kernelIiLj64ELj2EENSt9enable_ifIXsr10test_utilsE35device_test_enabled_for_warp_size_vIXT1_EEEvE4typeEPT_S4_S4_S3_.num_agpr, 0
	.set _Z16warp_scan_kernelIiLj64ELj2EENSt9enable_ifIXsr10test_utilsE35device_test_enabled_for_warp_size_vIXT1_EEEvE4typeEPT_S4_S4_S3_.numbered_sgpr, 10
	.set _Z16warp_scan_kernelIiLj64ELj2EENSt9enable_ifIXsr10test_utilsE35device_test_enabled_for_warp_size_vIXT1_EEEvE4typeEPT_S4_S4_S3_.num_named_barrier, 0
	.set _Z16warp_scan_kernelIiLj64ELj2EENSt9enable_ifIXsr10test_utilsE35device_test_enabled_for_warp_size_vIXT1_EEEvE4typeEPT_S4_S4_S3_.private_seg_size, 0
	.set _Z16warp_scan_kernelIiLj64ELj2EENSt9enable_ifIXsr10test_utilsE35device_test_enabled_for_warp_size_vIXT1_EEEvE4typeEPT_S4_S4_S3_.uses_vcc, 1
	.set _Z16warp_scan_kernelIiLj64ELj2EENSt9enable_ifIXsr10test_utilsE35device_test_enabled_for_warp_size_vIXT1_EEEvE4typeEPT_S4_S4_S3_.uses_flat_scratch, 0
	.set _Z16warp_scan_kernelIiLj64ELj2EENSt9enable_ifIXsr10test_utilsE35device_test_enabled_for_warp_size_vIXT1_EEEvE4typeEPT_S4_S4_S3_.has_dyn_sized_stack, 0
	.set _Z16warp_scan_kernelIiLj64ELj2EENSt9enable_ifIXsr10test_utilsE35device_test_enabled_for_warp_size_vIXT1_EEEvE4typeEPT_S4_S4_S3_.has_recursion, 0
	.set _Z16warp_scan_kernelIiLj64ELj2EENSt9enable_ifIXsr10test_utilsE35device_test_enabled_for_warp_size_vIXT1_EEEvE4typeEPT_S4_S4_S3_.has_indirect_call, 0
	.section	.AMDGPU.csdata,"",@progbits
; Kernel info:
; codeLenInByte = 232
; TotalNumSgprs: 14
; NumVgprs: 10
; ScratchSize: 0
; MemoryBound: 0
; FloatMode: 240
; IeeeMode: 1
; LDSByteSize: 0 bytes/workgroup (compile time only)
; SGPRBlocks: 1
; VGPRBlocks: 2
; NumSGPRsForWavesPerEU: 14
; NumVGPRsForWavesPerEU: 10
; Occupancy: 10
; WaveLimiterHint : 0
; COMPUTE_PGM_RSRC2:SCRATCH_EN: 0
; COMPUTE_PGM_RSRC2:USER_SGPR: 6
; COMPUTE_PGM_RSRC2:TRAP_HANDLER: 0
; COMPUTE_PGM_RSRC2:TGID_X_EN: 1
; COMPUTE_PGM_RSRC2:TGID_Y_EN: 0
; COMPUTE_PGM_RSRC2:TGID_Z_EN: 0
; COMPUTE_PGM_RSRC2:TIDIG_COMP_CNT: 0
	.section	.text._Z26warp_inclusive_scan_kernelIN10test_utils16custom_test_typeIfEELj1ELj61EENSt9enable_ifIXsr10test_utilsE35device_test_enabled_for_warp_size_vIXT1_EEEvE4typeEPT_S7_,"axG",@progbits,_Z26warp_inclusive_scan_kernelIN10test_utils16custom_test_typeIfEELj1ELj61EENSt9enable_ifIXsr10test_utilsE35device_test_enabled_for_warp_size_vIXT1_EEEvE4typeEPT_S7_,comdat
	.protected	_Z26warp_inclusive_scan_kernelIN10test_utils16custom_test_typeIfEELj1ELj61EENSt9enable_ifIXsr10test_utilsE35device_test_enabled_for_warp_size_vIXT1_EEEvE4typeEPT_S7_ ; -- Begin function _Z26warp_inclusive_scan_kernelIN10test_utils16custom_test_typeIfEELj1ELj61EENSt9enable_ifIXsr10test_utilsE35device_test_enabled_for_warp_size_vIXT1_EEEvE4typeEPT_S7_
	.globl	_Z26warp_inclusive_scan_kernelIN10test_utils16custom_test_typeIfEELj1ELj61EENSt9enable_ifIXsr10test_utilsE35device_test_enabled_for_warp_size_vIXT1_EEEvE4typeEPT_S7_
	.p2align	8
	.type	_Z26warp_inclusive_scan_kernelIN10test_utils16custom_test_typeIfEELj1ELj61EENSt9enable_ifIXsr10test_utilsE35device_test_enabled_for_warp_size_vIXT1_EEEvE4typeEPT_S7_,@function
_Z26warp_inclusive_scan_kernelIN10test_utils16custom_test_typeIfEELj1ELj61EENSt9enable_ifIXsr10test_utilsE35device_test_enabled_for_warp_size_vIXT1_EEEvE4typeEPT_S7_: ; @_Z26warp_inclusive_scan_kernelIN10test_utils16custom_test_typeIfEELj1ELj61EENSt9enable_ifIXsr10test_utilsE35device_test_enabled_for_warp_size_vIXT1_EEEvE4typeEPT_S7_
; %bb.0:
	s_load_dword s7, s[4:5], 0x1c
	s_load_dwordx4 s[0:3], s[4:5], 0x0
	s_mov_b32 s5, 0
	v_mbcnt_lo_u32_b32 v0, -1, 0
	v_mbcnt_hi_u32_b32 v0, -1, v0
	s_waitcnt lgkmcnt(0)
	s_and_b32 s4, s7, 0xffff
	s_mul_i32 s4, s6, s4
	s_lshl_b64 s[4:5], s[4:5], 3
	s_mov_b32 s6, 0x4325c54
	v_mul_hi_u32 v1, v0, s6
	s_add_u32 s6, s0, s4
	s_addc_u32 s7, s1, s5
	s_load_dwordx2 s[0:1], s[6:7], 0x0
	v_mul_u32_u24_e32 v1, 61, v1
	v_sub_u32_e32 v3, v0, v1
	v_cmp_eq_u32_e32 vcc, 0, v3
	v_readfirstlane_b32 s6, v3
	s_waitcnt lgkmcnt(0)
	v_mov_b32_e32 v0, s0
	v_lshlrev_b32_e32 v2, 3, v3
	v_mov_b32_e32 v1, s1
	s_and_b64 s[8:9], vcc, exec
	v_cmp_ne_u32_e32 vcc, 0, v3
	ds_write_b64 v2, v[0:1]
	; wave barrier
	s_cbranch_scc1 .LBB280_2
; %bb.1:
	v_add_u32_e32 v0, -8, v2
	ds_read_b64 v[0:1], v0
	s_waitcnt lgkmcnt(0)
	v_add_f32_e32 v0, s0, v0
	v_add_f32_e32 v1, s1, v1
	s_branch .LBB280_3
.LBB280_2:
	v_mov_b32_e32 v1, s1
	v_mov_b32_e32 v0, s0
.LBB280_3:
	s_andn2_b64 vcc, exec, vcc
	; wave barrier
	s_cbranch_vccnz .LBB280_5
; %bb.4:
	ds_write_b64 v2, v[0:1]
.LBB280_5:
	s_cmp_gt_u32 s6, 1
	s_cselect_b64 s[0:1], -1, 0
	s_cmp_lt_u32 s6, 2
	; wave barrier
	s_cbranch_scc1 .LBB280_7
; %bb.6:
	v_add_u32_e32 v3, -16, v2
	ds_read_b64 v[3:4], v3
	s_waitcnt lgkmcnt(0)
	v_add_f32_e32 v0, v0, v3
	v_add_f32_e32 v1, v1, v4
.LBB280_7:
	s_andn2_b64 vcc, exec, s[0:1]
	; wave barrier
	s_cbranch_vccnz .LBB280_9
; %bb.8:
	ds_write_b64 v2, v[0:1]
.LBB280_9:
	s_cmp_gt_u32 s6, 3
	s_cselect_b64 s[0:1], -1, 0
	s_cmp_lt_u32 s6, 4
	; wave barrier
	s_cbranch_scc1 .LBB280_11
; %bb.10:
	v_subrev_u32_e32 v3, 32, v2
	ds_read_b64 v[3:4], v3
	s_waitcnt lgkmcnt(0)
	v_add_f32_e32 v0, v0, v3
	v_add_f32_e32 v1, v1, v4
.LBB280_11:
	s_andn2_b64 vcc, exec, s[0:1]
	; wave barrier
	s_cbranch_vccnz .LBB280_13
; %bb.12:
	ds_write_b64 v2, v[0:1]
.LBB280_13:
	s_cmp_gt_u32 s6, 7
	s_cselect_b64 s[0:1], -1, 0
	s_cmp_lt_u32 s6, 8
	; wave barrier
	s_cbranch_scc1 .LBB280_15
; %bb.14:
	v_subrev_u32_e32 v3, 64, v2
	ds_read_b64 v[3:4], v3
	s_waitcnt lgkmcnt(0)
	v_add_f32_e32 v0, v0, v3
	v_add_f32_e32 v1, v1, v4
.LBB280_15:
	s_andn2_b64 vcc, exec, s[0:1]
	; wave barrier
	s_cbranch_vccnz .LBB280_17
; %bb.16:
	ds_write_b64 v2, v[0:1]
.LBB280_17:
	s_cmp_gt_u32 s6, 15
	s_cselect_b64 s[0:1], -1, 0
	s_cmp_lt_u32 s6, 16
	; wave barrier
	s_cbranch_scc1 .LBB280_19
; %bb.18:
	v_add_u32_e32 v3, 0xffffff80, v2
	ds_read_b64 v[3:4], v3
	s_waitcnt lgkmcnt(0)
	v_add_f32_e32 v0, v0, v3
	v_add_f32_e32 v1, v1, v4
.LBB280_19:
	s_andn2_b64 vcc, exec, s[0:1]
	; wave barrier
	s_cbranch_vccnz .LBB280_21
; %bb.20:
	ds_write_b64 v2, v[0:1]
.LBB280_21:
	s_cmp_gt_u32 s6, 31
	s_cselect_b64 s[0:1], -1, 0
	s_cmp_lt_u32 s6, 32
	; wave barrier
	s_cbranch_scc1 .LBB280_23
; %bb.22:
	v_add_u32_e32 v3, 0xffffff00, v2
	ds_read_b64 v[3:4], v3
	s_waitcnt lgkmcnt(0)
	v_add_f32_e32 v0, v0, v3
	v_add_f32_e32 v1, v1, v4
.LBB280_23:
	s_andn2_b64 vcc, exec, s[0:1]
	; wave barrier
	s_cbranch_vccnz .LBB280_25
; %bb.24:
	ds_write_b64 v2, v[0:1]
.LBB280_25:
	s_add_u32 s0, s2, s4
	s_addc_u32 s1, s3, s5
	v_mov_b32_e32 v2, 0
	; wave barrier
	global_store_dwordx2 v2, v[0:1], s[0:1]
	s_endpgm
	.section	.rodata,"a",@progbits
	.p2align	6, 0x0
	.amdhsa_kernel _Z26warp_inclusive_scan_kernelIN10test_utils16custom_test_typeIfEELj1ELj61EENSt9enable_ifIXsr10test_utilsE35device_test_enabled_for_warp_size_vIXT1_EEEvE4typeEPT_S7_
		.amdhsa_group_segment_fixed_size 488
		.amdhsa_private_segment_fixed_size 0
		.amdhsa_kernarg_size 272
		.amdhsa_user_sgpr_count 6
		.amdhsa_user_sgpr_private_segment_buffer 1
		.amdhsa_user_sgpr_dispatch_ptr 0
		.amdhsa_user_sgpr_queue_ptr 0
		.amdhsa_user_sgpr_kernarg_segment_ptr 1
		.amdhsa_user_sgpr_dispatch_id 0
		.amdhsa_user_sgpr_flat_scratch_init 0
		.amdhsa_user_sgpr_private_segment_size 0
		.amdhsa_uses_dynamic_stack 0
		.amdhsa_system_sgpr_private_segment_wavefront_offset 0
		.amdhsa_system_sgpr_workgroup_id_x 1
		.amdhsa_system_sgpr_workgroup_id_y 0
		.amdhsa_system_sgpr_workgroup_id_z 0
		.amdhsa_system_sgpr_workgroup_info 0
		.amdhsa_system_vgpr_workitem_id 0
		.amdhsa_next_free_vgpr 5
		.amdhsa_next_free_sgpr 10
		.amdhsa_reserve_vcc 1
		.amdhsa_reserve_flat_scratch 0
		.amdhsa_float_round_mode_32 0
		.amdhsa_float_round_mode_16_64 0
		.amdhsa_float_denorm_mode_32 3
		.amdhsa_float_denorm_mode_16_64 3
		.amdhsa_dx10_clamp 1
		.amdhsa_ieee_mode 1
		.amdhsa_fp16_overflow 0
		.amdhsa_exception_fp_ieee_invalid_op 0
		.amdhsa_exception_fp_denorm_src 0
		.amdhsa_exception_fp_ieee_div_zero 0
		.amdhsa_exception_fp_ieee_overflow 0
		.amdhsa_exception_fp_ieee_underflow 0
		.amdhsa_exception_fp_ieee_inexact 0
		.amdhsa_exception_int_div_zero 0
	.end_amdhsa_kernel
	.section	.text._Z26warp_inclusive_scan_kernelIN10test_utils16custom_test_typeIfEELj1ELj61EENSt9enable_ifIXsr10test_utilsE35device_test_enabled_for_warp_size_vIXT1_EEEvE4typeEPT_S7_,"axG",@progbits,_Z26warp_inclusive_scan_kernelIN10test_utils16custom_test_typeIfEELj1ELj61EENSt9enable_ifIXsr10test_utilsE35device_test_enabled_for_warp_size_vIXT1_EEEvE4typeEPT_S7_,comdat
.Lfunc_end280:
	.size	_Z26warp_inclusive_scan_kernelIN10test_utils16custom_test_typeIfEELj1ELj61EENSt9enable_ifIXsr10test_utilsE35device_test_enabled_for_warp_size_vIXT1_EEEvE4typeEPT_S7_, .Lfunc_end280-_Z26warp_inclusive_scan_kernelIN10test_utils16custom_test_typeIfEELj1ELj61EENSt9enable_ifIXsr10test_utilsE35device_test_enabled_for_warp_size_vIXT1_EEEvE4typeEPT_S7_
                                        ; -- End function
	.set _Z26warp_inclusive_scan_kernelIN10test_utils16custom_test_typeIfEELj1ELj61EENSt9enable_ifIXsr10test_utilsE35device_test_enabled_for_warp_size_vIXT1_EEEvE4typeEPT_S7_.num_vgpr, 5
	.set _Z26warp_inclusive_scan_kernelIN10test_utils16custom_test_typeIfEELj1ELj61EENSt9enable_ifIXsr10test_utilsE35device_test_enabled_for_warp_size_vIXT1_EEEvE4typeEPT_S7_.num_agpr, 0
	.set _Z26warp_inclusive_scan_kernelIN10test_utils16custom_test_typeIfEELj1ELj61EENSt9enable_ifIXsr10test_utilsE35device_test_enabled_for_warp_size_vIXT1_EEEvE4typeEPT_S7_.numbered_sgpr, 10
	.set _Z26warp_inclusive_scan_kernelIN10test_utils16custom_test_typeIfEELj1ELj61EENSt9enable_ifIXsr10test_utilsE35device_test_enabled_for_warp_size_vIXT1_EEEvE4typeEPT_S7_.num_named_barrier, 0
	.set _Z26warp_inclusive_scan_kernelIN10test_utils16custom_test_typeIfEELj1ELj61EENSt9enable_ifIXsr10test_utilsE35device_test_enabled_for_warp_size_vIXT1_EEEvE4typeEPT_S7_.private_seg_size, 0
	.set _Z26warp_inclusive_scan_kernelIN10test_utils16custom_test_typeIfEELj1ELj61EENSt9enable_ifIXsr10test_utilsE35device_test_enabled_for_warp_size_vIXT1_EEEvE4typeEPT_S7_.uses_vcc, 1
	.set _Z26warp_inclusive_scan_kernelIN10test_utils16custom_test_typeIfEELj1ELj61EENSt9enable_ifIXsr10test_utilsE35device_test_enabled_for_warp_size_vIXT1_EEEvE4typeEPT_S7_.uses_flat_scratch, 0
	.set _Z26warp_inclusive_scan_kernelIN10test_utils16custom_test_typeIfEELj1ELj61EENSt9enable_ifIXsr10test_utilsE35device_test_enabled_for_warp_size_vIXT1_EEEvE4typeEPT_S7_.has_dyn_sized_stack, 0
	.set _Z26warp_inclusive_scan_kernelIN10test_utils16custom_test_typeIfEELj1ELj61EENSt9enable_ifIXsr10test_utilsE35device_test_enabled_for_warp_size_vIXT1_EEEvE4typeEPT_S7_.has_recursion, 0
	.set _Z26warp_inclusive_scan_kernelIN10test_utils16custom_test_typeIfEELj1ELj61EENSt9enable_ifIXsr10test_utilsE35device_test_enabled_for_warp_size_vIXT1_EEEvE4typeEPT_S7_.has_indirect_call, 0
	.section	.AMDGPU.csdata,"",@progbits
; Kernel info:
; codeLenInByte = 504
; TotalNumSgprs: 14
; NumVgprs: 5
; ScratchSize: 0
; MemoryBound: 0
; FloatMode: 240
; IeeeMode: 1
; LDSByteSize: 488 bytes/workgroup (compile time only)
; SGPRBlocks: 1
; VGPRBlocks: 1
; NumSGPRsForWavesPerEU: 14
; NumVGPRsForWavesPerEU: 5
; Occupancy: 10
; WaveLimiterHint : 0
; COMPUTE_PGM_RSRC2:SCRATCH_EN: 0
; COMPUTE_PGM_RSRC2:USER_SGPR: 6
; COMPUTE_PGM_RSRC2:TRAP_HANDLER: 0
; COMPUTE_PGM_RSRC2:TGID_X_EN: 1
; COMPUTE_PGM_RSRC2:TGID_Y_EN: 0
; COMPUTE_PGM_RSRC2:TGID_Z_EN: 0
; COMPUTE_PGM_RSRC2:TIDIG_COMP_CNT: 0
	.section	.text._Z26warp_inclusive_scan_kernelIN10test_utils16custom_test_typeIfEELj61ELj61EENSt9enable_ifIXsr10test_utilsE35device_test_enabled_for_warp_size_vIXT1_EEEvE4typeEPT_S7_,"axG",@progbits,_Z26warp_inclusive_scan_kernelIN10test_utils16custom_test_typeIfEELj61ELj61EENSt9enable_ifIXsr10test_utilsE35device_test_enabled_for_warp_size_vIXT1_EEEvE4typeEPT_S7_,comdat
	.protected	_Z26warp_inclusive_scan_kernelIN10test_utils16custom_test_typeIfEELj61ELj61EENSt9enable_ifIXsr10test_utilsE35device_test_enabled_for_warp_size_vIXT1_EEEvE4typeEPT_S7_ ; -- Begin function _Z26warp_inclusive_scan_kernelIN10test_utils16custom_test_typeIfEELj61ELj61EENSt9enable_ifIXsr10test_utilsE35device_test_enabled_for_warp_size_vIXT1_EEEvE4typeEPT_S7_
	.globl	_Z26warp_inclusive_scan_kernelIN10test_utils16custom_test_typeIfEELj61ELj61EENSt9enable_ifIXsr10test_utilsE35device_test_enabled_for_warp_size_vIXT1_EEEvE4typeEPT_S7_
	.p2align	8
	.type	_Z26warp_inclusive_scan_kernelIN10test_utils16custom_test_typeIfEELj61ELj61EENSt9enable_ifIXsr10test_utilsE35device_test_enabled_for_warp_size_vIXT1_EEEvE4typeEPT_S7_,@function
_Z26warp_inclusive_scan_kernelIN10test_utils16custom_test_typeIfEELj61ELj61EENSt9enable_ifIXsr10test_utilsE35device_test_enabled_for_warp_size_vIXT1_EEEvE4typeEPT_S7_: ; @_Z26warp_inclusive_scan_kernelIN10test_utils16custom_test_typeIfEELj61ELj61EENSt9enable_ifIXsr10test_utilsE35device_test_enabled_for_warp_size_vIXT1_EEEvE4typeEPT_S7_
; %bb.0:
	s_load_dword s7, s[4:5], 0x1c
	s_load_dwordx4 s[0:3], s[4:5], 0x0
	v_mov_b32_e32 v2, 0
	v_mbcnt_lo_u32_b32 v5, -1, 0
	v_mbcnt_hi_u32_b32 v5, -1, v5
	s_waitcnt lgkmcnt(0)
	s_and_b32 s4, s7, 0xffff
	s_mul_i32 s6, s6, s4
	v_add_u32_e32 v1, s6, v0
	v_lshlrev_b64 v[1:2], 3, v[1:2]
	v_mov_b32_e32 v4, s1
	v_add_co_u32_e32 v3, vcc, s0, v1
	v_addc_co_u32_e32 v4, vcc, v4, v2, vcc
	global_load_dwordx2 v[3:4], v[3:4], off
	s_mov_b32 s0, 0x4325c54
	v_mul_hi_u32 v6, v5, s0
	v_mul_u32_u24_e32 v0, 0x433, v0
	s_movk_i32 s0, 0x1e8
	v_lshrrev_b32_e32 v0, 16, v0
	v_mul_u32_u24_e32 v6, 61, v6
	v_sub_u32_e32 v5, v5, v6
	v_lshlrev_b32_e32 v6, 3, v5
	v_mad_u32_u24 v0, v0, s0, v6
	v_cmp_ne_u32_e32 vcc, 0, v5
	s_waitcnt vmcnt(0)
	ds_write_b64 v0, v[3:4]
	; wave barrier
	s_and_saveexec_b64 s[0:1], vcc
	s_cbranch_execz .LBB281_2
; %bb.1:
	v_add_u32_e32 v6, -8, v0
	ds_read_b64 v[6:7], v6
	s_waitcnt lgkmcnt(0)
	v_add_f32_e32 v3, v6, v3
	v_add_f32_e32 v4, v7, v4
.LBB281_2:
	s_or_b64 exec, exec, s[0:1]
	; wave barrier
	s_and_saveexec_b64 s[0:1], vcc
; %bb.3:
	ds_write_b64 v0, v[3:4]
; %bb.4:
	s_or_b64 exec, exec, s[0:1]
	v_cmp_lt_u32_e32 vcc, 1, v5
	; wave barrier
	s_and_saveexec_b64 s[0:1], vcc
	s_cbranch_execz .LBB281_6
; %bb.5:
	v_add_u32_e32 v6, -16, v0
	ds_read_b64 v[6:7], v6
	s_waitcnt lgkmcnt(0)
	v_add_f32_e32 v3, v3, v6
	v_add_f32_e32 v4, v4, v7
.LBB281_6:
	s_or_b64 exec, exec, s[0:1]
	; wave barrier
	s_and_saveexec_b64 s[0:1], vcc
; %bb.7:
	ds_write_b64 v0, v[3:4]
; %bb.8:
	s_or_b64 exec, exec, s[0:1]
	v_cmp_lt_u32_e32 vcc, 3, v5
	; wave barrier
	s_and_saveexec_b64 s[0:1], vcc
	s_cbranch_execz .LBB281_10
; %bb.9:
	v_subrev_u32_e32 v6, 32, v0
	ds_read_b64 v[6:7], v6
	s_waitcnt lgkmcnt(0)
	v_add_f32_e32 v3, v3, v6
	v_add_f32_e32 v4, v4, v7
.LBB281_10:
	s_or_b64 exec, exec, s[0:1]
	; wave barrier
	s_and_saveexec_b64 s[0:1], vcc
; %bb.11:
	ds_write_b64 v0, v[3:4]
; %bb.12:
	s_or_b64 exec, exec, s[0:1]
	v_cmp_lt_u32_e32 vcc, 7, v5
	; wave barrier
	s_and_saveexec_b64 s[0:1], vcc
	s_cbranch_execz .LBB281_14
; %bb.13:
	v_subrev_u32_e32 v6, 64, v0
	ds_read_b64 v[6:7], v6
	s_waitcnt lgkmcnt(0)
	v_add_f32_e32 v3, v3, v6
	v_add_f32_e32 v4, v4, v7
.LBB281_14:
	s_or_b64 exec, exec, s[0:1]
	; wave barrier
	s_and_saveexec_b64 s[0:1], vcc
; %bb.15:
	ds_write_b64 v0, v[3:4]
; %bb.16:
	s_or_b64 exec, exec, s[0:1]
	v_cmp_lt_u32_e32 vcc, 15, v5
	; wave barrier
	s_and_saveexec_b64 s[0:1], vcc
	s_cbranch_execz .LBB281_18
; %bb.17:
	v_add_u32_e32 v6, 0xffffff80, v0
	ds_read_b64 v[6:7], v6
	s_waitcnt lgkmcnt(0)
	v_add_f32_e32 v3, v3, v6
	v_add_f32_e32 v4, v4, v7
.LBB281_18:
	s_or_b64 exec, exec, s[0:1]
	; wave barrier
	s_and_saveexec_b64 s[0:1], vcc
; %bb.19:
	ds_write_b64 v0, v[3:4]
; %bb.20:
	s_or_b64 exec, exec, s[0:1]
	v_cmp_lt_u32_e32 vcc, 31, v5
	; wave barrier
	s_and_saveexec_b64 s[0:1], vcc
	s_cbranch_execz .LBB281_22
; %bb.21:
	v_add_u32_e32 v5, 0xffffff00, v0
	ds_read_b64 v[5:6], v5
	s_waitcnt lgkmcnt(0)
	v_add_f32_e32 v3, v3, v5
	v_add_f32_e32 v4, v4, v6
.LBB281_22:
	s_or_b64 exec, exec, s[0:1]
	; wave barrier
	s_and_saveexec_b64 s[0:1], vcc
; %bb.23:
	ds_write_b64 v0, v[3:4]
; %bb.24:
	s_or_b64 exec, exec, s[0:1]
	v_mov_b32_e32 v5, s3
	v_add_co_u32_e32 v0, vcc, s2, v1
	v_addc_co_u32_e32 v1, vcc, v5, v2, vcc
	; wave barrier
	global_store_dwordx2 v[0:1], v[3:4], off
	s_endpgm
	.section	.rodata,"a",@progbits
	.p2align	6, 0x0
	.amdhsa_kernel _Z26warp_inclusive_scan_kernelIN10test_utils16custom_test_typeIfEELj61ELj61EENSt9enable_ifIXsr10test_utilsE35device_test_enabled_for_warp_size_vIXT1_EEEvE4typeEPT_S7_
		.amdhsa_group_segment_fixed_size 488
		.amdhsa_private_segment_fixed_size 0
		.amdhsa_kernarg_size 272
		.amdhsa_user_sgpr_count 6
		.amdhsa_user_sgpr_private_segment_buffer 1
		.amdhsa_user_sgpr_dispatch_ptr 0
		.amdhsa_user_sgpr_queue_ptr 0
		.amdhsa_user_sgpr_kernarg_segment_ptr 1
		.amdhsa_user_sgpr_dispatch_id 0
		.amdhsa_user_sgpr_flat_scratch_init 0
		.amdhsa_user_sgpr_private_segment_size 0
		.amdhsa_uses_dynamic_stack 0
		.amdhsa_system_sgpr_private_segment_wavefront_offset 0
		.amdhsa_system_sgpr_workgroup_id_x 1
		.amdhsa_system_sgpr_workgroup_id_y 0
		.amdhsa_system_sgpr_workgroup_id_z 0
		.amdhsa_system_sgpr_workgroup_info 0
		.amdhsa_system_vgpr_workitem_id 0
		.amdhsa_next_free_vgpr 8
		.amdhsa_next_free_sgpr 8
		.amdhsa_reserve_vcc 1
		.amdhsa_reserve_flat_scratch 0
		.amdhsa_float_round_mode_32 0
		.amdhsa_float_round_mode_16_64 0
		.amdhsa_float_denorm_mode_32 3
		.amdhsa_float_denorm_mode_16_64 3
		.amdhsa_dx10_clamp 1
		.amdhsa_ieee_mode 1
		.amdhsa_fp16_overflow 0
		.amdhsa_exception_fp_ieee_invalid_op 0
		.amdhsa_exception_fp_denorm_src 0
		.amdhsa_exception_fp_ieee_div_zero 0
		.amdhsa_exception_fp_ieee_overflow 0
		.amdhsa_exception_fp_ieee_underflow 0
		.amdhsa_exception_fp_ieee_inexact 0
		.amdhsa_exception_int_div_zero 0
	.end_amdhsa_kernel
	.section	.text._Z26warp_inclusive_scan_kernelIN10test_utils16custom_test_typeIfEELj61ELj61EENSt9enable_ifIXsr10test_utilsE35device_test_enabled_for_warp_size_vIXT1_EEEvE4typeEPT_S7_,"axG",@progbits,_Z26warp_inclusive_scan_kernelIN10test_utils16custom_test_typeIfEELj61ELj61EENSt9enable_ifIXsr10test_utilsE35device_test_enabled_for_warp_size_vIXT1_EEEvE4typeEPT_S7_,comdat
.Lfunc_end281:
	.size	_Z26warp_inclusive_scan_kernelIN10test_utils16custom_test_typeIfEELj61ELj61EENSt9enable_ifIXsr10test_utilsE35device_test_enabled_for_warp_size_vIXT1_EEEvE4typeEPT_S7_, .Lfunc_end281-_Z26warp_inclusive_scan_kernelIN10test_utils16custom_test_typeIfEELj61ELj61EENSt9enable_ifIXsr10test_utilsE35device_test_enabled_for_warp_size_vIXT1_EEEvE4typeEPT_S7_
                                        ; -- End function
	.set _Z26warp_inclusive_scan_kernelIN10test_utils16custom_test_typeIfEELj61ELj61EENSt9enable_ifIXsr10test_utilsE35device_test_enabled_for_warp_size_vIXT1_EEEvE4typeEPT_S7_.num_vgpr, 8
	.set _Z26warp_inclusive_scan_kernelIN10test_utils16custom_test_typeIfEELj61ELj61EENSt9enable_ifIXsr10test_utilsE35device_test_enabled_for_warp_size_vIXT1_EEEvE4typeEPT_S7_.num_agpr, 0
	.set _Z26warp_inclusive_scan_kernelIN10test_utils16custom_test_typeIfEELj61ELj61EENSt9enable_ifIXsr10test_utilsE35device_test_enabled_for_warp_size_vIXT1_EEEvE4typeEPT_S7_.numbered_sgpr, 8
	.set _Z26warp_inclusive_scan_kernelIN10test_utils16custom_test_typeIfEELj61ELj61EENSt9enable_ifIXsr10test_utilsE35device_test_enabled_for_warp_size_vIXT1_EEEvE4typeEPT_S7_.num_named_barrier, 0
	.set _Z26warp_inclusive_scan_kernelIN10test_utils16custom_test_typeIfEELj61ELj61EENSt9enable_ifIXsr10test_utilsE35device_test_enabled_for_warp_size_vIXT1_EEEvE4typeEPT_S7_.private_seg_size, 0
	.set _Z26warp_inclusive_scan_kernelIN10test_utils16custom_test_typeIfEELj61ELj61EENSt9enable_ifIXsr10test_utilsE35device_test_enabled_for_warp_size_vIXT1_EEEvE4typeEPT_S7_.uses_vcc, 1
	.set _Z26warp_inclusive_scan_kernelIN10test_utils16custom_test_typeIfEELj61ELj61EENSt9enable_ifIXsr10test_utilsE35device_test_enabled_for_warp_size_vIXT1_EEEvE4typeEPT_S7_.uses_flat_scratch, 0
	.set _Z26warp_inclusive_scan_kernelIN10test_utils16custom_test_typeIfEELj61ELj61EENSt9enable_ifIXsr10test_utilsE35device_test_enabled_for_warp_size_vIXT1_EEEvE4typeEPT_S7_.has_dyn_sized_stack, 0
	.set _Z26warp_inclusive_scan_kernelIN10test_utils16custom_test_typeIfEELj61ELj61EENSt9enable_ifIXsr10test_utilsE35device_test_enabled_for_warp_size_vIXT1_EEEvE4typeEPT_S7_.has_recursion, 0
	.set _Z26warp_inclusive_scan_kernelIN10test_utils16custom_test_typeIfEELj61ELj61EENSt9enable_ifIXsr10test_utilsE35device_test_enabled_for_warp_size_vIXT1_EEEvE4typeEPT_S7_.has_indirect_call, 0
	.section	.AMDGPU.csdata,"",@progbits
; Kernel info:
; codeLenInByte = 516
; TotalNumSgprs: 12
; NumVgprs: 8
; ScratchSize: 0
; MemoryBound: 0
; FloatMode: 240
; IeeeMode: 1
; LDSByteSize: 488 bytes/workgroup (compile time only)
; SGPRBlocks: 1
; VGPRBlocks: 1
; NumSGPRsForWavesPerEU: 12
; NumVGPRsForWavesPerEU: 8
; Occupancy: 10
; WaveLimiterHint : 0
; COMPUTE_PGM_RSRC2:SCRATCH_EN: 0
; COMPUTE_PGM_RSRC2:USER_SGPR: 6
; COMPUTE_PGM_RSRC2:TRAP_HANDLER: 0
; COMPUTE_PGM_RSRC2:TGID_X_EN: 1
; COMPUTE_PGM_RSRC2:TGID_Y_EN: 0
; COMPUTE_PGM_RSRC2:TGID_Z_EN: 0
; COMPUTE_PGM_RSRC2:TIDIG_COMP_CNT: 0
	.section	.text._Z26warp_inclusive_scan_kernelIN10test_utils16custom_test_typeIfEELj1ELj37EENSt9enable_ifIXsr10test_utilsE35device_test_enabled_for_warp_size_vIXT1_EEEvE4typeEPT_S7_,"axG",@progbits,_Z26warp_inclusive_scan_kernelIN10test_utils16custom_test_typeIfEELj1ELj37EENSt9enable_ifIXsr10test_utilsE35device_test_enabled_for_warp_size_vIXT1_EEEvE4typeEPT_S7_,comdat
	.protected	_Z26warp_inclusive_scan_kernelIN10test_utils16custom_test_typeIfEELj1ELj37EENSt9enable_ifIXsr10test_utilsE35device_test_enabled_for_warp_size_vIXT1_EEEvE4typeEPT_S7_ ; -- Begin function _Z26warp_inclusive_scan_kernelIN10test_utils16custom_test_typeIfEELj1ELj37EENSt9enable_ifIXsr10test_utilsE35device_test_enabled_for_warp_size_vIXT1_EEEvE4typeEPT_S7_
	.globl	_Z26warp_inclusive_scan_kernelIN10test_utils16custom_test_typeIfEELj1ELj37EENSt9enable_ifIXsr10test_utilsE35device_test_enabled_for_warp_size_vIXT1_EEEvE4typeEPT_S7_
	.p2align	8
	.type	_Z26warp_inclusive_scan_kernelIN10test_utils16custom_test_typeIfEELj1ELj37EENSt9enable_ifIXsr10test_utilsE35device_test_enabled_for_warp_size_vIXT1_EEEvE4typeEPT_S7_,@function
_Z26warp_inclusive_scan_kernelIN10test_utils16custom_test_typeIfEELj1ELj37EENSt9enable_ifIXsr10test_utilsE35device_test_enabled_for_warp_size_vIXT1_EEEvE4typeEPT_S7_: ; @_Z26warp_inclusive_scan_kernelIN10test_utils16custom_test_typeIfEELj1ELj37EENSt9enable_ifIXsr10test_utilsE35device_test_enabled_for_warp_size_vIXT1_EEEvE4typeEPT_S7_
; %bb.0:
	s_load_dword s7, s[4:5], 0x1c
	s_load_dwordx4 s[0:3], s[4:5], 0x0
	s_mov_b32 s5, 0
	v_mbcnt_lo_u32_b32 v0, -1, 0
	v_mbcnt_hi_u32_b32 v0, -1, v0
	s_waitcnt lgkmcnt(0)
	s_and_b32 s4, s7, 0xffff
	s_mul_i32 s4, s6, s4
	s_lshl_b64 s[4:5], s[4:5], 3
	s_mov_b32 s6, 0x6eb3e46
	v_mul_hi_u32 v1, v0, s6
	s_add_u32 s6, s0, s4
	s_addc_u32 s7, s1, s5
	s_load_dwordx2 s[0:1], s[6:7], 0x0
	v_mul_u32_u24_e32 v1, 37, v1
	v_sub_u32_e32 v3, v0, v1
	v_cmp_eq_u32_e32 vcc, 0, v3
	v_readfirstlane_b32 s6, v3
	s_waitcnt lgkmcnt(0)
	v_mov_b32_e32 v0, s0
	v_lshlrev_b32_e32 v2, 3, v3
	v_mov_b32_e32 v1, s1
	s_and_b64 s[8:9], vcc, exec
	v_cmp_ne_u32_e32 vcc, 0, v3
	ds_write_b64 v2, v[0:1]
	; wave barrier
	s_cbranch_scc1 .LBB282_2
; %bb.1:
	v_add_u32_e32 v0, -8, v2
	ds_read_b64 v[0:1], v0
	s_waitcnt lgkmcnt(0)
	v_add_f32_e32 v0, s0, v0
	v_add_f32_e32 v1, s1, v1
	s_branch .LBB282_3
.LBB282_2:
	v_mov_b32_e32 v1, s1
	v_mov_b32_e32 v0, s0
.LBB282_3:
	s_andn2_b64 vcc, exec, vcc
	; wave barrier
	s_cbranch_vccnz .LBB282_5
; %bb.4:
	ds_write_b64 v2, v[0:1]
.LBB282_5:
	s_cmp_gt_u32 s6, 1
	s_cselect_b64 s[0:1], -1, 0
	s_cmp_lt_u32 s6, 2
	; wave barrier
	s_cbranch_scc1 .LBB282_7
; %bb.6:
	v_add_u32_e32 v3, -16, v2
	ds_read_b64 v[3:4], v3
	s_waitcnt lgkmcnt(0)
	v_add_f32_e32 v0, v0, v3
	v_add_f32_e32 v1, v1, v4
.LBB282_7:
	s_andn2_b64 vcc, exec, s[0:1]
	; wave barrier
	s_cbranch_vccnz .LBB282_9
; %bb.8:
	ds_write_b64 v2, v[0:1]
.LBB282_9:
	s_cmp_gt_u32 s6, 3
	s_cselect_b64 s[0:1], -1, 0
	s_cmp_lt_u32 s6, 4
	; wave barrier
	s_cbranch_scc1 .LBB282_11
; %bb.10:
	v_subrev_u32_e32 v3, 32, v2
	ds_read_b64 v[3:4], v3
	s_waitcnt lgkmcnt(0)
	v_add_f32_e32 v0, v0, v3
	v_add_f32_e32 v1, v1, v4
.LBB282_11:
	s_andn2_b64 vcc, exec, s[0:1]
	; wave barrier
	s_cbranch_vccnz .LBB282_13
; %bb.12:
	ds_write_b64 v2, v[0:1]
.LBB282_13:
	s_cmp_gt_u32 s6, 7
	s_cselect_b64 s[0:1], -1, 0
	s_cmp_lt_u32 s6, 8
	; wave barrier
	s_cbranch_scc1 .LBB282_15
; %bb.14:
	v_subrev_u32_e32 v3, 64, v2
	ds_read_b64 v[3:4], v3
	s_waitcnt lgkmcnt(0)
	v_add_f32_e32 v0, v0, v3
	v_add_f32_e32 v1, v1, v4
.LBB282_15:
	s_andn2_b64 vcc, exec, s[0:1]
	; wave barrier
	s_cbranch_vccnz .LBB282_17
; %bb.16:
	ds_write_b64 v2, v[0:1]
.LBB282_17:
	s_cmp_gt_u32 s6, 15
	s_cselect_b64 s[0:1], -1, 0
	s_cmp_lt_u32 s6, 16
	; wave barrier
	s_cbranch_scc1 .LBB282_19
; %bb.18:
	v_add_u32_e32 v3, 0xffffff80, v2
	ds_read_b64 v[3:4], v3
	s_waitcnt lgkmcnt(0)
	v_add_f32_e32 v0, v0, v3
	v_add_f32_e32 v1, v1, v4
.LBB282_19:
	s_andn2_b64 vcc, exec, s[0:1]
	; wave barrier
	s_cbranch_vccnz .LBB282_21
; %bb.20:
	ds_write_b64 v2, v[0:1]
.LBB282_21:
	s_cmp_gt_u32 s6, 31
	s_cselect_b64 s[0:1], -1, 0
	s_cmp_lt_u32 s6, 32
	; wave barrier
	s_cbranch_scc1 .LBB282_23
; %bb.22:
	v_add_u32_e32 v3, 0xffffff00, v2
	ds_read_b64 v[3:4], v3
	s_waitcnt lgkmcnt(0)
	v_add_f32_e32 v0, v0, v3
	v_add_f32_e32 v1, v1, v4
.LBB282_23:
	s_andn2_b64 vcc, exec, s[0:1]
	; wave barrier
	s_cbranch_vccnz .LBB282_25
; %bb.24:
	ds_write_b64 v2, v[0:1]
.LBB282_25:
	s_add_u32 s0, s2, s4
	s_addc_u32 s1, s3, s5
	v_mov_b32_e32 v2, 0
	; wave barrier
	global_store_dwordx2 v2, v[0:1], s[0:1]
	s_endpgm
	.section	.rodata,"a",@progbits
	.p2align	6, 0x0
	.amdhsa_kernel _Z26warp_inclusive_scan_kernelIN10test_utils16custom_test_typeIfEELj1ELj37EENSt9enable_ifIXsr10test_utilsE35device_test_enabled_for_warp_size_vIXT1_EEEvE4typeEPT_S7_
		.amdhsa_group_segment_fixed_size 296
		.amdhsa_private_segment_fixed_size 0
		.amdhsa_kernarg_size 272
		.amdhsa_user_sgpr_count 6
		.amdhsa_user_sgpr_private_segment_buffer 1
		.amdhsa_user_sgpr_dispatch_ptr 0
		.amdhsa_user_sgpr_queue_ptr 0
		.amdhsa_user_sgpr_kernarg_segment_ptr 1
		.amdhsa_user_sgpr_dispatch_id 0
		.amdhsa_user_sgpr_flat_scratch_init 0
		.amdhsa_user_sgpr_private_segment_size 0
		.amdhsa_uses_dynamic_stack 0
		.amdhsa_system_sgpr_private_segment_wavefront_offset 0
		.amdhsa_system_sgpr_workgroup_id_x 1
		.amdhsa_system_sgpr_workgroup_id_y 0
		.amdhsa_system_sgpr_workgroup_id_z 0
		.amdhsa_system_sgpr_workgroup_info 0
		.amdhsa_system_vgpr_workitem_id 0
		.amdhsa_next_free_vgpr 5
		.amdhsa_next_free_sgpr 10
		.amdhsa_reserve_vcc 1
		.amdhsa_reserve_flat_scratch 0
		.amdhsa_float_round_mode_32 0
		.amdhsa_float_round_mode_16_64 0
		.amdhsa_float_denorm_mode_32 3
		.amdhsa_float_denorm_mode_16_64 3
		.amdhsa_dx10_clamp 1
		.amdhsa_ieee_mode 1
		.amdhsa_fp16_overflow 0
		.amdhsa_exception_fp_ieee_invalid_op 0
		.amdhsa_exception_fp_denorm_src 0
		.amdhsa_exception_fp_ieee_div_zero 0
		.amdhsa_exception_fp_ieee_overflow 0
		.amdhsa_exception_fp_ieee_underflow 0
		.amdhsa_exception_fp_ieee_inexact 0
		.amdhsa_exception_int_div_zero 0
	.end_amdhsa_kernel
	.section	.text._Z26warp_inclusive_scan_kernelIN10test_utils16custom_test_typeIfEELj1ELj37EENSt9enable_ifIXsr10test_utilsE35device_test_enabled_for_warp_size_vIXT1_EEEvE4typeEPT_S7_,"axG",@progbits,_Z26warp_inclusive_scan_kernelIN10test_utils16custom_test_typeIfEELj1ELj37EENSt9enable_ifIXsr10test_utilsE35device_test_enabled_for_warp_size_vIXT1_EEEvE4typeEPT_S7_,comdat
.Lfunc_end282:
	.size	_Z26warp_inclusive_scan_kernelIN10test_utils16custom_test_typeIfEELj1ELj37EENSt9enable_ifIXsr10test_utilsE35device_test_enabled_for_warp_size_vIXT1_EEEvE4typeEPT_S7_, .Lfunc_end282-_Z26warp_inclusive_scan_kernelIN10test_utils16custom_test_typeIfEELj1ELj37EENSt9enable_ifIXsr10test_utilsE35device_test_enabled_for_warp_size_vIXT1_EEEvE4typeEPT_S7_
                                        ; -- End function
	.set _Z26warp_inclusive_scan_kernelIN10test_utils16custom_test_typeIfEELj1ELj37EENSt9enable_ifIXsr10test_utilsE35device_test_enabled_for_warp_size_vIXT1_EEEvE4typeEPT_S7_.num_vgpr, 5
	.set _Z26warp_inclusive_scan_kernelIN10test_utils16custom_test_typeIfEELj1ELj37EENSt9enable_ifIXsr10test_utilsE35device_test_enabled_for_warp_size_vIXT1_EEEvE4typeEPT_S7_.num_agpr, 0
	.set _Z26warp_inclusive_scan_kernelIN10test_utils16custom_test_typeIfEELj1ELj37EENSt9enable_ifIXsr10test_utilsE35device_test_enabled_for_warp_size_vIXT1_EEEvE4typeEPT_S7_.numbered_sgpr, 10
	.set _Z26warp_inclusive_scan_kernelIN10test_utils16custom_test_typeIfEELj1ELj37EENSt9enable_ifIXsr10test_utilsE35device_test_enabled_for_warp_size_vIXT1_EEEvE4typeEPT_S7_.num_named_barrier, 0
	.set _Z26warp_inclusive_scan_kernelIN10test_utils16custom_test_typeIfEELj1ELj37EENSt9enable_ifIXsr10test_utilsE35device_test_enabled_for_warp_size_vIXT1_EEEvE4typeEPT_S7_.private_seg_size, 0
	.set _Z26warp_inclusive_scan_kernelIN10test_utils16custom_test_typeIfEELj1ELj37EENSt9enable_ifIXsr10test_utilsE35device_test_enabled_for_warp_size_vIXT1_EEEvE4typeEPT_S7_.uses_vcc, 1
	.set _Z26warp_inclusive_scan_kernelIN10test_utils16custom_test_typeIfEELj1ELj37EENSt9enable_ifIXsr10test_utilsE35device_test_enabled_for_warp_size_vIXT1_EEEvE4typeEPT_S7_.uses_flat_scratch, 0
	.set _Z26warp_inclusive_scan_kernelIN10test_utils16custom_test_typeIfEELj1ELj37EENSt9enable_ifIXsr10test_utilsE35device_test_enabled_for_warp_size_vIXT1_EEEvE4typeEPT_S7_.has_dyn_sized_stack, 0
	.set _Z26warp_inclusive_scan_kernelIN10test_utils16custom_test_typeIfEELj1ELj37EENSt9enable_ifIXsr10test_utilsE35device_test_enabled_for_warp_size_vIXT1_EEEvE4typeEPT_S7_.has_recursion, 0
	.set _Z26warp_inclusive_scan_kernelIN10test_utils16custom_test_typeIfEELj1ELj37EENSt9enable_ifIXsr10test_utilsE35device_test_enabled_for_warp_size_vIXT1_EEEvE4typeEPT_S7_.has_indirect_call, 0
	.section	.AMDGPU.csdata,"",@progbits
; Kernel info:
; codeLenInByte = 504
; TotalNumSgprs: 14
; NumVgprs: 5
; ScratchSize: 0
; MemoryBound: 0
; FloatMode: 240
; IeeeMode: 1
; LDSByteSize: 296 bytes/workgroup (compile time only)
; SGPRBlocks: 1
; VGPRBlocks: 1
; NumSGPRsForWavesPerEU: 14
; NumVGPRsForWavesPerEU: 5
; Occupancy: 10
; WaveLimiterHint : 0
; COMPUTE_PGM_RSRC2:SCRATCH_EN: 0
; COMPUTE_PGM_RSRC2:USER_SGPR: 6
; COMPUTE_PGM_RSRC2:TRAP_HANDLER: 0
; COMPUTE_PGM_RSRC2:TGID_X_EN: 1
; COMPUTE_PGM_RSRC2:TGID_Y_EN: 0
; COMPUTE_PGM_RSRC2:TGID_Z_EN: 0
; COMPUTE_PGM_RSRC2:TIDIG_COMP_CNT: 0
	.section	.text._Z26warp_inclusive_scan_kernelIN10test_utils16custom_test_typeIfEELj37ELj37EENSt9enable_ifIXsr10test_utilsE35device_test_enabled_for_warp_size_vIXT1_EEEvE4typeEPT_S7_,"axG",@progbits,_Z26warp_inclusive_scan_kernelIN10test_utils16custom_test_typeIfEELj37ELj37EENSt9enable_ifIXsr10test_utilsE35device_test_enabled_for_warp_size_vIXT1_EEEvE4typeEPT_S7_,comdat
	.protected	_Z26warp_inclusive_scan_kernelIN10test_utils16custom_test_typeIfEELj37ELj37EENSt9enable_ifIXsr10test_utilsE35device_test_enabled_for_warp_size_vIXT1_EEEvE4typeEPT_S7_ ; -- Begin function _Z26warp_inclusive_scan_kernelIN10test_utils16custom_test_typeIfEELj37ELj37EENSt9enable_ifIXsr10test_utilsE35device_test_enabled_for_warp_size_vIXT1_EEEvE4typeEPT_S7_
	.globl	_Z26warp_inclusive_scan_kernelIN10test_utils16custom_test_typeIfEELj37ELj37EENSt9enable_ifIXsr10test_utilsE35device_test_enabled_for_warp_size_vIXT1_EEEvE4typeEPT_S7_
	.p2align	8
	.type	_Z26warp_inclusive_scan_kernelIN10test_utils16custom_test_typeIfEELj37ELj37EENSt9enable_ifIXsr10test_utilsE35device_test_enabled_for_warp_size_vIXT1_EEEvE4typeEPT_S7_,@function
_Z26warp_inclusive_scan_kernelIN10test_utils16custom_test_typeIfEELj37ELj37EENSt9enable_ifIXsr10test_utilsE35device_test_enabled_for_warp_size_vIXT1_EEEvE4typeEPT_S7_: ; @_Z26warp_inclusive_scan_kernelIN10test_utils16custom_test_typeIfEELj37ELj37EENSt9enable_ifIXsr10test_utilsE35device_test_enabled_for_warp_size_vIXT1_EEEvE4typeEPT_S7_
; %bb.0:
	s_load_dword s7, s[4:5], 0x1c
	s_load_dwordx4 s[0:3], s[4:5], 0x0
	v_mov_b32_e32 v2, 0
	v_mbcnt_lo_u32_b32 v5, -1, 0
	v_mbcnt_hi_u32_b32 v5, -1, v5
	s_waitcnt lgkmcnt(0)
	s_and_b32 s4, s7, 0xffff
	s_mul_i32 s6, s6, s4
	v_add_u32_e32 v1, s6, v0
	v_lshlrev_b64 v[1:2], 3, v[1:2]
	v_mov_b32_e32 v4, s1
	v_add_co_u32_e32 v3, vcc, s0, v1
	v_addc_co_u32_e32 v4, vcc, v4, v2, vcc
	global_load_dwordx2 v[3:4], v[3:4], off
	s_mov_b32 s0, 0x6eb3e46
	v_mul_hi_u32 v6, v5, s0
	v_mul_u32_u24_e32 v0, 0x6ec, v0
	s_movk_i32 s0, 0x128
	v_lshrrev_b32_e32 v0, 16, v0
	v_mul_u32_u24_e32 v6, 37, v6
	v_sub_u32_e32 v5, v5, v6
	v_lshlrev_b32_e32 v6, 3, v5
	v_mad_u32_u24 v0, v0, s0, v6
	v_cmp_ne_u32_e32 vcc, 0, v5
	s_waitcnt vmcnt(0)
	ds_write_b64 v0, v[3:4]
	; wave barrier
	s_and_saveexec_b64 s[0:1], vcc
	s_cbranch_execz .LBB283_2
; %bb.1:
	v_add_u32_e32 v6, -8, v0
	ds_read_b64 v[6:7], v6
	s_waitcnt lgkmcnt(0)
	v_add_f32_e32 v3, v6, v3
	v_add_f32_e32 v4, v7, v4
.LBB283_2:
	s_or_b64 exec, exec, s[0:1]
	; wave barrier
	s_and_saveexec_b64 s[0:1], vcc
; %bb.3:
	ds_write_b64 v0, v[3:4]
; %bb.4:
	s_or_b64 exec, exec, s[0:1]
	v_cmp_lt_u32_e32 vcc, 1, v5
	; wave barrier
	s_and_saveexec_b64 s[0:1], vcc
	s_cbranch_execz .LBB283_6
; %bb.5:
	v_add_u32_e32 v6, -16, v0
	ds_read_b64 v[6:7], v6
	s_waitcnt lgkmcnt(0)
	v_add_f32_e32 v3, v3, v6
	v_add_f32_e32 v4, v4, v7
.LBB283_6:
	s_or_b64 exec, exec, s[0:1]
	; wave barrier
	s_and_saveexec_b64 s[0:1], vcc
; %bb.7:
	ds_write_b64 v0, v[3:4]
; %bb.8:
	s_or_b64 exec, exec, s[0:1]
	v_cmp_lt_u32_e32 vcc, 3, v5
	; wave barrier
	s_and_saveexec_b64 s[0:1], vcc
	s_cbranch_execz .LBB283_10
; %bb.9:
	v_subrev_u32_e32 v6, 32, v0
	ds_read_b64 v[6:7], v6
	s_waitcnt lgkmcnt(0)
	v_add_f32_e32 v3, v3, v6
	v_add_f32_e32 v4, v4, v7
.LBB283_10:
	s_or_b64 exec, exec, s[0:1]
	; wave barrier
	s_and_saveexec_b64 s[0:1], vcc
; %bb.11:
	ds_write_b64 v0, v[3:4]
; %bb.12:
	s_or_b64 exec, exec, s[0:1]
	v_cmp_lt_u32_e32 vcc, 7, v5
	; wave barrier
	s_and_saveexec_b64 s[0:1], vcc
	s_cbranch_execz .LBB283_14
; %bb.13:
	v_subrev_u32_e32 v6, 64, v0
	ds_read_b64 v[6:7], v6
	s_waitcnt lgkmcnt(0)
	v_add_f32_e32 v3, v3, v6
	v_add_f32_e32 v4, v4, v7
.LBB283_14:
	s_or_b64 exec, exec, s[0:1]
	; wave barrier
	s_and_saveexec_b64 s[0:1], vcc
; %bb.15:
	ds_write_b64 v0, v[3:4]
; %bb.16:
	s_or_b64 exec, exec, s[0:1]
	v_cmp_lt_u32_e32 vcc, 15, v5
	; wave barrier
	s_and_saveexec_b64 s[0:1], vcc
	s_cbranch_execz .LBB283_18
; %bb.17:
	v_add_u32_e32 v6, 0xffffff80, v0
	ds_read_b64 v[6:7], v6
	s_waitcnt lgkmcnt(0)
	v_add_f32_e32 v3, v3, v6
	v_add_f32_e32 v4, v4, v7
.LBB283_18:
	s_or_b64 exec, exec, s[0:1]
	; wave barrier
	s_and_saveexec_b64 s[0:1], vcc
; %bb.19:
	ds_write_b64 v0, v[3:4]
; %bb.20:
	s_or_b64 exec, exec, s[0:1]
	v_cmp_lt_u32_e32 vcc, 31, v5
	; wave barrier
	s_and_saveexec_b64 s[0:1], vcc
	s_cbranch_execz .LBB283_22
; %bb.21:
	v_add_u32_e32 v5, 0xffffff00, v0
	ds_read_b64 v[5:6], v5
	s_waitcnt lgkmcnt(0)
	v_add_f32_e32 v3, v3, v5
	v_add_f32_e32 v4, v4, v6
.LBB283_22:
	s_or_b64 exec, exec, s[0:1]
	; wave barrier
	s_and_saveexec_b64 s[0:1], vcc
; %bb.23:
	ds_write_b64 v0, v[3:4]
; %bb.24:
	s_or_b64 exec, exec, s[0:1]
	v_mov_b32_e32 v5, s3
	v_add_co_u32_e32 v0, vcc, s2, v1
	v_addc_co_u32_e32 v1, vcc, v5, v2, vcc
	; wave barrier
	global_store_dwordx2 v[0:1], v[3:4], off
	s_endpgm
	.section	.rodata,"a",@progbits
	.p2align	6, 0x0
	.amdhsa_kernel _Z26warp_inclusive_scan_kernelIN10test_utils16custom_test_typeIfEELj37ELj37EENSt9enable_ifIXsr10test_utilsE35device_test_enabled_for_warp_size_vIXT1_EEEvE4typeEPT_S7_
		.amdhsa_group_segment_fixed_size 296
		.amdhsa_private_segment_fixed_size 0
		.amdhsa_kernarg_size 272
		.amdhsa_user_sgpr_count 6
		.amdhsa_user_sgpr_private_segment_buffer 1
		.amdhsa_user_sgpr_dispatch_ptr 0
		.amdhsa_user_sgpr_queue_ptr 0
		.amdhsa_user_sgpr_kernarg_segment_ptr 1
		.amdhsa_user_sgpr_dispatch_id 0
		.amdhsa_user_sgpr_flat_scratch_init 0
		.amdhsa_user_sgpr_private_segment_size 0
		.amdhsa_uses_dynamic_stack 0
		.amdhsa_system_sgpr_private_segment_wavefront_offset 0
		.amdhsa_system_sgpr_workgroup_id_x 1
		.amdhsa_system_sgpr_workgroup_id_y 0
		.amdhsa_system_sgpr_workgroup_id_z 0
		.amdhsa_system_sgpr_workgroup_info 0
		.amdhsa_system_vgpr_workitem_id 0
		.amdhsa_next_free_vgpr 8
		.amdhsa_next_free_sgpr 8
		.amdhsa_reserve_vcc 1
		.amdhsa_reserve_flat_scratch 0
		.amdhsa_float_round_mode_32 0
		.amdhsa_float_round_mode_16_64 0
		.amdhsa_float_denorm_mode_32 3
		.amdhsa_float_denorm_mode_16_64 3
		.amdhsa_dx10_clamp 1
		.amdhsa_ieee_mode 1
		.amdhsa_fp16_overflow 0
		.amdhsa_exception_fp_ieee_invalid_op 0
		.amdhsa_exception_fp_denorm_src 0
		.amdhsa_exception_fp_ieee_div_zero 0
		.amdhsa_exception_fp_ieee_overflow 0
		.amdhsa_exception_fp_ieee_underflow 0
		.amdhsa_exception_fp_ieee_inexact 0
		.amdhsa_exception_int_div_zero 0
	.end_amdhsa_kernel
	.section	.text._Z26warp_inclusive_scan_kernelIN10test_utils16custom_test_typeIfEELj37ELj37EENSt9enable_ifIXsr10test_utilsE35device_test_enabled_for_warp_size_vIXT1_EEEvE4typeEPT_S7_,"axG",@progbits,_Z26warp_inclusive_scan_kernelIN10test_utils16custom_test_typeIfEELj37ELj37EENSt9enable_ifIXsr10test_utilsE35device_test_enabled_for_warp_size_vIXT1_EEEvE4typeEPT_S7_,comdat
.Lfunc_end283:
	.size	_Z26warp_inclusive_scan_kernelIN10test_utils16custom_test_typeIfEELj37ELj37EENSt9enable_ifIXsr10test_utilsE35device_test_enabled_for_warp_size_vIXT1_EEEvE4typeEPT_S7_, .Lfunc_end283-_Z26warp_inclusive_scan_kernelIN10test_utils16custom_test_typeIfEELj37ELj37EENSt9enable_ifIXsr10test_utilsE35device_test_enabled_for_warp_size_vIXT1_EEEvE4typeEPT_S7_
                                        ; -- End function
	.set _Z26warp_inclusive_scan_kernelIN10test_utils16custom_test_typeIfEELj37ELj37EENSt9enable_ifIXsr10test_utilsE35device_test_enabled_for_warp_size_vIXT1_EEEvE4typeEPT_S7_.num_vgpr, 8
	.set _Z26warp_inclusive_scan_kernelIN10test_utils16custom_test_typeIfEELj37ELj37EENSt9enable_ifIXsr10test_utilsE35device_test_enabled_for_warp_size_vIXT1_EEEvE4typeEPT_S7_.num_agpr, 0
	.set _Z26warp_inclusive_scan_kernelIN10test_utils16custom_test_typeIfEELj37ELj37EENSt9enable_ifIXsr10test_utilsE35device_test_enabled_for_warp_size_vIXT1_EEEvE4typeEPT_S7_.numbered_sgpr, 8
	.set _Z26warp_inclusive_scan_kernelIN10test_utils16custom_test_typeIfEELj37ELj37EENSt9enable_ifIXsr10test_utilsE35device_test_enabled_for_warp_size_vIXT1_EEEvE4typeEPT_S7_.num_named_barrier, 0
	.set _Z26warp_inclusive_scan_kernelIN10test_utils16custom_test_typeIfEELj37ELj37EENSt9enable_ifIXsr10test_utilsE35device_test_enabled_for_warp_size_vIXT1_EEEvE4typeEPT_S7_.private_seg_size, 0
	.set _Z26warp_inclusive_scan_kernelIN10test_utils16custom_test_typeIfEELj37ELj37EENSt9enable_ifIXsr10test_utilsE35device_test_enabled_for_warp_size_vIXT1_EEEvE4typeEPT_S7_.uses_vcc, 1
	.set _Z26warp_inclusive_scan_kernelIN10test_utils16custom_test_typeIfEELj37ELj37EENSt9enable_ifIXsr10test_utilsE35device_test_enabled_for_warp_size_vIXT1_EEEvE4typeEPT_S7_.uses_flat_scratch, 0
	.set _Z26warp_inclusive_scan_kernelIN10test_utils16custom_test_typeIfEELj37ELj37EENSt9enable_ifIXsr10test_utilsE35device_test_enabled_for_warp_size_vIXT1_EEEvE4typeEPT_S7_.has_dyn_sized_stack, 0
	.set _Z26warp_inclusive_scan_kernelIN10test_utils16custom_test_typeIfEELj37ELj37EENSt9enable_ifIXsr10test_utilsE35device_test_enabled_for_warp_size_vIXT1_EEEvE4typeEPT_S7_.has_recursion, 0
	.set _Z26warp_inclusive_scan_kernelIN10test_utils16custom_test_typeIfEELj37ELj37EENSt9enable_ifIXsr10test_utilsE35device_test_enabled_for_warp_size_vIXT1_EEEvE4typeEPT_S7_.has_indirect_call, 0
	.section	.AMDGPU.csdata,"",@progbits
; Kernel info:
; codeLenInByte = 516
; TotalNumSgprs: 12
; NumVgprs: 8
; ScratchSize: 0
; MemoryBound: 0
; FloatMode: 240
; IeeeMode: 1
; LDSByteSize: 296 bytes/workgroup (compile time only)
; SGPRBlocks: 1
; VGPRBlocks: 1
; NumSGPRsForWavesPerEU: 12
; NumVGPRsForWavesPerEU: 8
; Occupancy: 10
; WaveLimiterHint : 0
; COMPUTE_PGM_RSRC2:SCRATCH_EN: 0
; COMPUTE_PGM_RSRC2:USER_SGPR: 6
; COMPUTE_PGM_RSRC2:TRAP_HANDLER: 0
; COMPUTE_PGM_RSRC2:TGID_X_EN: 1
; COMPUTE_PGM_RSRC2:TGID_Y_EN: 0
; COMPUTE_PGM_RSRC2:TGID_Z_EN: 0
; COMPUTE_PGM_RSRC2:TIDIG_COMP_CNT: 0
	.section	.text._Z26warp_inclusive_scan_kernelIN10test_utils16custom_test_typeIfEELj30ELj15EENSt9enable_ifIXsr10test_utilsE35device_test_enabled_for_warp_size_vIXT1_EEEvE4typeEPT_S7_,"axG",@progbits,_Z26warp_inclusive_scan_kernelIN10test_utils16custom_test_typeIfEELj30ELj15EENSt9enable_ifIXsr10test_utilsE35device_test_enabled_for_warp_size_vIXT1_EEEvE4typeEPT_S7_,comdat
	.protected	_Z26warp_inclusive_scan_kernelIN10test_utils16custom_test_typeIfEELj30ELj15EENSt9enable_ifIXsr10test_utilsE35device_test_enabled_for_warp_size_vIXT1_EEEvE4typeEPT_S7_ ; -- Begin function _Z26warp_inclusive_scan_kernelIN10test_utils16custom_test_typeIfEELj30ELj15EENSt9enable_ifIXsr10test_utilsE35device_test_enabled_for_warp_size_vIXT1_EEEvE4typeEPT_S7_
	.globl	_Z26warp_inclusive_scan_kernelIN10test_utils16custom_test_typeIfEELj30ELj15EENSt9enable_ifIXsr10test_utilsE35device_test_enabled_for_warp_size_vIXT1_EEEvE4typeEPT_S7_
	.p2align	8
	.type	_Z26warp_inclusive_scan_kernelIN10test_utils16custom_test_typeIfEELj30ELj15EENSt9enable_ifIXsr10test_utilsE35device_test_enabled_for_warp_size_vIXT1_EEEvE4typeEPT_S7_,@function
_Z26warp_inclusive_scan_kernelIN10test_utils16custom_test_typeIfEELj30ELj15EENSt9enable_ifIXsr10test_utilsE35device_test_enabled_for_warp_size_vIXT1_EEEvE4typeEPT_S7_: ; @_Z26warp_inclusive_scan_kernelIN10test_utils16custom_test_typeIfEELj30ELj15EENSt9enable_ifIXsr10test_utilsE35device_test_enabled_for_warp_size_vIXT1_EEEvE4typeEPT_S7_
; %bb.0:
	s_load_dword s7, s[4:5], 0x1c
	s_load_dwordx4 s[0:3], s[4:5], 0x0
	v_mov_b32_e32 v2, 0
	v_mbcnt_lo_u32_b32 v5, -1, 0
	v_mbcnt_hi_u32_b32 v5, -1, v5
	s_waitcnt lgkmcnt(0)
	s_and_b32 s4, s7, 0xffff
	s_mul_i32 s6, s6, s4
	v_add_u32_e32 v1, s6, v0
	v_lshlrev_b64 v[1:2], 3, v[1:2]
	v_mov_b32_e32 v4, s1
	v_add_co_u32_e32 v3, vcc, s0, v1
	v_addc_co_u32_e32 v4, vcc, v4, v2, vcc
	global_load_dwordx2 v[3:4], v[3:4], off
	s_mov_b32 s0, 0x11111112
	v_mul_hi_u32 v6, v5, s0
	v_mul_u32_u24_e32 v0, 0x1112, v0
	s_movk_i32 s0, 0x78
	v_lshrrev_b32_e32 v0, 16, v0
	v_mul_u32_u24_e32 v6, 15, v6
	v_sub_u32_e32 v5, v5, v6
	v_lshlrev_b32_e32 v6, 3, v5
	v_mad_u32_u24 v0, v0, s0, v6
	v_cmp_ne_u32_e32 vcc, 0, v5
	s_waitcnt vmcnt(0)
	ds_write_b64 v0, v[3:4]
	; wave barrier
	s_and_saveexec_b64 s[0:1], vcc
	s_cbranch_execz .LBB284_2
; %bb.1:
	v_add_u32_e32 v6, -8, v0
	ds_read_b64 v[6:7], v6
	s_waitcnt lgkmcnt(0)
	v_add_f32_e32 v3, v6, v3
	v_add_f32_e32 v4, v7, v4
.LBB284_2:
	s_or_b64 exec, exec, s[0:1]
	; wave barrier
	s_and_saveexec_b64 s[0:1], vcc
; %bb.3:
	ds_write_b64 v0, v[3:4]
; %bb.4:
	s_or_b64 exec, exec, s[0:1]
	v_cmp_lt_u32_e32 vcc, 1, v5
	; wave barrier
	s_and_saveexec_b64 s[0:1], vcc
	s_cbranch_execz .LBB284_6
; %bb.5:
	v_add_u32_e32 v6, -16, v0
	ds_read_b64 v[6:7], v6
	s_waitcnt lgkmcnt(0)
	v_add_f32_e32 v3, v3, v6
	v_add_f32_e32 v4, v4, v7
.LBB284_6:
	s_or_b64 exec, exec, s[0:1]
	; wave barrier
	s_and_saveexec_b64 s[0:1], vcc
; %bb.7:
	ds_write_b64 v0, v[3:4]
; %bb.8:
	s_or_b64 exec, exec, s[0:1]
	v_cmp_lt_u32_e32 vcc, 3, v5
	; wave barrier
	s_and_saveexec_b64 s[0:1], vcc
	s_cbranch_execz .LBB284_10
; %bb.9:
	v_subrev_u32_e32 v6, 32, v0
	ds_read_b64 v[6:7], v6
	s_waitcnt lgkmcnt(0)
	v_add_f32_e32 v3, v3, v6
	v_add_f32_e32 v4, v4, v7
.LBB284_10:
	s_or_b64 exec, exec, s[0:1]
	; wave barrier
	s_and_saveexec_b64 s[0:1], vcc
; %bb.11:
	ds_write_b64 v0, v[3:4]
; %bb.12:
	s_or_b64 exec, exec, s[0:1]
	v_cmp_lt_u32_e32 vcc, 7, v5
	; wave barrier
	s_and_saveexec_b64 s[0:1], vcc
	s_cbranch_execz .LBB284_14
; %bb.13:
	v_subrev_u32_e32 v5, 64, v0
	ds_read_b64 v[5:6], v5
	s_waitcnt lgkmcnt(0)
	v_add_f32_e32 v3, v3, v5
	v_add_f32_e32 v4, v4, v6
.LBB284_14:
	s_or_b64 exec, exec, s[0:1]
	; wave barrier
	s_and_saveexec_b64 s[0:1], vcc
; %bb.15:
	ds_write_b64 v0, v[3:4]
; %bb.16:
	s_or_b64 exec, exec, s[0:1]
	v_mov_b32_e32 v5, s3
	v_add_co_u32_e32 v0, vcc, s2, v1
	v_addc_co_u32_e32 v1, vcc, v5, v2, vcc
	; wave barrier
	global_store_dwordx2 v[0:1], v[3:4], off
	s_endpgm
	.section	.rodata,"a",@progbits
	.p2align	6, 0x0
	.amdhsa_kernel _Z26warp_inclusive_scan_kernelIN10test_utils16custom_test_typeIfEELj30ELj15EENSt9enable_ifIXsr10test_utilsE35device_test_enabled_for_warp_size_vIXT1_EEEvE4typeEPT_S7_
		.amdhsa_group_segment_fixed_size 240
		.amdhsa_private_segment_fixed_size 0
		.amdhsa_kernarg_size 272
		.amdhsa_user_sgpr_count 6
		.amdhsa_user_sgpr_private_segment_buffer 1
		.amdhsa_user_sgpr_dispatch_ptr 0
		.amdhsa_user_sgpr_queue_ptr 0
		.amdhsa_user_sgpr_kernarg_segment_ptr 1
		.amdhsa_user_sgpr_dispatch_id 0
		.amdhsa_user_sgpr_flat_scratch_init 0
		.amdhsa_user_sgpr_private_segment_size 0
		.amdhsa_uses_dynamic_stack 0
		.amdhsa_system_sgpr_private_segment_wavefront_offset 0
		.amdhsa_system_sgpr_workgroup_id_x 1
		.amdhsa_system_sgpr_workgroup_id_y 0
		.amdhsa_system_sgpr_workgroup_id_z 0
		.amdhsa_system_sgpr_workgroup_info 0
		.amdhsa_system_vgpr_workitem_id 0
		.amdhsa_next_free_vgpr 8
		.amdhsa_next_free_sgpr 8
		.amdhsa_reserve_vcc 1
		.amdhsa_reserve_flat_scratch 0
		.amdhsa_float_round_mode_32 0
		.amdhsa_float_round_mode_16_64 0
		.amdhsa_float_denorm_mode_32 3
		.amdhsa_float_denorm_mode_16_64 3
		.amdhsa_dx10_clamp 1
		.amdhsa_ieee_mode 1
		.amdhsa_fp16_overflow 0
		.amdhsa_exception_fp_ieee_invalid_op 0
		.amdhsa_exception_fp_denorm_src 0
		.amdhsa_exception_fp_ieee_div_zero 0
		.amdhsa_exception_fp_ieee_overflow 0
		.amdhsa_exception_fp_ieee_underflow 0
		.amdhsa_exception_fp_ieee_inexact 0
		.amdhsa_exception_int_div_zero 0
	.end_amdhsa_kernel
	.section	.text._Z26warp_inclusive_scan_kernelIN10test_utils16custom_test_typeIfEELj30ELj15EENSt9enable_ifIXsr10test_utilsE35device_test_enabled_for_warp_size_vIXT1_EEEvE4typeEPT_S7_,"axG",@progbits,_Z26warp_inclusive_scan_kernelIN10test_utils16custom_test_typeIfEELj30ELj15EENSt9enable_ifIXsr10test_utilsE35device_test_enabled_for_warp_size_vIXT1_EEEvE4typeEPT_S7_,comdat
.Lfunc_end284:
	.size	_Z26warp_inclusive_scan_kernelIN10test_utils16custom_test_typeIfEELj30ELj15EENSt9enable_ifIXsr10test_utilsE35device_test_enabled_for_warp_size_vIXT1_EEEvE4typeEPT_S7_, .Lfunc_end284-_Z26warp_inclusive_scan_kernelIN10test_utils16custom_test_typeIfEELj30ELj15EENSt9enable_ifIXsr10test_utilsE35device_test_enabled_for_warp_size_vIXT1_EEEvE4typeEPT_S7_
                                        ; -- End function
	.set _Z26warp_inclusive_scan_kernelIN10test_utils16custom_test_typeIfEELj30ELj15EENSt9enable_ifIXsr10test_utilsE35device_test_enabled_for_warp_size_vIXT1_EEEvE4typeEPT_S7_.num_vgpr, 8
	.set _Z26warp_inclusive_scan_kernelIN10test_utils16custom_test_typeIfEELj30ELj15EENSt9enable_ifIXsr10test_utilsE35device_test_enabled_for_warp_size_vIXT1_EEEvE4typeEPT_S7_.num_agpr, 0
	.set _Z26warp_inclusive_scan_kernelIN10test_utils16custom_test_typeIfEELj30ELj15EENSt9enable_ifIXsr10test_utilsE35device_test_enabled_for_warp_size_vIXT1_EEEvE4typeEPT_S7_.numbered_sgpr, 8
	.set _Z26warp_inclusive_scan_kernelIN10test_utils16custom_test_typeIfEELj30ELj15EENSt9enable_ifIXsr10test_utilsE35device_test_enabled_for_warp_size_vIXT1_EEEvE4typeEPT_S7_.num_named_barrier, 0
	.set _Z26warp_inclusive_scan_kernelIN10test_utils16custom_test_typeIfEELj30ELj15EENSt9enable_ifIXsr10test_utilsE35device_test_enabled_for_warp_size_vIXT1_EEEvE4typeEPT_S7_.private_seg_size, 0
	.set _Z26warp_inclusive_scan_kernelIN10test_utils16custom_test_typeIfEELj30ELj15EENSt9enable_ifIXsr10test_utilsE35device_test_enabled_for_warp_size_vIXT1_EEEvE4typeEPT_S7_.uses_vcc, 1
	.set _Z26warp_inclusive_scan_kernelIN10test_utils16custom_test_typeIfEELj30ELj15EENSt9enable_ifIXsr10test_utilsE35device_test_enabled_for_warp_size_vIXT1_EEEvE4typeEPT_S7_.uses_flat_scratch, 0
	.set _Z26warp_inclusive_scan_kernelIN10test_utils16custom_test_typeIfEELj30ELj15EENSt9enable_ifIXsr10test_utilsE35device_test_enabled_for_warp_size_vIXT1_EEEvE4typeEPT_S7_.has_dyn_sized_stack, 0
	.set _Z26warp_inclusive_scan_kernelIN10test_utils16custom_test_typeIfEELj30ELj15EENSt9enable_ifIXsr10test_utilsE35device_test_enabled_for_warp_size_vIXT1_EEEvE4typeEPT_S7_.has_recursion, 0
	.set _Z26warp_inclusive_scan_kernelIN10test_utils16custom_test_typeIfEELj30ELj15EENSt9enable_ifIXsr10test_utilsE35device_test_enabled_for_warp_size_vIXT1_EEEvE4typeEPT_S7_.has_indirect_call, 0
	.section	.AMDGPU.csdata,"",@progbits
; Kernel info:
; codeLenInByte = 396
; TotalNumSgprs: 12
; NumVgprs: 8
; ScratchSize: 0
; MemoryBound: 0
; FloatMode: 240
; IeeeMode: 1
; LDSByteSize: 240 bytes/workgroup (compile time only)
; SGPRBlocks: 1
; VGPRBlocks: 1
; NumSGPRsForWavesPerEU: 12
; NumVGPRsForWavesPerEU: 8
; Occupancy: 10
; WaveLimiterHint : 0
; COMPUTE_PGM_RSRC2:SCRATCH_EN: 0
; COMPUTE_PGM_RSRC2:USER_SGPR: 6
; COMPUTE_PGM_RSRC2:TRAP_HANDLER: 0
; COMPUTE_PGM_RSRC2:TGID_X_EN: 1
; COMPUTE_PGM_RSRC2:TGID_Y_EN: 0
; COMPUTE_PGM_RSRC2:TGID_Z_EN: 0
; COMPUTE_PGM_RSRC2:TIDIG_COMP_CNT: 0
	.section	.text._Z26warp_inclusive_scan_kernelIN10test_utils16custom_test_typeIfEELj60ELj15EENSt9enable_ifIXsr10test_utilsE35device_test_enabled_for_warp_size_vIXT1_EEEvE4typeEPT_S7_,"axG",@progbits,_Z26warp_inclusive_scan_kernelIN10test_utils16custom_test_typeIfEELj60ELj15EENSt9enable_ifIXsr10test_utilsE35device_test_enabled_for_warp_size_vIXT1_EEEvE4typeEPT_S7_,comdat
	.protected	_Z26warp_inclusive_scan_kernelIN10test_utils16custom_test_typeIfEELj60ELj15EENSt9enable_ifIXsr10test_utilsE35device_test_enabled_for_warp_size_vIXT1_EEEvE4typeEPT_S7_ ; -- Begin function _Z26warp_inclusive_scan_kernelIN10test_utils16custom_test_typeIfEELj60ELj15EENSt9enable_ifIXsr10test_utilsE35device_test_enabled_for_warp_size_vIXT1_EEEvE4typeEPT_S7_
	.globl	_Z26warp_inclusive_scan_kernelIN10test_utils16custom_test_typeIfEELj60ELj15EENSt9enable_ifIXsr10test_utilsE35device_test_enabled_for_warp_size_vIXT1_EEEvE4typeEPT_S7_
	.p2align	8
	.type	_Z26warp_inclusive_scan_kernelIN10test_utils16custom_test_typeIfEELj60ELj15EENSt9enable_ifIXsr10test_utilsE35device_test_enabled_for_warp_size_vIXT1_EEEvE4typeEPT_S7_,@function
_Z26warp_inclusive_scan_kernelIN10test_utils16custom_test_typeIfEELj60ELj15EENSt9enable_ifIXsr10test_utilsE35device_test_enabled_for_warp_size_vIXT1_EEEvE4typeEPT_S7_: ; @_Z26warp_inclusive_scan_kernelIN10test_utils16custom_test_typeIfEELj60ELj15EENSt9enable_ifIXsr10test_utilsE35device_test_enabled_for_warp_size_vIXT1_EEEvE4typeEPT_S7_
; %bb.0:
	s_load_dword s7, s[4:5], 0x1c
	s_load_dwordx4 s[0:3], s[4:5], 0x0
	v_mov_b32_e32 v2, 0
	v_mbcnt_lo_u32_b32 v5, -1, 0
	v_mbcnt_hi_u32_b32 v5, -1, v5
	s_waitcnt lgkmcnt(0)
	s_and_b32 s4, s7, 0xffff
	s_mul_i32 s6, s6, s4
	v_add_u32_e32 v1, s6, v0
	v_lshlrev_b64 v[1:2], 3, v[1:2]
	v_mov_b32_e32 v4, s1
	v_add_co_u32_e32 v3, vcc, s0, v1
	v_addc_co_u32_e32 v4, vcc, v4, v2, vcc
	global_load_dwordx2 v[3:4], v[3:4], off
	s_mov_b32 s0, 0x11111112
	v_mul_hi_u32 v6, v5, s0
	v_mul_u32_u24_e32 v0, 0x1112, v0
	s_movk_i32 s0, 0x78
	v_lshrrev_b32_e32 v0, 16, v0
	v_mul_u32_u24_e32 v6, 15, v6
	v_sub_u32_e32 v5, v5, v6
	v_lshlrev_b32_e32 v6, 3, v5
	v_mad_u32_u24 v0, v0, s0, v6
	v_cmp_ne_u32_e32 vcc, 0, v5
	s_waitcnt vmcnt(0)
	ds_write_b64 v0, v[3:4]
	; wave barrier
	s_and_saveexec_b64 s[0:1], vcc
	s_cbranch_execz .LBB285_2
; %bb.1:
	v_add_u32_e32 v6, -8, v0
	ds_read_b64 v[6:7], v6
	s_waitcnt lgkmcnt(0)
	v_add_f32_e32 v3, v6, v3
	v_add_f32_e32 v4, v7, v4
.LBB285_2:
	s_or_b64 exec, exec, s[0:1]
	; wave barrier
	s_and_saveexec_b64 s[0:1], vcc
; %bb.3:
	ds_write_b64 v0, v[3:4]
; %bb.4:
	s_or_b64 exec, exec, s[0:1]
	v_cmp_lt_u32_e32 vcc, 1, v5
	; wave barrier
	s_and_saveexec_b64 s[0:1], vcc
	s_cbranch_execz .LBB285_6
; %bb.5:
	v_add_u32_e32 v6, -16, v0
	ds_read_b64 v[6:7], v6
	s_waitcnt lgkmcnt(0)
	v_add_f32_e32 v3, v3, v6
	v_add_f32_e32 v4, v4, v7
.LBB285_6:
	s_or_b64 exec, exec, s[0:1]
	; wave barrier
	s_and_saveexec_b64 s[0:1], vcc
; %bb.7:
	ds_write_b64 v0, v[3:4]
; %bb.8:
	s_or_b64 exec, exec, s[0:1]
	v_cmp_lt_u32_e32 vcc, 3, v5
	; wave barrier
	s_and_saveexec_b64 s[0:1], vcc
	s_cbranch_execz .LBB285_10
; %bb.9:
	v_subrev_u32_e32 v6, 32, v0
	ds_read_b64 v[6:7], v6
	s_waitcnt lgkmcnt(0)
	v_add_f32_e32 v3, v3, v6
	v_add_f32_e32 v4, v4, v7
.LBB285_10:
	s_or_b64 exec, exec, s[0:1]
	; wave barrier
	s_and_saveexec_b64 s[0:1], vcc
; %bb.11:
	ds_write_b64 v0, v[3:4]
; %bb.12:
	s_or_b64 exec, exec, s[0:1]
	v_cmp_lt_u32_e32 vcc, 7, v5
	; wave barrier
	s_and_saveexec_b64 s[0:1], vcc
	s_cbranch_execz .LBB285_14
; %bb.13:
	v_subrev_u32_e32 v5, 64, v0
	ds_read_b64 v[5:6], v5
	s_waitcnt lgkmcnt(0)
	v_add_f32_e32 v3, v3, v5
	v_add_f32_e32 v4, v4, v6
.LBB285_14:
	s_or_b64 exec, exec, s[0:1]
	; wave barrier
	s_and_saveexec_b64 s[0:1], vcc
; %bb.15:
	ds_write_b64 v0, v[3:4]
; %bb.16:
	s_or_b64 exec, exec, s[0:1]
	v_mov_b32_e32 v5, s3
	v_add_co_u32_e32 v0, vcc, s2, v1
	v_addc_co_u32_e32 v1, vcc, v5, v2, vcc
	; wave barrier
	global_store_dwordx2 v[0:1], v[3:4], off
	s_endpgm
	.section	.rodata,"a",@progbits
	.p2align	6, 0x0
	.amdhsa_kernel _Z26warp_inclusive_scan_kernelIN10test_utils16custom_test_typeIfEELj60ELj15EENSt9enable_ifIXsr10test_utilsE35device_test_enabled_for_warp_size_vIXT1_EEEvE4typeEPT_S7_
		.amdhsa_group_segment_fixed_size 480
		.amdhsa_private_segment_fixed_size 0
		.amdhsa_kernarg_size 272
		.amdhsa_user_sgpr_count 6
		.amdhsa_user_sgpr_private_segment_buffer 1
		.amdhsa_user_sgpr_dispatch_ptr 0
		.amdhsa_user_sgpr_queue_ptr 0
		.amdhsa_user_sgpr_kernarg_segment_ptr 1
		.amdhsa_user_sgpr_dispatch_id 0
		.amdhsa_user_sgpr_flat_scratch_init 0
		.amdhsa_user_sgpr_private_segment_size 0
		.amdhsa_uses_dynamic_stack 0
		.amdhsa_system_sgpr_private_segment_wavefront_offset 0
		.amdhsa_system_sgpr_workgroup_id_x 1
		.amdhsa_system_sgpr_workgroup_id_y 0
		.amdhsa_system_sgpr_workgroup_id_z 0
		.amdhsa_system_sgpr_workgroup_info 0
		.amdhsa_system_vgpr_workitem_id 0
		.amdhsa_next_free_vgpr 8
		.amdhsa_next_free_sgpr 8
		.amdhsa_reserve_vcc 1
		.amdhsa_reserve_flat_scratch 0
		.amdhsa_float_round_mode_32 0
		.amdhsa_float_round_mode_16_64 0
		.amdhsa_float_denorm_mode_32 3
		.amdhsa_float_denorm_mode_16_64 3
		.amdhsa_dx10_clamp 1
		.amdhsa_ieee_mode 1
		.amdhsa_fp16_overflow 0
		.amdhsa_exception_fp_ieee_invalid_op 0
		.amdhsa_exception_fp_denorm_src 0
		.amdhsa_exception_fp_ieee_div_zero 0
		.amdhsa_exception_fp_ieee_overflow 0
		.amdhsa_exception_fp_ieee_underflow 0
		.amdhsa_exception_fp_ieee_inexact 0
		.amdhsa_exception_int_div_zero 0
	.end_amdhsa_kernel
	.section	.text._Z26warp_inclusive_scan_kernelIN10test_utils16custom_test_typeIfEELj60ELj15EENSt9enable_ifIXsr10test_utilsE35device_test_enabled_for_warp_size_vIXT1_EEEvE4typeEPT_S7_,"axG",@progbits,_Z26warp_inclusive_scan_kernelIN10test_utils16custom_test_typeIfEELj60ELj15EENSt9enable_ifIXsr10test_utilsE35device_test_enabled_for_warp_size_vIXT1_EEEvE4typeEPT_S7_,comdat
.Lfunc_end285:
	.size	_Z26warp_inclusive_scan_kernelIN10test_utils16custom_test_typeIfEELj60ELj15EENSt9enable_ifIXsr10test_utilsE35device_test_enabled_for_warp_size_vIXT1_EEEvE4typeEPT_S7_, .Lfunc_end285-_Z26warp_inclusive_scan_kernelIN10test_utils16custom_test_typeIfEELj60ELj15EENSt9enable_ifIXsr10test_utilsE35device_test_enabled_for_warp_size_vIXT1_EEEvE4typeEPT_S7_
                                        ; -- End function
	.set _Z26warp_inclusive_scan_kernelIN10test_utils16custom_test_typeIfEELj60ELj15EENSt9enable_ifIXsr10test_utilsE35device_test_enabled_for_warp_size_vIXT1_EEEvE4typeEPT_S7_.num_vgpr, 8
	.set _Z26warp_inclusive_scan_kernelIN10test_utils16custom_test_typeIfEELj60ELj15EENSt9enable_ifIXsr10test_utilsE35device_test_enabled_for_warp_size_vIXT1_EEEvE4typeEPT_S7_.num_agpr, 0
	.set _Z26warp_inclusive_scan_kernelIN10test_utils16custom_test_typeIfEELj60ELj15EENSt9enable_ifIXsr10test_utilsE35device_test_enabled_for_warp_size_vIXT1_EEEvE4typeEPT_S7_.numbered_sgpr, 8
	.set _Z26warp_inclusive_scan_kernelIN10test_utils16custom_test_typeIfEELj60ELj15EENSt9enable_ifIXsr10test_utilsE35device_test_enabled_for_warp_size_vIXT1_EEEvE4typeEPT_S7_.num_named_barrier, 0
	.set _Z26warp_inclusive_scan_kernelIN10test_utils16custom_test_typeIfEELj60ELj15EENSt9enable_ifIXsr10test_utilsE35device_test_enabled_for_warp_size_vIXT1_EEEvE4typeEPT_S7_.private_seg_size, 0
	.set _Z26warp_inclusive_scan_kernelIN10test_utils16custom_test_typeIfEELj60ELj15EENSt9enable_ifIXsr10test_utilsE35device_test_enabled_for_warp_size_vIXT1_EEEvE4typeEPT_S7_.uses_vcc, 1
	.set _Z26warp_inclusive_scan_kernelIN10test_utils16custom_test_typeIfEELj60ELj15EENSt9enable_ifIXsr10test_utilsE35device_test_enabled_for_warp_size_vIXT1_EEEvE4typeEPT_S7_.uses_flat_scratch, 0
	.set _Z26warp_inclusive_scan_kernelIN10test_utils16custom_test_typeIfEELj60ELj15EENSt9enable_ifIXsr10test_utilsE35device_test_enabled_for_warp_size_vIXT1_EEEvE4typeEPT_S7_.has_dyn_sized_stack, 0
	.set _Z26warp_inclusive_scan_kernelIN10test_utils16custom_test_typeIfEELj60ELj15EENSt9enable_ifIXsr10test_utilsE35device_test_enabled_for_warp_size_vIXT1_EEEvE4typeEPT_S7_.has_recursion, 0
	.set _Z26warp_inclusive_scan_kernelIN10test_utils16custom_test_typeIfEELj60ELj15EENSt9enable_ifIXsr10test_utilsE35device_test_enabled_for_warp_size_vIXT1_EEEvE4typeEPT_S7_.has_indirect_call, 0
	.section	.AMDGPU.csdata,"",@progbits
; Kernel info:
; codeLenInByte = 396
; TotalNumSgprs: 12
; NumVgprs: 8
; ScratchSize: 0
; MemoryBound: 0
; FloatMode: 240
; IeeeMode: 1
; LDSByteSize: 480 bytes/workgroup (compile time only)
; SGPRBlocks: 1
; VGPRBlocks: 1
; NumSGPRsForWavesPerEU: 12
; NumVGPRsForWavesPerEU: 8
; Occupancy: 10
; WaveLimiterHint : 0
; COMPUTE_PGM_RSRC2:SCRATCH_EN: 0
; COMPUTE_PGM_RSRC2:USER_SGPR: 6
; COMPUTE_PGM_RSRC2:TRAP_HANDLER: 0
; COMPUTE_PGM_RSRC2:TGID_X_EN: 1
; COMPUTE_PGM_RSRC2:TGID_Y_EN: 0
; COMPUTE_PGM_RSRC2:TGID_Z_EN: 0
; COMPUTE_PGM_RSRC2:TIDIG_COMP_CNT: 0
	.section	.text._Z26warp_inclusive_scan_kernelIN10test_utils16custom_test_typeIfEELj28ELj7EENSt9enable_ifIXsr10test_utilsE35device_test_enabled_for_warp_size_vIXT1_EEEvE4typeEPT_S7_,"axG",@progbits,_Z26warp_inclusive_scan_kernelIN10test_utils16custom_test_typeIfEELj28ELj7EENSt9enable_ifIXsr10test_utilsE35device_test_enabled_for_warp_size_vIXT1_EEEvE4typeEPT_S7_,comdat
	.protected	_Z26warp_inclusive_scan_kernelIN10test_utils16custom_test_typeIfEELj28ELj7EENSt9enable_ifIXsr10test_utilsE35device_test_enabled_for_warp_size_vIXT1_EEEvE4typeEPT_S7_ ; -- Begin function _Z26warp_inclusive_scan_kernelIN10test_utils16custom_test_typeIfEELj28ELj7EENSt9enable_ifIXsr10test_utilsE35device_test_enabled_for_warp_size_vIXT1_EEEvE4typeEPT_S7_
	.globl	_Z26warp_inclusive_scan_kernelIN10test_utils16custom_test_typeIfEELj28ELj7EENSt9enable_ifIXsr10test_utilsE35device_test_enabled_for_warp_size_vIXT1_EEEvE4typeEPT_S7_
	.p2align	8
	.type	_Z26warp_inclusive_scan_kernelIN10test_utils16custom_test_typeIfEELj28ELj7EENSt9enable_ifIXsr10test_utilsE35device_test_enabled_for_warp_size_vIXT1_EEEvE4typeEPT_S7_,@function
_Z26warp_inclusive_scan_kernelIN10test_utils16custom_test_typeIfEELj28ELj7EENSt9enable_ifIXsr10test_utilsE35device_test_enabled_for_warp_size_vIXT1_EEEvE4typeEPT_S7_: ; @_Z26warp_inclusive_scan_kernelIN10test_utils16custom_test_typeIfEELj28ELj7EENSt9enable_ifIXsr10test_utilsE35device_test_enabled_for_warp_size_vIXT1_EEEvE4typeEPT_S7_
; %bb.0:
	s_load_dword s7, s[4:5], 0x1c
	s_load_dwordx4 s[0:3], s[4:5], 0x0
	v_mov_b32_e32 v2, 0
	v_mbcnt_lo_u32_b32 v5, -1, 0
	v_mbcnt_hi_u32_b32 v5, -1, v5
	s_waitcnt lgkmcnt(0)
	s_and_b32 s4, s7, 0xffff
	s_mul_i32 s6, s6, s4
	v_add_u32_e32 v1, s6, v0
	v_lshlrev_b64 v[1:2], 3, v[1:2]
	v_mov_b32_e32 v4, s1
	v_add_co_u32_e32 v3, vcc, s0, v1
	v_addc_co_u32_e32 v4, vcc, v4, v2, vcc
	global_load_dwordx2 v[3:4], v[3:4], off
	s_mov_b32 s0, 0x24924925
	v_mul_hi_u32 v6, v5, s0
	v_mul_u32_u24_e32 v0, 0x2493, v0
	v_lshrrev_b32_e32 v0, 16, v0
	v_mul_u32_u24_e32 v6, 7, v6
	v_sub_u32_e32 v5, v5, v6
	v_lshlrev_b32_e32 v6, 3, v5
	v_mad_u32_u24 v0, v0, 56, v6
	v_cmp_ne_u32_e32 vcc, 0, v5
	s_waitcnt vmcnt(0)
	ds_write_b64 v0, v[3:4]
	; wave barrier
	s_and_saveexec_b64 s[0:1], vcc
	s_cbranch_execz .LBB286_2
; %bb.1:
	v_add_u32_e32 v6, -8, v0
	ds_read_b64 v[6:7], v6
	s_waitcnt lgkmcnt(0)
	v_add_f32_e32 v3, v6, v3
	v_add_f32_e32 v4, v7, v4
.LBB286_2:
	s_or_b64 exec, exec, s[0:1]
	; wave barrier
	s_and_saveexec_b64 s[0:1], vcc
; %bb.3:
	ds_write_b64 v0, v[3:4]
; %bb.4:
	s_or_b64 exec, exec, s[0:1]
	v_cmp_lt_u32_e32 vcc, 1, v5
	; wave barrier
	s_and_saveexec_b64 s[0:1], vcc
	s_cbranch_execz .LBB286_6
; %bb.5:
	v_add_u32_e32 v6, -16, v0
	ds_read_b64 v[6:7], v6
	s_waitcnt lgkmcnt(0)
	v_add_f32_e32 v3, v3, v6
	v_add_f32_e32 v4, v4, v7
.LBB286_6:
	s_or_b64 exec, exec, s[0:1]
	; wave barrier
	s_and_saveexec_b64 s[0:1], vcc
; %bb.7:
	ds_write_b64 v0, v[3:4]
; %bb.8:
	s_or_b64 exec, exec, s[0:1]
	v_cmp_lt_u32_e32 vcc, 3, v5
	; wave barrier
	s_and_saveexec_b64 s[0:1], vcc
	s_cbranch_execz .LBB286_10
; %bb.9:
	v_subrev_u32_e32 v5, 32, v0
	ds_read_b64 v[5:6], v5
	s_waitcnt lgkmcnt(0)
	v_add_f32_e32 v3, v3, v5
	v_add_f32_e32 v4, v4, v6
.LBB286_10:
	s_or_b64 exec, exec, s[0:1]
	; wave barrier
	s_and_saveexec_b64 s[0:1], vcc
; %bb.11:
	ds_write_b64 v0, v[3:4]
; %bb.12:
	s_or_b64 exec, exec, s[0:1]
	v_mov_b32_e32 v5, s3
	v_add_co_u32_e32 v0, vcc, s2, v1
	v_addc_co_u32_e32 v1, vcc, v5, v2, vcc
	; wave barrier
	global_store_dwordx2 v[0:1], v[3:4], off
	s_endpgm
	.section	.rodata,"a",@progbits
	.p2align	6, 0x0
	.amdhsa_kernel _Z26warp_inclusive_scan_kernelIN10test_utils16custom_test_typeIfEELj28ELj7EENSt9enable_ifIXsr10test_utilsE35device_test_enabled_for_warp_size_vIXT1_EEEvE4typeEPT_S7_
		.amdhsa_group_segment_fixed_size 224
		.amdhsa_private_segment_fixed_size 0
		.amdhsa_kernarg_size 272
		.amdhsa_user_sgpr_count 6
		.amdhsa_user_sgpr_private_segment_buffer 1
		.amdhsa_user_sgpr_dispatch_ptr 0
		.amdhsa_user_sgpr_queue_ptr 0
		.amdhsa_user_sgpr_kernarg_segment_ptr 1
		.amdhsa_user_sgpr_dispatch_id 0
		.amdhsa_user_sgpr_flat_scratch_init 0
		.amdhsa_user_sgpr_private_segment_size 0
		.amdhsa_uses_dynamic_stack 0
		.amdhsa_system_sgpr_private_segment_wavefront_offset 0
		.amdhsa_system_sgpr_workgroup_id_x 1
		.amdhsa_system_sgpr_workgroup_id_y 0
		.amdhsa_system_sgpr_workgroup_id_z 0
		.amdhsa_system_sgpr_workgroup_info 0
		.amdhsa_system_vgpr_workitem_id 0
		.amdhsa_next_free_vgpr 8
		.amdhsa_next_free_sgpr 8
		.amdhsa_reserve_vcc 1
		.amdhsa_reserve_flat_scratch 0
		.amdhsa_float_round_mode_32 0
		.amdhsa_float_round_mode_16_64 0
		.amdhsa_float_denorm_mode_32 3
		.amdhsa_float_denorm_mode_16_64 3
		.amdhsa_dx10_clamp 1
		.amdhsa_ieee_mode 1
		.amdhsa_fp16_overflow 0
		.amdhsa_exception_fp_ieee_invalid_op 0
		.amdhsa_exception_fp_denorm_src 0
		.amdhsa_exception_fp_ieee_div_zero 0
		.amdhsa_exception_fp_ieee_overflow 0
		.amdhsa_exception_fp_ieee_underflow 0
		.amdhsa_exception_fp_ieee_inexact 0
		.amdhsa_exception_int_div_zero 0
	.end_amdhsa_kernel
	.section	.text._Z26warp_inclusive_scan_kernelIN10test_utils16custom_test_typeIfEELj28ELj7EENSt9enable_ifIXsr10test_utilsE35device_test_enabled_for_warp_size_vIXT1_EEEvE4typeEPT_S7_,"axG",@progbits,_Z26warp_inclusive_scan_kernelIN10test_utils16custom_test_typeIfEELj28ELj7EENSt9enable_ifIXsr10test_utilsE35device_test_enabled_for_warp_size_vIXT1_EEEvE4typeEPT_S7_,comdat
.Lfunc_end286:
	.size	_Z26warp_inclusive_scan_kernelIN10test_utils16custom_test_typeIfEELj28ELj7EENSt9enable_ifIXsr10test_utilsE35device_test_enabled_for_warp_size_vIXT1_EEEvE4typeEPT_S7_, .Lfunc_end286-_Z26warp_inclusive_scan_kernelIN10test_utils16custom_test_typeIfEELj28ELj7EENSt9enable_ifIXsr10test_utilsE35device_test_enabled_for_warp_size_vIXT1_EEEvE4typeEPT_S7_
                                        ; -- End function
	.set _Z26warp_inclusive_scan_kernelIN10test_utils16custom_test_typeIfEELj28ELj7EENSt9enable_ifIXsr10test_utilsE35device_test_enabled_for_warp_size_vIXT1_EEEvE4typeEPT_S7_.num_vgpr, 8
	.set _Z26warp_inclusive_scan_kernelIN10test_utils16custom_test_typeIfEELj28ELj7EENSt9enable_ifIXsr10test_utilsE35device_test_enabled_for_warp_size_vIXT1_EEEvE4typeEPT_S7_.num_agpr, 0
	.set _Z26warp_inclusive_scan_kernelIN10test_utils16custom_test_typeIfEELj28ELj7EENSt9enable_ifIXsr10test_utilsE35device_test_enabled_for_warp_size_vIXT1_EEEvE4typeEPT_S7_.numbered_sgpr, 8
	.set _Z26warp_inclusive_scan_kernelIN10test_utils16custom_test_typeIfEELj28ELj7EENSt9enable_ifIXsr10test_utilsE35device_test_enabled_for_warp_size_vIXT1_EEEvE4typeEPT_S7_.num_named_barrier, 0
	.set _Z26warp_inclusive_scan_kernelIN10test_utils16custom_test_typeIfEELj28ELj7EENSt9enable_ifIXsr10test_utilsE35device_test_enabled_for_warp_size_vIXT1_EEEvE4typeEPT_S7_.private_seg_size, 0
	.set _Z26warp_inclusive_scan_kernelIN10test_utils16custom_test_typeIfEELj28ELj7EENSt9enable_ifIXsr10test_utilsE35device_test_enabled_for_warp_size_vIXT1_EEEvE4typeEPT_S7_.uses_vcc, 1
	.set _Z26warp_inclusive_scan_kernelIN10test_utils16custom_test_typeIfEELj28ELj7EENSt9enable_ifIXsr10test_utilsE35device_test_enabled_for_warp_size_vIXT1_EEEvE4typeEPT_S7_.uses_flat_scratch, 0
	.set _Z26warp_inclusive_scan_kernelIN10test_utils16custom_test_typeIfEELj28ELj7EENSt9enable_ifIXsr10test_utilsE35device_test_enabled_for_warp_size_vIXT1_EEEvE4typeEPT_S7_.has_dyn_sized_stack, 0
	.set _Z26warp_inclusive_scan_kernelIN10test_utils16custom_test_typeIfEELj28ELj7EENSt9enable_ifIXsr10test_utilsE35device_test_enabled_for_warp_size_vIXT1_EEEvE4typeEPT_S7_.has_recursion, 0
	.set _Z26warp_inclusive_scan_kernelIN10test_utils16custom_test_typeIfEELj28ELj7EENSt9enable_ifIXsr10test_utilsE35device_test_enabled_for_warp_size_vIXT1_EEEvE4typeEPT_S7_.has_indirect_call, 0
	.section	.AMDGPU.csdata,"",@progbits
; Kernel info:
; codeLenInByte = 336
; TotalNumSgprs: 12
; NumVgprs: 8
; ScratchSize: 0
; MemoryBound: 0
; FloatMode: 240
; IeeeMode: 1
; LDSByteSize: 224 bytes/workgroup (compile time only)
; SGPRBlocks: 1
; VGPRBlocks: 1
; NumSGPRsForWavesPerEU: 12
; NumVGPRsForWavesPerEU: 8
; Occupancy: 10
; WaveLimiterHint : 0
; COMPUTE_PGM_RSRC2:SCRATCH_EN: 0
; COMPUTE_PGM_RSRC2:USER_SGPR: 6
; COMPUTE_PGM_RSRC2:TRAP_HANDLER: 0
; COMPUTE_PGM_RSRC2:TGID_X_EN: 1
; COMPUTE_PGM_RSRC2:TGID_Y_EN: 0
; COMPUTE_PGM_RSRC2:TGID_Z_EN: 0
; COMPUTE_PGM_RSRC2:TIDIG_COMP_CNT: 0
	.section	.text._Z26warp_inclusive_scan_kernelIN10test_utils16custom_test_typeIfEELj63ELj7EENSt9enable_ifIXsr10test_utilsE35device_test_enabled_for_warp_size_vIXT1_EEEvE4typeEPT_S7_,"axG",@progbits,_Z26warp_inclusive_scan_kernelIN10test_utils16custom_test_typeIfEELj63ELj7EENSt9enable_ifIXsr10test_utilsE35device_test_enabled_for_warp_size_vIXT1_EEEvE4typeEPT_S7_,comdat
	.protected	_Z26warp_inclusive_scan_kernelIN10test_utils16custom_test_typeIfEELj63ELj7EENSt9enable_ifIXsr10test_utilsE35device_test_enabled_for_warp_size_vIXT1_EEEvE4typeEPT_S7_ ; -- Begin function _Z26warp_inclusive_scan_kernelIN10test_utils16custom_test_typeIfEELj63ELj7EENSt9enable_ifIXsr10test_utilsE35device_test_enabled_for_warp_size_vIXT1_EEEvE4typeEPT_S7_
	.globl	_Z26warp_inclusive_scan_kernelIN10test_utils16custom_test_typeIfEELj63ELj7EENSt9enable_ifIXsr10test_utilsE35device_test_enabled_for_warp_size_vIXT1_EEEvE4typeEPT_S7_
	.p2align	8
	.type	_Z26warp_inclusive_scan_kernelIN10test_utils16custom_test_typeIfEELj63ELj7EENSt9enable_ifIXsr10test_utilsE35device_test_enabled_for_warp_size_vIXT1_EEEvE4typeEPT_S7_,@function
_Z26warp_inclusive_scan_kernelIN10test_utils16custom_test_typeIfEELj63ELj7EENSt9enable_ifIXsr10test_utilsE35device_test_enabled_for_warp_size_vIXT1_EEEvE4typeEPT_S7_: ; @_Z26warp_inclusive_scan_kernelIN10test_utils16custom_test_typeIfEELj63ELj7EENSt9enable_ifIXsr10test_utilsE35device_test_enabled_for_warp_size_vIXT1_EEEvE4typeEPT_S7_
; %bb.0:
	s_load_dword s7, s[4:5], 0x1c
	s_load_dwordx4 s[0:3], s[4:5], 0x0
	v_mov_b32_e32 v2, 0
	v_mbcnt_lo_u32_b32 v5, -1, 0
	v_mbcnt_hi_u32_b32 v5, -1, v5
	s_waitcnt lgkmcnt(0)
	s_and_b32 s4, s7, 0xffff
	s_mul_i32 s6, s6, s4
	v_add_u32_e32 v1, s6, v0
	v_lshlrev_b64 v[1:2], 3, v[1:2]
	v_mov_b32_e32 v4, s1
	v_add_co_u32_e32 v3, vcc, s0, v1
	v_addc_co_u32_e32 v4, vcc, v4, v2, vcc
	global_load_dwordx2 v[3:4], v[3:4], off
	s_mov_b32 s0, 0x24924925
	v_mul_hi_u32 v6, v5, s0
	v_mul_u32_u24_e32 v0, 0x2493, v0
	v_lshrrev_b32_e32 v0, 16, v0
	v_mul_u32_u24_e32 v6, 7, v6
	v_sub_u32_e32 v5, v5, v6
	v_lshlrev_b32_e32 v6, 3, v5
	v_mad_u32_u24 v0, v0, 56, v6
	v_cmp_ne_u32_e32 vcc, 0, v5
	s_waitcnt vmcnt(0)
	ds_write_b64 v0, v[3:4]
	; wave barrier
	s_and_saveexec_b64 s[0:1], vcc
	s_cbranch_execz .LBB287_2
; %bb.1:
	v_add_u32_e32 v6, -8, v0
	ds_read_b64 v[6:7], v6
	s_waitcnt lgkmcnt(0)
	v_add_f32_e32 v3, v6, v3
	v_add_f32_e32 v4, v7, v4
.LBB287_2:
	s_or_b64 exec, exec, s[0:1]
	; wave barrier
	s_and_saveexec_b64 s[0:1], vcc
; %bb.3:
	ds_write_b64 v0, v[3:4]
; %bb.4:
	s_or_b64 exec, exec, s[0:1]
	v_cmp_lt_u32_e32 vcc, 1, v5
	; wave barrier
	s_and_saveexec_b64 s[0:1], vcc
	s_cbranch_execz .LBB287_6
; %bb.5:
	v_add_u32_e32 v6, -16, v0
	ds_read_b64 v[6:7], v6
	s_waitcnt lgkmcnt(0)
	v_add_f32_e32 v3, v3, v6
	v_add_f32_e32 v4, v4, v7
.LBB287_6:
	s_or_b64 exec, exec, s[0:1]
	; wave barrier
	s_and_saveexec_b64 s[0:1], vcc
; %bb.7:
	ds_write_b64 v0, v[3:4]
; %bb.8:
	s_or_b64 exec, exec, s[0:1]
	v_cmp_lt_u32_e32 vcc, 3, v5
	; wave barrier
	s_and_saveexec_b64 s[0:1], vcc
	s_cbranch_execz .LBB287_10
; %bb.9:
	v_subrev_u32_e32 v5, 32, v0
	ds_read_b64 v[5:6], v5
	s_waitcnt lgkmcnt(0)
	v_add_f32_e32 v3, v3, v5
	v_add_f32_e32 v4, v4, v6
.LBB287_10:
	s_or_b64 exec, exec, s[0:1]
	; wave barrier
	s_and_saveexec_b64 s[0:1], vcc
; %bb.11:
	ds_write_b64 v0, v[3:4]
; %bb.12:
	s_or_b64 exec, exec, s[0:1]
	v_mov_b32_e32 v5, s3
	v_add_co_u32_e32 v0, vcc, s2, v1
	v_addc_co_u32_e32 v1, vcc, v5, v2, vcc
	; wave barrier
	global_store_dwordx2 v[0:1], v[3:4], off
	s_endpgm
	.section	.rodata,"a",@progbits
	.p2align	6, 0x0
	.amdhsa_kernel _Z26warp_inclusive_scan_kernelIN10test_utils16custom_test_typeIfEELj63ELj7EENSt9enable_ifIXsr10test_utilsE35device_test_enabled_for_warp_size_vIXT1_EEEvE4typeEPT_S7_
		.amdhsa_group_segment_fixed_size 504
		.amdhsa_private_segment_fixed_size 0
		.amdhsa_kernarg_size 272
		.amdhsa_user_sgpr_count 6
		.amdhsa_user_sgpr_private_segment_buffer 1
		.amdhsa_user_sgpr_dispatch_ptr 0
		.amdhsa_user_sgpr_queue_ptr 0
		.amdhsa_user_sgpr_kernarg_segment_ptr 1
		.amdhsa_user_sgpr_dispatch_id 0
		.amdhsa_user_sgpr_flat_scratch_init 0
		.amdhsa_user_sgpr_private_segment_size 0
		.amdhsa_uses_dynamic_stack 0
		.amdhsa_system_sgpr_private_segment_wavefront_offset 0
		.amdhsa_system_sgpr_workgroup_id_x 1
		.amdhsa_system_sgpr_workgroup_id_y 0
		.amdhsa_system_sgpr_workgroup_id_z 0
		.amdhsa_system_sgpr_workgroup_info 0
		.amdhsa_system_vgpr_workitem_id 0
		.amdhsa_next_free_vgpr 8
		.amdhsa_next_free_sgpr 8
		.amdhsa_reserve_vcc 1
		.amdhsa_reserve_flat_scratch 0
		.amdhsa_float_round_mode_32 0
		.amdhsa_float_round_mode_16_64 0
		.amdhsa_float_denorm_mode_32 3
		.amdhsa_float_denorm_mode_16_64 3
		.amdhsa_dx10_clamp 1
		.amdhsa_ieee_mode 1
		.amdhsa_fp16_overflow 0
		.amdhsa_exception_fp_ieee_invalid_op 0
		.amdhsa_exception_fp_denorm_src 0
		.amdhsa_exception_fp_ieee_div_zero 0
		.amdhsa_exception_fp_ieee_overflow 0
		.amdhsa_exception_fp_ieee_underflow 0
		.amdhsa_exception_fp_ieee_inexact 0
		.amdhsa_exception_int_div_zero 0
	.end_amdhsa_kernel
	.section	.text._Z26warp_inclusive_scan_kernelIN10test_utils16custom_test_typeIfEELj63ELj7EENSt9enable_ifIXsr10test_utilsE35device_test_enabled_for_warp_size_vIXT1_EEEvE4typeEPT_S7_,"axG",@progbits,_Z26warp_inclusive_scan_kernelIN10test_utils16custom_test_typeIfEELj63ELj7EENSt9enable_ifIXsr10test_utilsE35device_test_enabled_for_warp_size_vIXT1_EEEvE4typeEPT_S7_,comdat
.Lfunc_end287:
	.size	_Z26warp_inclusive_scan_kernelIN10test_utils16custom_test_typeIfEELj63ELj7EENSt9enable_ifIXsr10test_utilsE35device_test_enabled_for_warp_size_vIXT1_EEEvE4typeEPT_S7_, .Lfunc_end287-_Z26warp_inclusive_scan_kernelIN10test_utils16custom_test_typeIfEELj63ELj7EENSt9enable_ifIXsr10test_utilsE35device_test_enabled_for_warp_size_vIXT1_EEEvE4typeEPT_S7_
                                        ; -- End function
	.set _Z26warp_inclusive_scan_kernelIN10test_utils16custom_test_typeIfEELj63ELj7EENSt9enable_ifIXsr10test_utilsE35device_test_enabled_for_warp_size_vIXT1_EEEvE4typeEPT_S7_.num_vgpr, 8
	.set _Z26warp_inclusive_scan_kernelIN10test_utils16custom_test_typeIfEELj63ELj7EENSt9enable_ifIXsr10test_utilsE35device_test_enabled_for_warp_size_vIXT1_EEEvE4typeEPT_S7_.num_agpr, 0
	.set _Z26warp_inclusive_scan_kernelIN10test_utils16custom_test_typeIfEELj63ELj7EENSt9enable_ifIXsr10test_utilsE35device_test_enabled_for_warp_size_vIXT1_EEEvE4typeEPT_S7_.numbered_sgpr, 8
	.set _Z26warp_inclusive_scan_kernelIN10test_utils16custom_test_typeIfEELj63ELj7EENSt9enable_ifIXsr10test_utilsE35device_test_enabled_for_warp_size_vIXT1_EEEvE4typeEPT_S7_.num_named_barrier, 0
	.set _Z26warp_inclusive_scan_kernelIN10test_utils16custom_test_typeIfEELj63ELj7EENSt9enable_ifIXsr10test_utilsE35device_test_enabled_for_warp_size_vIXT1_EEEvE4typeEPT_S7_.private_seg_size, 0
	.set _Z26warp_inclusive_scan_kernelIN10test_utils16custom_test_typeIfEELj63ELj7EENSt9enable_ifIXsr10test_utilsE35device_test_enabled_for_warp_size_vIXT1_EEEvE4typeEPT_S7_.uses_vcc, 1
	.set _Z26warp_inclusive_scan_kernelIN10test_utils16custom_test_typeIfEELj63ELj7EENSt9enable_ifIXsr10test_utilsE35device_test_enabled_for_warp_size_vIXT1_EEEvE4typeEPT_S7_.uses_flat_scratch, 0
	.set _Z26warp_inclusive_scan_kernelIN10test_utils16custom_test_typeIfEELj63ELj7EENSt9enable_ifIXsr10test_utilsE35device_test_enabled_for_warp_size_vIXT1_EEEvE4typeEPT_S7_.has_dyn_sized_stack, 0
	.set _Z26warp_inclusive_scan_kernelIN10test_utils16custom_test_typeIfEELj63ELj7EENSt9enable_ifIXsr10test_utilsE35device_test_enabled_for_warp_size_vIXT1_EEEvE4typeEPT_S7_.has_recursion, 0
	.set _Z26warp_inclusive_scan_kernelIN10test_utils16custom_test_typeIfEELj63ELj7EENSt9enable_ifIXsr10test_utilsE35device_test_enabled_for_warp_size_vIXT1_EEEvE4typeEPT_S7_.has_indirect_call, 0
	.section	.AMDGPU.csdata,"",@progbits
; Kernel info:
; codeLenInByte = 336
; TotalNumSgprs: 12
; NumVgprs: 8
; ScratchSize: 0
; MemoryBound: 0
; FloatMode: 240
; IeeeMode: 1
; LDSByteSize: 504 bytes/workgroup (compile time only)
; SGPRBlocks: 1
; VGPRBlocks: 1
; NumSGPRsForWavesPerEU: 12
; NumVGPRsForWavesPerEU: 8
; Occupancy: 10
; WaveLimiterHint : 0
; COMPUTE_PGM_RSRC2:SCRATCH_EN: 0
; COMPUTE_PGM_RSRC2:USER_SGPR: 6
; COMPUTE_PGM_RSRC2:TRAP_HANDLER: 0
; COMPUTE_PGM_RSRC2:TGID_X_EN: 1
; COMPUTE_PGM_RSRC2:TGID_Y_EN: 0
; COMPUTE_PGM_RSRC2:TGID_Z_EN: 0
; COMPUTE_PGM_RSRC2:TIDIG_COMP_CNT: 0
	.section	.text._Z26warp_inclusive_scan_kernelIN10test_utils16custom_test_typeIfEELj30ELj3EENSt9enable_ifIXsr10test_utilsE35device_test_enabled_for_warp_size_vIXT1_EEEvE4typeEPT_S7_,"axG",@progbits,_Z26warp_inclusive_scan_kernelIN10test_utils16custom_test_typeIfEELj30ELj3EENSt9enable_ifIXsr10test_utilsE35device_test_enabled_for_warp_size_vIXT1_EEEvE4typeEPT_S7_,comdat
	.protected	_Z26warp_inclusive_scan_kernelIN10test_utils16custom_test_typeIfEELj30ELj3EENSt9enable_ifIXsr10test_utilsE35device_test_enabled_for_warp_size_vIXT1_EEEvE4typeEPT_S7_ ; -- Begin function _Z26warp_inclusive_scan_kernelIN10test_utils16custom_test_typeIfEELj30ELj3EENSt9enable_ifIXsr10test_utilsE35device_test_enabled_for_warp_size_vIXT1_EEEvE4typeEPT_S7_
	.globl	_Z26warp_inclusive_scan_kernelIN10test_utils16custom_test_typeIfEELj30ELj3EENSt9enable_ifIXsr10test_utilsE35device_test_enabled_for_warp_size_vIXT1_EEEvE4typeEPT_S7_
	.p2align	8
	.type	_Z26warp_inclusive_scan_kernelIN10test_utils16custom_test_typeIfEELj30ELj3EENSt9enable_ifIXsr10test_utilsE35device_test_enabled_for_warp_size_vIXT1_EEEvE4typeEPT_S7_,@function
_Z26warp_inclusive_scan_kernelIN10test_utils16custom_test_typeIfEELj30ELj3EENSt9enable_ifIXsr10test_utilsE35device_test_enabled_for_warp_size_vIXT1_EEEvE4typeEPT_S7_: ; @_Z26warp_inclusive_scan_kernelIN10test_utils16custom_test_typeIfEELj30ELj3EENSt9enable_ifIXsr10test_utilsE35device_test_enabled_for_warp_size_vIXT1_EEEvE4typeEPT_S7_
; %bb.0:
	s_load_dword s7, s[4:5], 0x1c
	s_load_dwordx4 s[0:3], s[4:5], 0x0
	v_mov_b32_e32 v2, 0
	v_mbcnt_lo_u32_b32 v5, -1, 0
	v_mbcnt_hi_u32_b32 v6, -1, v5
	s_waitcnt lgkmcnt(0)
	s_and_b32 s4, s7, 0xffff
	s_mul_i32 s6, s6, s4
	v_add_u32_e32 v1, s6, v0
	v_lshlrev_b64 v[1:2], 3, v[1:2]
	v_mov_b32_e32 v4, s1
	v_add_co_u32_e32 v3, vcc, s0, v1
	v_addc_co_u32_e32 v4, vcc, v4, v2, vcc
	global_load_dwordx2 v[3:4], v[3:4], off
	s_mov_b32 s0, 0x55555556
	v_mul_hi_u32 v7, v6, s0
	v_mul_u32_u24_e32 v0, 0x5556, v0
	v_lshrrev_b32_e32 v5, 16, v0
	v_mul_u32_u24_e32 v0, 3, v7
	v_sub_u32_e32 v7, v6, v0
	v_lshlrev_b32_e32 v0, 3, v7
	v_mad_u32_u24 v0, v5, 24, v0
	v_cmp_ne_u32_e32 vcc, 0, v7
	s_waitcnt vmcnt(0)
	ds_write_b64 v0, v[3:4]
	; wave barrier
	s_and_saveexec_b64 s[0:1], vcc
	s_cbranch_execz .LBB288_2
; %bb.1:
	v_add_u32_e32 v6, -8, v0
	ds_read_b64 v[8:9], v6
	s_waitcnt lgkmcnt(0)
	v_add_f32_e32 v3, v8, v3
	v_add_f32_e32 v4, v9, v4
.LBB288_2:
	s_or_b64 exec, exec, s[0:1]
	v_mul_u32_u24_e32 v5, 24, v5
	; wave barrier
	s_and_saveexec_b64 s[0:1], vcc
; %bb.3:
	ds_write_b64 v0, v[3:4]
; %bb.4:
	s_or_b64 exec, exec, s[0:1]
	; wave barrier
	ds_read_b64 v[5:6], v5
	v_cmp_lt_u32_e32 vcc, 1, v7
	; wave barrier
	s_and_saveexec_b64 s[0:1], vcc
	s_cbranch_execz .LBB288_6
; %bb.5:
	s_waitcnt lgkmcnt(0)
	v_add_f32_e32 v4, v4, v6
	v_add_f32_e32 v3, v3, v5
	ds_write_b64 v0, v[3:4]
.LBB288_6:
	s_or_b64 exec, exec, s[0:1]
	s_waitcnt lgkmcnt(0)
	v_mov_b32_e32 v5, s3
	v_add_co_u32_e32 v0, vcc, s2, v1
	v_addc_co_u32_e32 v1, vcc, v5, v2, vcc
	; wave barrier
	global_store_dwordx2 v[0:1], v[3:4], off
	s_endpgm
	.section	.rodata,"a",@progbits
	.p2align	6, 0x0
	.amdhsa_kernel _Z26warp_inclusive_scan_kernelIN10test_utils16custom_test_typeIfEELj30ELj3EENSt9enable_ifIXsr10test_utilsE35device_test_enabled_for_warp_size_vIXT1_EEEvE4typeEPT_S7_
		.amdhsa_group_segment_fixed_size 240
		.amdhsa_private_segment_fixed_size 0
		.amdhsa_kernarg_size 272
		.amdhsa_user_sgpr_count 6
		.amdhsa_user_sgpr_private_segment_buffer 1
		.amdhsa_user_sgpr_dispatch_ptr 0
		.amdhsa_user_sgpr_queue_ptr 0
		.amdhsa_user_sgpr_kernarg_segment_ptr 1
		.amdhsa_user_sgpr_dispatch_id 0
		.amdhsa_user_sgpr_flat_scratch_init 0
		.amdhsa_user_sgpr_private_segment_size 0
		.amdhsa_uses_dynamic_stack 0
		.amdhsa_system_sgpr_private_segment_wavefront_offset 0
		.amdhsa_system_sgpr_workgroup_id_x 1
		.amdhsa_system_sgpr_workgroup_id_y 0
		.amdhsa_system_sgpr_workgroup_id_z 0
		.amdhsa_system_sgpr_workgroup_info 0
		.amdhsa_system_vgpr_workitem_id 0
		.amdhsa_next_free_vgpr 10
		.amdhsa_next_free_sgpr 8
		.amdhsa_reserve_vcc 1
		.amdhsa_reserve_flat_scratch 0
		.amdhsa_float_round_mode_32 0
		.amdhsa_float_round_mode_16_64 0
		.amdhsa_float_denorm_mode_32 3
		.amdhsa_float_denorm_mode_16_64 3
		.amdhsa_dx10_clamp 1
		.amdhsa_ieee_mode 1
		.amdhsa_fp16_overflow 0
		.amdhsa_exception_fp_ieee_invalid_op 0
		.amdhsa_exception_fp_denorm_src 0
		.amdhsa_exception_fp_ieee_div_zero 0
		.amdhsa_exception_fp_ieee_overflow 0
		.amdhsa_exception_fp_ieee_underflow 0
		.amdhsa_exception_fp_ieee_inexact 0
		.amdhsa_exception_int_div_zero 0
	.end_amdhsa_kernel
	.section	.text._Z26warp_inclusive_scan_kernelIN10test_utils16custom_test_typeIfEELj30ELj3EENSt9enable_ifIXsr10test_utilsE35device_test_enabled_for_warp_size_vIXT1_EEEvE4typeEPT_S7_,"axG",@progbits,_Z26warp_inclusive_scan_kernelIN10test_utils16custom_test_typeIfEELj30ELj3EENSt9enable_ifIXsr10test_utilsE35device_test_enabled_for_warp_size_vIXT1_EEEvE4typeEPT_S7_,comdat
.Lfunc_end288:
	.size	_Z26warp_inclusive_scan_kernelIN10test_utils16custom_test_typeIfEELj30ELj3EENSt9enable_ifIXsr10test_utilsE35device_test_enabled_for_warp_size_vIXT1_EEEvE4typeEPT_S7_, .Lfunc_end288-_Z26warp_inclusive_scan_kernelIN10test_utils16custom_test_typeIfEELj30ELj3EENSt9enable_ifIXsr10test_utilsE35device_test_enabled_for_warp_size_vIXT1_EEEvE4typeEPT_S7_
                                        ; -- End function
	.set _Z26warp_inclusive_scan_kernelIN10test_utils16custom_test_typeIfEELj30ELj3EENSt9enable_ifIXsr10test_utilsE35device_test_enabled_for_warp_size_vIXT1_EEEvE4typeEPT_S7_.num_vgpr, 10
	.set _Z26warp_inclusive_scan_kernelIN10test_utils16custom_test_typeIfEELj30ELj3EENSt9enable_ifIXsr10test_utilsE35device_test_enabled_for_warp_size_vIXT1_EEEvE4typeEPT_S7_.num_agpr, 0
	.set _Z26warp_inclusive_scan_kernelIN10test_utils16custom_test_typeIfEELj30ELj3EENSt9enable_ifIXsr10test_utilsE35device_test_enabled_for_warp_size_vIXT1_EEEvE4typeEPT_S7_.numbered_sgpr, 8
	.set _Z26warp_inclusive_scan_kernelIN10test_utils16custom_test_typeIfEELj30ELj3EENSt9enable_ifIXsr10test_utilsE35device_test_enabled_for_warp_size_vIXT1_EEEvE4typeEPT_S7_.num_named_barrier, 0
	.set _Z26warp_inclusive_scan_kernelIN10test_utils16custom_test_typeIfEELj30ELj3EENSt9enable_ifIXsr10test_utilsE35device_test_enabled_for_warp_size_vIXT1_EEEvE4typeEPT_S7_.private_seg_size, 0
	.set _Z26warp_inclusive_scan_kernelIN10test_utils16custom_test_typeIfEELj30ELj3EENSt9enable_ifIXsr10test_utilsE35device_test_enabled_for_warp_size_vIXT1_EEEvE4typeEPT_S7_.uses_vcc, 1
	.set _Z26warp_inclusive_scan_kernelIN10test_utils16custom_test_typeIfEELj30ELj3EENSt9enable_ifIXsr10test_utilsE35device_test_enabled_for_warp_size_vIXT1_EEEvE4typeEPT_S7_.uses_flat_scratch, 0
	.set _Z26warp_inclusive_scan_kernelIN10test_utils16custom_test_typeIfEELj30ELj3EENSt9enable_ifIXsr10test_utilsE35device_test_enabled_for_warp_size_vIXT1_EEEvE4typeEPT_S7_.has_dyn_sized_stack, 0
	.set _Z26warp_inclusive_scan_kernelIN10test_utils16custom_test_typeIfEELj30ELj3EENSt9enable_ifIXsr10test_utilsE35device_test_enabled_for_warp_size_vIXT1_EEEvE4typeEPT_S7_.has_recursion, 0
	.set _Z26warp_inclusive_scan_kernelIN10test_utils16custom_test_typeIfEELj30ELj3EENSt9enable_ifIXsr10test_utilsE35device_test_enabled_for_warp_size_vIXT1_EEEvE4typeEPT_S7_.has_indirect_call, 0
	.section	.AMDGPU.csdata,"",@progbits
; Kernel info:
; codeLenInByte = 276
; TotalNumSgprs: 12
; NumVgprs: 10
; ScratchSize: 0
; MemoryBound: 0
; FloatMode: 240
; IeeeMode: 1
; LDSByteSize: 240 bytes/workgroup (compile time only)
; SGPRBlocks: 1
; VGPRBlocks: 2
; NumSGPRsForWavesPerEU: 12
; NumVGPRsForWavesPerEU: 10
; Occupancy: 10
; WaveLimiterHint : 0
; COMPUTE_PGM_RSRC2:SCRATCH_EN: 0
; COMPUTE_PGM_RSRC2:USER_SGPR: 6
; COMPUTE_PGM_RSRC2:TRAP_HANDLER: 0
; COMPUTE_PGM_RSRC2:TGID_X_EN: 1
; COMPUTE_PGM_RSRC2:TGID_Y_EN: 0
; COMPUTE_PGM_RSRC2:TGID_Z_EN: 0
; COMPUTE_PGM_RSRC2:TIDIG_COMP_CNT: 0
	.section	.text._Z26warp_inclusive_scan_kernelIN10test_utils16custom_test_typeIfEELj63ELj3EENSt9enable_ifIXsr10test_utilsE35device_test_enabled_for_warp_size_vIXT1_EEEvE4typeEPT_S7_,"axG",@progbits,_Z26warp_inclusive_scan_kernelIN10test_utils16custom_test_typeIfEELj63ELj3EENSt9enable_ifIXsr10test_utilsE35device_test_enabled_for_warp_size_vIXT1_EEEvE4typeEPT_S7_,comdat
	.protected	_Z26warp_inclusive_scan_kernelIN10test_utils16custom_test_typeIfEELj63ELj3EENSt9enable_ifIXsr10test_utilsE35device_test_enabled_for_warp_size_vIXT1_EEEvE4typeEPT_S7_ ; -- Begin function _Z26warp_inclusive_scan_kernelIN10test_utils16custom_test_typeIfEELj63ELj3EENSt9enable_ifIXsr10test_utilsE35device_test_enabled_for_warp_size_vIXT1_EEEvE4typeEPT_S7_
	.globl	_Z26warp_inclusive_scan_kernelIN10test_utils16custom_test_typeIfEELj63ELj3EENSt9enable_ifIXsr10test_utilsE35device_test_enabled_for_warp_size_vIXT1_EEEvE4typeEPT_S7_
	.p2align	8
	.type	_Z26warp_inclusive_scan_kernelIN10test_utils16custom_test_typeIfEELj63ELj3EENSt9enable_ifIXsr10test_utilsE35device_test_enabled_for_warp_size_vIXT1_EEEvE4typeEPT_S7_,@function
_Z26warp_inclusive_scan_kernelIN10test_utils16custom_test_typeIfEELj63ELj3EENSt9enable_ifIXsr10test_utilsE35device_test_enabled_for_warp_size_vIXT1_EEEvE4typeEPT_S7_: ; @_Z26warp_inclusive_scan_kernelIN10test_utils16custom_test_typeIfEELj63ELj3EENSt9enable_ifIXsr10test_utilsE35device_test_enabled_for_warp_size_vIXT1_EEEvE4typeEPT_S7_
; %bb.0:
	s_load_dword s7, s[4:5], 0x1c
	s_load_dwordx4 s[0:3], s[4:5], 0x0
	v_mov_b32_e32 v2, 0
	v_mbcnt_lo_u32_b32 v5, -1, 0
	v_mbcnt_hi_u32_b32 v6, -1, v5
	s_waitcnt lgkmcnt(0)
	s_and_b32 s4, s7, 0xffff
	s_mul_i32 s6, s6, s4
	v_add_u32_e32 v1, s6, v0
	v_lshlrev_b64 v[1:2], 3, v[1:2]
	v_mov_b32_e32 v4, s1
	v_add_co_u32_e32 v3, vcc, s0, v1
	v_addc_co_u32_e32 v4, vcc, v4, v2, vcc
	global_load_dwordx2 v[3:4], v[3:4], off
	s_mov_b32 s0, 0x55555556
	v_mul_hi_u32 v7, v6, s0
	v_mul_u32_u24_e32 v0, 0x5556, v0
	v_lshrrev_b32_e32 v5, 16, v0
	v_mul_u32_u24_e32 v0, 3, v7
	v_sub_u32_e32 v7, v6, v0
	v_lshlrev_b32_e32 v0, 3, v7
	v_mad_u32_u24 v0, v5, 24, v0
	v_cmp_ne_u32_e32 vcc, 0, v7
	s_waitcnt vmcnt(0)
	ds_write_b64 v0, v[3:4]
	; wave barrier
	s_and_saveexec_b64 s[0:1], vcc
	s_cbranch_execz .LBB289_2
; %bb.1:
	v_add_u32_e32 v6, -8, v0
	ds_read_b64 v[8:9], v6
	s_waitcnt lgkmcnt(0)
	v_add_f32_e32 v3, v8, v3
	v_add_f32_e32 v4, v9, v4
.LBB289_2:
	s_or_b64 exec, exec, s[0:1]
	v_mul_u32_u24_e32 v5, 24, v5
	; wave barrier
	s_and_saveexec_b64 s[0:1], vcc
; %bb.3:
	ds_write_b64 v0, v[3:4]
; %bb.4:
	s_or_b64 exec, exec, s[0:1]
	; wave barrier
	ds_read_b64 v[5:6], v5
	v_cmp_lt_u32_e32 vcc, 1, v7
	; wave barrier
	s_and_saveexec_b64 s[0:1], vcc
	s_cbranch_execz .LBB289_6
; %bb.5:
	s_waitcnt lgkmcnt(0)
	v_add_f32_e32 v4, v4, v6
	v_add_f32_e32 v3, v3, v5
	ds_write_b64 v0, v[3:4]
.LBB289_6:
	s_or_b64 exec, exec, s[0:1]
	s_waitcnt lgkmcnt(0)
	v_mov_b32_e32 v5, s3
	v_add_co_u32_e32 v0, vcc, s2, v1
	v_addc_co_u32_e32 v1, vcc, v5, v2, vcc
	; wave barrier
	global_store_dwordx2 v[0:1], v[3:4], off
	s_endpgm
	.section	.rodata,"a",@progbits
	.p2align	6, 0x0
	.amdhsa_kernel _Z26warp_inclusive_scan_kernelIN10test_utils16custom_test_typeIfEELj63ELj3EENSt9enable_ifIXsr10test_utilsE35device_test_enabled_for_warp_size_vIXT1_EEEvE4typeEPT_S7_
		.amdhsa_group_segment_fixed_size 504
		.amdhsa_private_segment_fixed_size 0
		.amdhsa_kernarg_size 272
		.amdhsa_user_sgpr_count 6
		.amdhsa_user_sgpr_private_segment_buffer 1
		.amdhsa_user_sgpr_dispatch_ptr 0
		.amdhsa_user_sgpr_queue_ptr 0
		.amdhsa_user_sgpr_kernarg_segment_ptr 1
		.amdhsa_user_sgpr_dispatch_id 0
		.amdhsa_user_sgpr_flat_scratch_init 0
		.amdhsa_user_sgpr_private_segment_size 0
		.amdhsa_uses_dynamic_stack 0
		.amdhsa_system_sgpr_private_segment_wavefront_offset 0
		.amdhsa_system_sgpr_workgroup_id_x 1
		.amdhsa_system_sgpr_workgroup_id_y 0
		.amdhsa_system_sgpr_workgroup_id_z 0
		.amdhsa_system_sgpr_workgroup_info 0
		.amdhsa_system_vgpr_workitem_id 0
		.amdhsa_next_free_vgpr 10
		.amdhsa_next_free_sgpr 8
		.amdhsa_reserve_vcc 1
		.amdhsa_reserve_flat_scratch 0
		.amdhsa_float_round_mode_32 0
		.amdhsa_float_round_mode_16_64 0
		.amdhsa_float_denorm_mode_32 3
		.amdhsa_float_denorm_mode_16_64 3
		.amdhsa_dx10_clamp 1
		.amdhsa_ieee_mode 1
		.amdhsa_fp16_overflow 0
		.amdhsa_exception_fp_ieee_invalid_op 0
		.amdhsa_exception_fp_denorm_src 0
		.amdhsa_exception_fp_ieee_div_zero 0
		.amdhsa_exception_fp_ieee_overflow 0
		.amdhsa_exception_fp_ieee_underflow 0
		.amdhsa_exception_fp_ieee_inexact 0
		.amdhsa_exception_int_div_zero 0
	.end_amdhsa_kernel
	.section	.text._Z26warp_inclusive_scan_kernelIN10test_utils16custom_test_typeIfEELj63ELj3EENSt9enable_ifIXsr10test_utilsE35device_test_enabled_for_warp_size_vIXT1_EEEvE4typeEPT_S7_,"axG",@progbits,_Z26warp_inclusive_scan_kernelIN10test_utils16custom_test_typeIfEELj63ELj3EENSt9enable_ifIXsr10test_utilsE35device_test_enabled_for_warp_size_vIXT1_EEEvE4typeEPT_S7_,comdat
.Lfunc_end289:
	.size	_Z26warp_inclusive_scan_kernelIN10test_utils16custom_test_typeIfEELj63ELj3EENSt9enable_ifIXsr10test_utilsE35device_test_enabled_for_warp_size_vIXT1_EEEvE4typeEPT_S7_, .Lfunc_end289-_Z26warp_inclusive_scan_kernelIN10test_utils16custom_test_typeIfEELj63ELj3EENSt9enable_ifIXsr10test_utilsE35device_test_enabled_for_warp_size_vIXT1_EEEvE4typeEPT_S7_
                                        ; -- End function
	.set _Z26warp_inclusive_scan_kernelIN10test_utils16custom_test_typeIfEELj63ELj3EENSt9enable_ifIXsr10test_utilsE35device_test_enabled_for_warp_size_vIXT1_EEEvE4typeEPT_S7_.num_vgpr, 10
	.set _Z26warp_inclusive_scan_kernelIN10test_utils16custom_test_typeIfEELj63ELj3EENSt9enable_ifIXsr10test_utilsE35device_test_enabled_for_warp_size_vIXT1_EEEvE4typeEPT_S7_.num_agpr, 0
	.set _Z26warp_inclusive_scan_kernelIN10test_utils16custom_test_typeIfEELj63ELj3EENSt9enable_ifIXsr10test_utilsE35device_test_enabled_for_warp_size_vIXT1_EEEvE4typeEPT_S7_.numbered_sgpr, 8
	.set _Z26warp_inclusive_scan_kernelIN10test_utils16custom_test_typeIfEELj63ELj3EENSt9enable_ifIXsr10test_utilsE35device_test_enabled_for_warp_size_vIXT1_EEEvE4typeEPT_S7_.num_named_barrier, 0
	.set _Z26warp_inclusive_scan_kernelIN10test_utils16custom_test_typeIfEELj63ELj3EENSt9enable_ifIXsr10test_utilsE35device_test_enabled_for_warp_size_vIXT1_EEEvE4typeEPT_S7_.private_seg_size, 0
	.set _Z26warp_inclusive_scan_kernelIN10test_utils16custom_test_typeIfEELj63ELj3EENSt9enable_ifIXsr10test_utilsE35device_test_enabled_for_warp_size_vIXT1_EEEvE4typeEPT_S7_.uses_vcc, 1
	.set _Z26warp_inclusive_scan_kernelIN10test_utils16custom_test_typeIfEELj63ELj3EENSt9enable_ifIXsr10test_utilsE35device_test_enabled_for_warp_size_vIXT1_EEEvE4typeEPT_S7_.uses_flat_scratch, 0
	.set _Z26warp_inclusive_scan_kernelIN10test_utils16custom_test_typeIfEELj63ELj3EENSt9enable_ifIXsr10test_utilsE35device_test_enabled_for_warp_size_vIXT1_EEEvE4typeEPT_S7_.has_dyn_sized_stack, 0
	.set _Z26warp_inclusive_scan_kernelIN10test_utils16custom_test_typeIfEELj63ELj3EENSt9enable_ifIXsr10test_utilsE35device_test_enabled_for_warp_size_vIXT1_EEEvE4typeEPT_S7_.has_recursion, 0
	.set _Z26warp_inclusive_scan_kernelIN10test_utils16custom_test_typeIfEELj63ELj3EENSt9enable_ifIXsr10test_utilsE35device_test_enabled_for_warp_size_vIXT1_EEEvE4typeEPT_S7_.has_indirect_call, 0
	.section	.AMDGPU.csdata,"",@progbits
; Kernel info:
; codeLenInByte = 276
; TotalNumSgprs: 12
; NumVgprs: 10
; ScratchSize: 0
; MemoryBound: 0
; FloatMode: 240
; IeeeMode: 1
; LDSByteSize: 504 bytes/workgroup (compile time only)
; SGPRBlocks: 1
; VGPRBlocks: 2
; NumSGPRsForWavesPerEU: 12
; NumVGPRsForWavesPerEU: 10
; Occupancy: 10
; WaveLimiterHint : 0
; COMPUTE_PGM_RSRC2:SCRATCH_EN: 0
; COMPUTE_PGM_RSRC2:USER_SGPR: 6
; COMPUTE_PGM_RSRC2:TRAP_HANDLER: 0
; COMPUTE_PGM_RSRC2:TGID_X_EN: 1
; COMPUTE_PGM_RSRC2:TGID_Y_EN: 0
; COMPUTE_PGM_RSRC2:TGID_Z_EN: 0
; COMPUTE_PGM_RSRC2:TIDIG_COMP_CNT: 0
	.section	.text._Z26warp_inclusive_scan_kernelIN10test_utils16custom_test_typeIiEELj1ELj61EENSt9enable_ifIXsr10test_utilsE35device_test_enabled_for_warp_size_vIXT1_EEEvE4typeEPT_S7_,"axG",@progbits,_Z26warp_inclusive_scan_kernelIN10test_utils16custom_test_typeIiEELj1ELj61EENSt9enable_ifIXsr10test_utilsE35device_test_enabled_for_warp_size_vIXT1_EEEvE4typeEPT_S7_,comdat
	.protected	_Z26warp_inclusive_scan_kernelIN10test_utils16custom_test_typeIiEELj1ELj61EENSt9enable_ifIXsr10test_utilsE35device_test_enabled_for_warp_size_vIXT1_EEEvE4typeEPT_S7_ ; -- Begin function _Z26warp_inclusive_scan_kernelIN10test_utils16custom_test_typeIiEELj1ELj61EENSt9enable_ifIXsr10test_utilsE35device_test_enabled_for_warp_size_vIXT1_EEEvE4typeEPT_S7_
	.globl	_Z26warp_inclusive_scan_kernelIN10test_utils16custom_test_typeIiEELj1ELj61EENSt9enable_ifIXsr10test_utilsE35device_test_enabled_for_warp_size_vIXT1_EEEvE4typeEPT_S7_
	.p2align	8
	.type	_Z26warp_inclusive_scan_kernelIN10test_utils16custom_test_typeIiEELj1ELj61EENSt9enable_ifIXsr10test_utilsE35device_test_enabled_for_warp_size_vIXT1_EEEvE4typeEPT_S7_,@function
_Z26warp_inclusive_scan_kernelIN10test_utils16custom_test_typeIiEELj1ELj61EENSt9enable_ifIXsr10test_utilsE35device_test_enabled_for_warp_size_vIXT1_EEEvE4typeEPT_S7_: ; @_Z26warp_inclusive_scan_kernelIN10test_utils16custom_test_typeIiEELj1ELj61EENSt9enable_ifIXsr10test_utilsE35device_test_enabled_for_warp_size_vIXT1_EEEvE4typeEPT_S7_
; %bb.0:
	s_load_dword s7, s[4:5], 0x1c
	s_load_dwordx4 s[0:3], s[4:5], 0x0
	s_mov_b32 s5, 0
	v_mbcnt_lo_u32_b32 v0, -1, 0
	v_mbcnt_hi_u32_b32 v0, -1, v0
	s_waitcnt lgkmcnt(0)
	s_and_b32 s4, s7, 0xffff
	s_mul_i32 s4, s6, s4
	s_lshl_b64 s[4:5], s[4:5], 3
	s_mov_b32 s6, 0x4325c54
	v_mul_hi_u32 v1, v0, s6
	s_add_u32 s6, s0, s4
	s_addc_u32 s7, s1, s5
	s_load_dwordx2 s[0:1], s[6:7], 0x0
	v_mul_u32_u24_e32 v1, 61, v1
	v_sub_u32_e32 v3, v0, v1
	v_cmp_eq_u32_e32 vcc, 0, v3
	v_readfirstlane_b32 s6, v3
	s_waitcnt lgkmcnt(0)
	v_mov_b32_e32 v0, s0
	v_lshlrev_b32_e32 v2, 3, v3
	v_mov_b32_e32 v1, s1
	s_and_b64 s[8:9], vcc, exec
	v_cmp_ne_u32_e32 vcc, 0, v3
	ds_write_b64 v2, v[0:1]
	; wave barrier
	s_cbranch_scc1 .LBB290_2
; %bb.1:
	v_add_u32_e32 v0, -8, v2
	ds_read_b64 v[0:1], v0
	s_waitcnt lgkmcnt(0)
	v_add_u32_e32 v0, s0, v0
	v_add_u32_e32 v1, s1, v1
	s_branch .LBB290_3
.LBB290_2:
	v_mov_b32_e32 v0, s0
	v_mov_b32_e32 v1, s1
.LBB290_3:
	s_andn2_b64 vcc, exec, vcc
	; wave barrier
	s_cbranch_vccnz .LBB290_5
; %bb.4:
	ds_write_b64 v2, v[0:1]
.LBB290_5:
	s_cmp_gt_u32 s6, 1
	s_cselect_b64 s[0:1], -1, 0
	s_cmp_lt_u32 s6, 2
	; wave barrier
	s_cbranch_scc1 .LBB290_7
; %bb.6:
	v_add_u32_e32 v3, -16, v2
	ds_read_b64 v[3:4], v3
	s_waitcnt lgkmcnt(0)
	v_add_u32_e32 v0, v0, v3
	v_add_u32_e32 v1, v1, v4
.LBB290_7:
	s_andn2_b64 vcc, exec, s[0:1]
	; wave barrier
	s_cbranch_vccnz .LBB290_9
; %bb.8:
	ds_write_b64 v2, v[0:1]
.LBB290_9:
	s_cmp_gt_u32 s6, 3
	s_cselect_b64 s[0:1], -1, 0
	s_cmp_lt_u32 s6, 4
	; wave barrier
	s_cbranch_scc1 .LBB290_11
; %bb.10:
	v_subrev_u32_e32 v3, 32, v2
	ds_read_b64 v[3:4], v3
	s_waitcnt lgkmcnt(0)
	v_add_u32_e32 v0, v0, v3
	v_add_u32_e32 v1, v1, v4
.LBB290_11:
	s_andn2_b64 vcc, exec, s[0:1]
	; wave barrier
	s_cbranch_vccnz .LBB290_13
; %bb.12:
	ds_write_b64 v2, v[0:1]
.LBB290_13:
	s_cmp_gt_u32 s6, 7
	s_cselect_b64 s[0:1], -1, 0
	s_cmp_lt_u32 s6, 8
	; wave barrier
	s_cbranch_scc1 .LBB290_15
; %bb.14:
	v_subrev_u32_e32 v3, 64, v2
	ds_read_b64 v[3:4], v3
	s_waitcnt lgkmcnt(0)
	v_add_u32_e32 v0, v0, v3
	v_add_u32_e32 v1, v1, v4
.LBB290_15:
	s_andn2_b64 vcc, exec, s[0:1]
	; wave barrier
	s_cbranch_vccnz .LBB290_17
; %bb.16:
	ds_write_b64 v2, v[0:1]
.LBB290_17:
	s_cmp_gt_u32 s6, 15
	s_cselect_b64 s[0:1], -1, 0
	s_cmp_lt_u32 s6, 16
	; wave barrier
	s_cbranch_scc1 .LBB290_19
; %bb.18:
	v_add_u32_e32 v3, 0xffffff80, v2
	ds_read_b64 v[3:4], v3
	s_waitcnt lgkmcnt(0)
	v_add_u32_e32 v0, v0, v3
	v_add_u32_e32 v1, v1, v4
.LBB290_19:
	s_andn2_b64 vcc, exec, s[0:1]
	; wave barrier
	s_cbranch_vccnz .LBB290_21
; %bb.20:
	ds_write_b64 v2, v[0:1]
.LBB290_21:
	s_cmp_gt_u32 s6, 31
	s_cselect_b64 s[0:1], -1, 0
	s_cmp_lt_u32 s6, 32
	; wave barrier
	s_cbranch_scc1 .LBB290_23
; %bb.22:
	v_add_u32_e32 v3, 0xffffff00, v2
	ds_read_b64 v[3:4], v3
	s_waitcnt lgkmcnt(0)
	v_add_u32_e32 v0, v0, v3
	v_add_u32_e32 v1, v1, v4
.LBB290_23:
	s_andn2_b64 vcc, exec, s[0:1]
	; wave barrier
	s_cbranch_vccnz .LBB290_25
; %bb.24:
	ds_write_b64 v2, v[0:1]
.LBB290_25:
	s_add_u32 s0, s2, s4
	s_addc_u32 s1, s3, s5
	v_mov_b32_e32 v2, 0
	; wave barrier
	global_store_dwordx2 v2, v[0:1], s[0:1]
	s_endpgm
	.section	.rodata,"a",@progbits
	.p2align	6, 0x0
	.amdhsa_kernel _Z26warp_inclusive_scan_kernelIN10test_utils16custom_test_typeIiEELj1ELj61EENSt9enable_ifIXsr10test_utilsE35device_test_enabled_for_warp_size_vIXT1_EEEvE4typeEPT_S7_
		.amdhsa_group_segment_fixed_size 488
		.amdhsa_private_segment_fixed_size 0
		.amdhsa_kernarg_size 272
		.amdhsa_user_sgpr_count 6
		.amdhsa_user_sgpr_private_segment_buffer 1
		.amdhsa_user_sgpr_dispatch_ptr 0
		.amdhsa_user_sgpr_queue_ptr 0
		.amdhsa_user_sgpr_kernarg_segment_ptr 1
		.amdhsa_user_sgpr_dispatch_id 0
		.amdhsa_user_sgpr_flat_scratch_init 0
		.amdhsa_user_sgpr_private_segment_size 0
		.amdhsa_uses_dynamic_stack 0
		.amdhsa_system_sgpr_private_segment_wavefront_offset 0
		.amdhsa_system_sgpr_workgroup_id_x 1
		.amdhsa_system_sgpr_workgroup_id_y 0
		.amdhsa_system_sgpr_workgroup_id_z 0
		.amdhsa_system_sgpr_workgroup_info 0
		.amdhsa_system_vgpr_workitem_id 0
		.amdhsa_next_free_vgpr 5
		.amdhsa_next_free_sgpr 10
		.amdhsa_reserve_vcc 1
		.amdhsa_reserve_flat_scratch 0
		.amdhsa_float_round_mode_32 0
		.amdhsa_float_round_mode_16_64 0
		.amdhsa_float_denorm_mode_32 3
		.amdhsa_float_denorm_mode_16_64 3
		.amdhsa_dx10_clamp 1
		.amdhsa_ieee_mode 1
		.amdhsa_fp16_overflow 0
		.amdhsa_exception_fp_ieee_invalid_op 0
		.amdhsa_exception_fp_denorm_src 0
		.amdhsa_exception_fp_ieee_div_zero 0
		.amdhsa_exception_fp_ieee_overflow 0
		.amdhsa_exception_fp_ieee_underflow 0
		.amdhsa_exception_fp_ieee_inexact 0
		.amdhsa_exception_int_div_zero 0
	.end_amdhsa_kernel
	.section	.text._Z26warp_inclusive_scan_kernelIN10test_utils16custom_test_typeIiEELj1ELj61EENSt9enable_ifIXsr10test_utilsE35device_test_enabled_for_warp_size_vIXT1_EEEvE4typeEPT_S7_,"axG",@progbits,_Z26warp_inclusive_scan_kernelIN10test_utils16custom_test_typeIiEELj1ELj61EENSt9enable_ifIXsr10test_utilsE35device_test_enabled_for_warp_size_vIXT1_EEEvE4typeEPT_S7_,comdat
.Lfunc_end290:
	.size	_Z26warp_inclusive_scan_kernelIN10test_utils16custom_test_typeIiEELj1ELj61EENSt9enable_ifIXsr10test_utilsE35device_test_enabled_for_warp_size_vIXT1_EEEvE4typeEPT_S7_, .Lfunc_end290-_Z26warp_inclusive_scan_kernelIN10test_utils16custom_test_typeIiEELj1ELj61EENSt9enable_ifIXsr10test_utilsE35device_test_enabled_for_warp_size_vIXT1_EEEvE4typeEPT_S7_
                                        ; -- End function
	.set _Z26warp_inclusive_scan_kernelIN10test_utils16custom_test_typeIiEELj1ELj61EENSt9enable_ifIXsr10test_utilsE35device_test_enabled_for_warp_size_vIXT1_EEEvE4typeEPT_S7_.num_vgpr, 5
	.set _Z26warp_inclusive_scan_kernelIN10test_utils16custom_test_typeIiEELj1ELj61EENSt9enable_ifIXsr10test_utilsE35device_test_enabled_for_warp_size_vIXT1_EEEvE4typeEPT_S7_.num_agpr, 0
	.set _Z26warp_inclusive_scan_kernelIN10test_utils16custom_test_typeIiEELj1ELj61EENSt9enable_ifIXsr10test_utilsE35device_test_enabled_for_warp_size_vIXT1_EEEvE4typeEPT_S7_.numbered_sgpr, 10
	.set _Z26warp_inclusive_scan_kernelIN10test_utils16custom_test_typeIiEELj1ELj61EENSt9enable_ifIXsr10test_utilsE35device_test_enabled_for_warp_size_vIXT1_EEEvE4typeEPT_S7_.num_named_barrier, 0
	.set _Z26warp_inclusive_scan_kernelIN10test_utils16custom_test_typeIiEELj1ELj61EENSt9enable_ifIXsr10test_utilsE35device_test_enabled_for_warp_size_vIXT1_EEEvE4typeEPT_S7_.private_seg_size, 0
	.set _Z26warp_inclusive_scan_kernelIN10test_utils16custom_test_typeIiEELj1ELj61EENSt9enable_ifIXsr10test_utilsE35device_test_enabled_for_warp_size_vIXT1_EEEvE4typeEPT_S7_.uses_vcc, 1
	.set _Z26warp_inclusive_scan_kernelIN10test_utils16custom_test_typeIiEELj1ELj61EENSt9enable_ifIXsr10test_utilsE35device_test_enabled_for_warp_size_vIXT1_EEEvE4typeEPT_S7_.uses_flat_scratch, 0
	.set _Z26warp_inclusive_scan_kernelIN10test_utils16custom_test_typeIiEELj1ELj61EENSt9enable_ifIXsr10test_utilsE35device_test_enabled_for_warp_size_vIXT1_EEEvE4typeEPT_S7_.has_dyn_sized_stack, 0
	.set _Z26warp_inclusive_scan_kernelIN10test_utils16custom_test_typeIiEELj1ELj61EENSt9enable_ifIXsr10test_utilsE35device_test_enabled_for_warp_size_vIXT1_EEEvE4typeEPT_S7_.has_recursion, 0
	.set _Z26warp_inclusive_scan_kernelIN10test_utils16custom_test_typeIiEELj1ELj61EENSt9enable_ifIXsr10test_utilsE35device_test_enabled_for_warp_size_vIXT1_EEEvE4typeEPT_S7_.has_indirect_call, 0
	.section	.AMDGPU.csdata,"",@progbits
; Kernel info:
; codeLenInByte = 504
; TotalNumSgprs: 14
; NumVgprs: 5
; ScratchSize: 0
; MemoryBound: 0
; FloatMode: 240
; IeeeMode: 1
; LDSByteSize: 488 bytes/workgroup (compile time only)
; SGPRBlocks: 1
; VGPRBlocks: 1
; NumSGPRsForWavesPerEU: 14
; NumVGPRsForWavesPerEU: 5
; Occupancy: 10
; WaveLimiterHint : 0
; COMPUTE_PGM_RSRC2:SCRATCH_EN: 0
; COMPUTE_PGM_RSRC2:USER_SGPR: 6
; COMPUTE_PGM_RSRC2:TRAP_HANDLER: 0
; COMPUTE_PGM_RSRC2:TGID_X_EN: 1
; COMPUTE_PGM_RSRC2:TGID_Y_EN: 0
; COMPUTE_PGM_RSRC2:TGID_Z_EN: 0
; COMPUTE_PGM_RSRC2:TIDIG_COMP_CNT: 0
	.section	.text._Z26warp_inclusive_scan_kernelIN10test_utils16custom_test_typeIiEELj61ELj61EENSt9enable_ifIXsr10test_utilsE35device_test_enabled_for_warp_size_vIXT1_EEEvE4typeEPT_S7_,"axG",@progbits,_Z26warp_inclusive_scan_kernelIN10test_utils16custom_test_typeIiEELj61ELj61EENSt9enable_ifIXsr10test_utilsE35device_test_enabled_for_warp_size_vIXT1_EEEvE4typeEPT_S7_,comdat
	.protected	_Z26warp_inclusive_scan_kernelIN10test_utils16custom_test_typeIiEELj61ELj61EENSt9enable_ifIXsr10test_utilsE35device_test_enabled_for_warp_size_vIXT1_EEEvE4typeEPT_S7_ ; -- Begin function _Z26warp_inclusive_scan_kernelIN10test_utils16custom_test_typeIiEELj61ELj61EENSt9enable_ifIXsr10test_utilsE35device_test_enabled_for_warp_size_vIXT1_EEEvE4typeEPT_S7_
	.globl	_Z26warp_inclusive_scan_kernelIN10test_utils16custom_test_typeIiEELj61ELj61EENSt9enable_ifIXsr10test_utilsE35device_test_enabled_for_warp_size_vIXT1_EEEvE4typeEPT_S7_
	.p2align	8
	.type	_Z26warp_inclusive_scan_kernelIN10test_utils16custom_test_typeIiEELj61ELj61EENSt9enable_ifIXsr10test_utilsE35device_test_enabled_for_warp_size_vIXT1_EEEvE4typeEPT_S7_,@function
_Z26warp_inclusive_scan_kernelIN10test_utils16custom_test_typeIiEELj61ELj61EENSt9enable_ifIXsr10test_utilsE35device_test_enabled_for_warp_size_vIXT1_EEEvE4typeEPT_S7_: ; @_Z26warp_inclusive_scan_kernelIN10test_utils16custom_test_typeIiEELj61ELj61EENSt9enable_ifIXsr10test_utilsE35device_test_enabled_for_warp_size_vIXT1_EEEvE4typeEPT_S7_
; %bb.0:
	s_load_dword s7, s[4:5], 0x1c
	s_load_dwordx4 s[0:3], s[4:5], 0x0
	v_mov_b32_e32 v2, 0
	v_mbcnt_lo_u32_b32 v5, -1, 0
	v_mbcnt_hi_u32_b32 v5, -1, v5
	s_waitcnt lgkmcnt(0)
	s_and_b32 s4, s7, 0xffff
	s_mul_i32 s6, s6, s4
	v_add_u32_e32 v1, s6, v0
	v_lshlrev_b64 v[1:2], 3, v[1:2]
	v_mov_b32_e32 v4, s1
	v_add_co_u32_e32 v3, vcc, s0, v1
	v_addc_co_u32_e32 v4, vcc, v4, v2, vcc
	global_load_dwordx2 v[3:4], v[3:4], off
	s_mov_b32 s0, 0x4325c54
	v_mul_hi_u32 v6, v5, s0
	v_mul_u32_u24_e32 v0, 0x433, v0
	s_movk_i32 s0, 0x1e8
	v_lshrrev_b32_e32 v0, 16, v0
	v_mul_u32_u24_e32 v6, 61, v6
	v_sub_u32_e32 v5, v5, v6
	v_lshlrev_b32_e32 v6, 3, v5
	v_mad_u32_u24 v0, v0, s0, v6
	v_cmp_ne_u32_e32 vcc, 0, v5
	s_waitcnt vmcnt(0)
	ds_write_b64 v0, v[3:4]
	; wave barrier
	s_and_saveexec_b64 s[0:1], vcc
	s_cbranch_execz .LBB291_2
; %bb.1:
	v_add_u32_e32 v6, -8, v0
	ds_read_b64 v[6:7], v6
	s_waitcnt lgkmcnt(0)
	v_add_u32_e32 v3, v6, v3
	v_add_u32_e32 v4, v7, v4
.LBB291_2:
	s_or_b64 exec, exec, s[0:1]
	; wave barrier
	s_and_saveexec_b64 s[0:1], vcc
; %bb.3:
	ds_write_b64 v0, v[3:4]
; %bb.4:
	s_or_b64 exec, exec, s[0:1]
	v_cmp_lt_u32_e32 vcc, 1, v5
	; wave barrier
	s_and_saveexec_b64 s[0:1], vcc
	s_cbranch_execz .LBB291_6
; %bb.5:
	v_add_u32_e32 v6, -16, v0
	ds_read_b64 v[6:7], v6
	s_waitcnt lgkmcnt(0)
	v_add_u32_e32 v3, v3, v6
	v_add_u32_e32 v4, v4, v7
.LBB291_6:
	s_or_b64 exec, exec, s[0:1]
	; wave barrier
	s_and_saveexec_b64 s[0:1], vcc
; %bb.7:
	ds_write_b64 v0, v[3:4]
; %bb.8:
	s_or_b64 exec, exec, s[0:1]
	v_cmp_lt_u32_e32 vcc, 3, v5
	; wave barrier
	s_and_saveexec_b64 s[0:1], vcc
	s_cbranch_execz .LBB291_10
; %bb.9:
	v_subrev_u32_e32 v6, 32, v0
	ds_read_b64 v[6:7], v6
	s_waitcnt lgkmcnt(0)
	v_add_u32_e32 v3, v3, v6
	v_add_u32_e32 v4, v4, v7
.LBB291_10:
	s_or_b64 exec, exec, s[0:1]
	; wave barrier
	s_and_saveexec_b64 s[0:1], vcc
; %bb.11:
	ds_write_b64 v0, v[3:4]
; %bb.12:
	s_or_b64 exec, exec, s[0:1]
	v_cmp_lt_u32_e32 vcc, 7, v5
	; wave barrier
	s_and_saveexec_b64 s[0:1], vcc
	s_cbranch_execz .LBB291_14
; %bb.13:
	v_subrev_u32_e32 v6, 64, v0
	ds_read_b64 v[6:7], v6
	s_waitcnt lgkmcnt(0)
	v_add_u32_e32 v3, v3, v6
	v_add_u32_e32 v4, v4, v7
.LBB291_14:
	s_or_b64 exec, exec, s[0:1]
	; wave barrier
	s_and_saveexec_b64 s[0:1], vcc
; %bb.15:
	ds_write_b64 v0, v[3:4]
; %bb.16:
	s_or_b64 exec, exec, s[0:1]
	v_cmp_lt_u32_e32 vcc, 15, v5
	; wave barrier
	s_and_saveexec_b64 s[0:1], vcc
	s_cbranch_execz .LBB291_18
; %bb.17:
	v_add_u32_e32 v6, 0xffffff80, v0
	ds_read_b64 v[6:7], v6
	s_waitcnt lgkmcnt(0)
	v_add_u32_e32 v3, v3, v6
	v_add_u32_e32 v4, v4, v7
.LBB291_18:
	s_or_b64 exec, exec, s[0:1]
	; wave barrier
	s_and_saveexec_b64 s[0:1], vcc
; %bb.19:
	ds_write_b64 v0, v[3:4]
; %bb.20:
	s_or_b64 exec, exec, s[0:1]
	v_cmp_lt_u32_e32 vcc, 31, v5
	; wave barrier
	s_and_saveexec_b64 s[0:1], vcc
	s_cbranch_execz .LBB291_22
; %bb.21:
	v_add_u32_e32 v5, 0xffffff00, v0
	ds_read_b64 v[5:6], v5
	s_waitcnt lgkmcnt(0)
	v_add_u32_e32 v3, v3, v5
	v_add_u32_e32 v4, v4, v6
.LBB291_22:
	s_or_b64 exec, exec, s[0:1]
	; wave barrier
	s_and_saveexec_b64 s[0:1], vcc
; %bb.23:
	ds_write_b64 v0, v[3:4]
; %bb.24:
	s_or_b64 exec, exec, s[0:1]
	v_mov_b32_e32 v5, s3
	v_add_co_u32_e32 v0, vcc, s2, v1
	v_addc_co_u32_e32 v1, vcc, v5, v2, vcc
	; wave barrier
	global_store_dwordx2 v[0:1], v[3:4], off
	s_endpgm
	.section	.rodata,"a",@progbits
	.p2align	6, 0x0
	.amdhsa_kernel _Z26warp_inclusive_scan_kernelIN10test_utils16custom_test_typeIiEELj61ELj61EENSt9enable_ifIXsr10test_utilsE35device_test_enabled_for_warp_size_vIXT1_EEEvE4typeEPT_S7_
		.amdhsa_group_segment_fixed_size 488
		.amdhsa_private_segment_fixed_size 0
		.amdhsa_kernarg_size 272
		.amdhsa_user_sgpr_count 6
		.amdhsa_user_sgpr_private_segment_buffer 1
		.amdhsa_user_sgpr_dispatch_ptr 0
		.amdhsa_user_sgpr_queue_ptr 0
		.amdhsa_user_sgpr_kernarg_segment_ptr 1
		.amdhsa_user_sgpr_dispatch_id 0
		.amdhsa_user_sgpr_flat_scratch_init 0
		.amdhsa_user_sgpr_private_segment_size 0
		.amdhsa_uses_dynamic_stack 0
		.amdhsa_system_sgpr_private_segment_wavefront_offset 0
		.amdhsa_system_sgpr_workgroup_id_x 1
		.amdhsa_system_sgpr_workgroup_id_y 0
		.amdhsa_system_sgpr_workgroup_id_z 0
		.amdhsa_system_sgpr_workgroup_info 0
		.amdhsa_system_vgpr_workitem_id 0
		.amdhsa_next_free_vgpr 8
		.amdhsa_next_free_sgpr 8
		.amdhsa_reserve_vcc 1
		.amdhsa_reserve_flat_scratch 0
		.amdhsa_float_round_mode_32 0
		.amdhsa_float_round_mode_16_64 0
		.amdhsa_float_denorm_mode_32 3
		.amdhsa_float_denorm_mode_16_64 3
		.amdhsa_dx10_clamp 1
		.amdhsa_ieee_mode 1
		.amdhsa_fp16_overflow 0
		.amdhsa_exception_fp_ieee_invalid_op 0
		.amdhsa_exception_fp_denorm_src 0
		.amdhsa_exception_fp_ieee_div_zero 0
		.amdhsa_exception_fp_ieee_overflow 0
		.amdhsa_exception_fp_ieee_underflow 0
		.amdhsa_exception_fp_ieee_inexact 0
		.amdhsa_exception_int_div_zero 0
	.end_amdhsa_kernel
	.section	.text._Z26warp_inclusive_scan_kernelIN10test_utils16custom_test_typeIiEELj61ELj61EENSt9enable_ifIXsr10test_utilsE35device_test_enabled_for_warp_size_vIXT1_EEEvE4typeEPT_S7_,"axG",@progbits,_Z26warp_inclusive_scan_kernelIN10test_utils16custom_test_typeIiEELj61ELj61EENSt9enable_ifIXsr10test_utilsE35device_test_enabled_for_warp_size_vIXT1_EEEvE4typeEPT_S7_,comdat
.Lfunc_end291:
	.size	_Z26warp_inclusive_scan_kernelIN10test_utils16custom_test_typeIiEELj61ELj61EENSt9enable_ifIXsr10test_utilsE35device_test_enabled_for_warp_size_vIXT1_EEEvE4typeEPT_S7_, .Lfunc_end291-_Z26warp_inclusive_scan_kernelIN10test_utils16custom_test_typeIiEELj61ELj61EENSt9enable_ifIXsr10test_utilsE35device_test_enabled_for_warp_size_vIXT1_EEEvE4typeEPT_S7_
                                        ; -- End function
	.set _Z26warp_inclusive_scan_kernelIN10test_utils16custom_test_typeIiEELj61ELj61EENSt9enable_ifIXsr10test_utilsE35device_test_enabled_for_warp_size_vIXT1_EEEvE4typeEPT_S7_.num_vgpr, 8
	.set _Z26warp_inclusive_scan_kernelIN10test_utils16custom_test_typeIiEELj61ELj61EENSt9enable_ifIXsr10test_utilsE35device_test_enabled_for_warp_size_vIXT1_EEEvE4typeEPT_S7_.num_agpr, 0
	.set _Z26warp_inclusive_scan_kernelIN10test_utils16custom_test_typeIiEELj61ELj61EENSt9enable_ifIXsr10test_utilsE35device_test_enabled_for_warp_size_vIXT1_EEEvE4typeEPT_S7_.numbered_sgpr, 8
	.set _Z26warp_inclusive_scan_kernelIN10test_utils16custom_test_typeIiEELj61ELj61EENSt9enable_ifIXsr10test_utilsE35device_test_enabled_for_warp_size_vIXT1_EEEvE4typeEPT_S7_.num_named_barrier, 0
	.set _Z26warp_inclusive_scan_kernelIN10test_utils16custom_test_typeIiEELj61ELj61EENSt9enable_ifIXsr10test_utilsE35device_test_enabled_for_warp_size_vIXT1_EEEvE4typeEPT_S7_.private_seg_size, 0
	.set _Z26warp_inclusive_scan_kernelIN10test_utils16custom_test_typeIiEELj61ELj61EENSt9enable_ifIXsr10test_utilsE35device_test_enabled_for_warp_size_vIXT1_EEEvE4typeEPT_S7_.uses_vcc, 1
	.set _Z26warp_inclusive_scan_kernelIN10test_utils16custom_test_typeIiEELj61ELj61EENSt9enable_ifIXsr10test_utilsE35device_test_enabled_for_warp_size_vIXT1_EEEvE4typeEPT_S7_.uses_flat_scratch, 0
	.set _Z26warp_inclusive_scan_kernelIN10test_utils16custom_test_typeIiEELj61ELj61EENSt9enable_ifIXsr10test_utilsE35device_test_enabled_for_warp_size_vIXT1_EEEvE4typeEPT_S7_.has_dyn_sized_stack, 0
	.set _Z26warp_inclusive_scan_kernelIN10test_utils16custom_test_typeIiEELj61ELj61EENSt9enable_ifIXsr10test_utilsE35device_test_enabled_for_warp_size_vIXT1_EEEvE4typeEPT_S7_.has_recursion, 0
	.set _Z26warp_inclusive_scan_kernelIN10test_utils16custom_test_typeIiEELj61ELj61EENSt9enable_ifIXsr10test_utilsE35device_test_enabled_for_warp_size_vIXT1_EEEvE4typeEPT_S7_.has_indirect_call, 0
	.section	.AMDGPU.csdata,"",@progbits
; Kernel info:
; codeLenInByte = 516
; TotalNumSgprs: 12
; NumVgprs: 8
; ScratchSize: 0
; MemoryBound: 0
; FloatMode: 240
; IeeeMode: 1
; LDSByteSize: 488 bytes/workgroup (compile time only)
; SGPRBlocks: 1
; VGPRBlocks: 1
; NumSGPRsForWavesPerEU: 12
; NumVGPRsForWavesPerEU: 8
; Occupancy: 10
; WaveLimiterHint : 0
; COMPUTE_PGM_RSRC2:SCRATCH_EN: 0
; COMPUTE_PGM_RSRC2:USER_SGPR: 6
; COMPUTE_PGM_RSRC2:TRAP_HANDLER: 0
; COMPUTE_PGM_RSRC2:TGID_X_EN: 1
; COMPUTE_PGM_RSRC2:TGID_Y_EN: 0
; COMPUTE_PGM_RSRC2:TGID_Z_EN: 0
; COMPUTE_PGM_RSRC2:TIDIG_COMP_CNT: 0
	.section	.text._Z26warp_inclusive_scan_kernelIN10test_utils16custom_test_typeIiEELj1ELj37EENSt9enable_ifIXsr10test_utilsE35device_test_enabled_for_warp_size_vIXT1_EEEvE4typeEPT_S7_,"axG",@progbits,_Z26warp_inclusive_scan_kernelIN10test_utils16custom_test_typeIiEELj1ELj37EENSt9enable_ifIXsr10test_utilsE35device_test_enabled_for_warp_size_vIXT1_EEEvE4typeEPT_S7_,comdat
	.protected	_Z26warp_inclusive_scan_kernelIN10test_utils16custom_test_typeIiEELj1ELj37EENSt9enable_ifIXsr10test_utilsE35device_test_enabled_for_warp_size_vIXT1_EEEvE4typeEPT_S7_ ; -- Begin function _Z26warp_inclusive_scan_kernelIN10test_utils16custom_test_typeIiEELj1ELj37EENSt9enable_ifIXsr10test_utilsE35device_test_enabled_for_warp_size_vIXT1_EEEvE4typeEPT_S7_
	.globl	_Z26warp_inclusive_scan_kernelIN10test_utils16custom_test_typeIiEELj1ELj37EENSt9enable_ifIXsr10test_utilsE35device_test_enabled_for_warp_size_vIXT1_EEEvE4typeEPT_S7_
	.p2align	8
	.type	_Z26warp_inclusive_scan_kernelIN10test_utils16custom_test_typeIiEELj1ELj37EENSt9enable_ifIXsr10test_utilsE35device_test_enabled_for_warp_size_vIXT1_EEEvE4typeEPT_S7_,@function
_Z26warp_inclusive_scan_kernelIN10test_utils16custom_test_typeIiEELj1ELj37EENSt9enable_ifIXsr10test_utilsE35device_test_enabled_for_warp_size_vIXT1_EEEvE4typeEPT_S7_: ; @_Z26warp_inclusive_scan_kernelIN10test_utils16custom_test_typeIiEELj1ELj37EENSt9enable_ifIXsr10test_utilsE35device_test_enabled_for_warp_size_vIXT1_EEEvE4typeEPT_S7_
; %bb.0:
	s_load_dword s7, s[4:5], 0x1c
	s_load_dwordx4 s[0:3], s[4:5], 0x0
	s_mov_b32 s5, 0
	v_mbcnt_lo_u32_b32 v0, -1, 0
	v_mbcnt_hi_u32_b32 v0, -1, v0
	s_waitcnt lgkmcnt(0)
	s_and_b32 s4, s7, 0xffff
	s_mul_i32 s4, s6, s4
	s_lshl_b64 s[4:5], s[4:5], 3
	s_mov_b32 s6, 0x6eb3e46
	v_mul_hi_u32 v1, v0, s6
	s_add_u32 s6, s0, s4
	s_addc_u32 s7, s1, s5
	s_load_dwordx2 s[0:1], s[6:7], 0x0
	v_mul_u32_u24_e32 v1, 37, v1
	v_sub_u32_e32 v3, v0, v1
	v_cmp_eq_u32_e32 vcc, 0, v3
	v_readfirstlane_b32 s6, v3
	s_waitcnt lgkmcnt(0)
	v_mov_b32_e32 v0, s0
	v_lshlrev_b32_e32 v2, 3, v3
	v_mov_b32_e32 v1, s1
	s_and_b64 s[8:9], vcc, exec
	v_cmp_ne_u32_e32 vcc, 0, v3
	ds_write_b64 v2, v[0:1]
	; wave barrier
	s_cbranch_scc1 .LBB292_2
; %bb.1:
	v_add_u32_e32 v0, -8, v2
	ds_read_b64 v[0:1], v0
	s_waitcnt lgkmcnt(0)
	v_add_u32_e32 v0, s0, v0
	v_add_u32_e32 v1, s1, v1
	s_branch .LBB292_3
.LBB292_2:
	v_mov_b32_e32 v0, s0
	v_mov_b32_e32 v1, s1
.LBB292_3:
	s_andn2_b64 vcc, exec, vcc
	; wave barrier
	s_cbranch_vccnz .LBB292_5
; %bb.4:
	ds_write_b64 v2, v[0:1]
.LBB292_5:
	s_cmp_gt_u32 s6, 1
	s_cselect_b64 s[0:1], -1, 0
	s_cmp_lt_u32 s6, 2
	; wave barrier
	s_cbranch_scc1 .LBB292_7
; %bb.6:
	v_add_u32_e32 v3, -16, v2
	ds_read_b64 v[3:4], v3
	s_waitcnt lgkmcnt(0)
	v_add_u32_e32 v0, v0, v3
	v_add_u32_e32 v1, v1, v4
.LBB292_7:
	s_andn2_b64 vcc, exec, s[0:1]
	; wave barrier
	s_cbranch_vccnz .LBB292_9
; %bb.8:
	ds_write_b64 v2, v[0:1]
.LBB292_9:
	s_cmp_gt_u32 s6, 3
	s_cselect_b64 s[0:1], -1, 0
	s_cmp_lt_u32 s6, 4
	; wave barrier
	s_cbranch_scc1 .LBB292_11
; %bb.10:
	v_subrev_u32_e32 v3, 32, v2
	ds_read_b64 v[3:4], v3
	s_waitcnt lgkmcnt(0)
	v_add_u32_e32 v0, v0, v3
	v_add_u32_e32 v1, v1, v4
.LBB292_11:
	s_andn2_b64 vcc, exec, s[0:1]
	; wave barrier
	s_cbranch_vccnz .LBB292_13
; %bb.12:
	ds_write_b64 v2, v[0:1]
.LBB292_13:
	s_cmp_gt_u32 s6, 7
	s_cselect_b64 s[0:1], -1, 0
	s_cmp_lt_u32 s6, 8
	; wave barrier
	s_cbranch_scc1 .LBB292_15
; %bb.14:
	v_subrev_u32_e32 v3, 64, v2
	ds_read_b64 v[3:4], v3
	s_waitcnt lgkmcnt(0)
	v_add_u32_e32 v0, v0, v3
	v_add_u32_e32 v1, v1, v4
.LBB292_15:
	s_andn2_b64 vcc, exec, s[0:1]
	; wave barrier
	s_cbranch_vccnz .LBB292_17
; %bb.16:
	ds_write_b64 v2, v[0:1]
.LBB292_17:
	s_cmp_gt_u32 s6, 15
	s_cselect_b64 s[0:1], -1, 0
	s_cmp_lt_u32 s6, 16
	; wave barrier
	s_cbranch_scc1 .LBB292_19
; %bb.18:
	v_add_u32_e32 v3, 0xffffff80, v2
	ds_read_b64 v[3:4], v3
	s_waitcnt lgkmcnt(0)
	v_add_u32_e32 v0, v0, v3
	v_add_u32_e32 v1, v1, v4
.LBB292_19:
	s_andn2_b64 vcc, exec, s[0:1]
	; wave barrier
	s_cbranch_vccnz .LBB292_21
; %bb.20:
	ds_write_b64 v2, v[0:1]
.LBB292_21:
	s_cmp_gt_u32 s6, 31
	s_cselect_b64 s[0:1], -1, 0
	s_cmp_lt_u32 s6, 32
	; wave barrier
	s_cbranch_scc1 .LBB292_23
; %bb.22:
	v_add_u32_e32 v3, 0xffffff00, v2
	ds_read_b64 v[3:4], v3
	s_waitcnt lgkmcnt(0)
	v_add_u32_e32 v0, v0, v3
	v_add_u32_e32 v1, v1, v4
.LBB292_23:
	s_andn2_b64 vcc, exec, s[0:1]
	; wave barrier
	s_cbranch_vccnz .LBB292_25
; %bb.24:
	ds_write_b64 v2, v[0:1]
.LBB292_25:
	s_add_u32 s0, s2, s4
	s_addc_u32 s1, s3, s5
	v_mov_b32_e32 v2, 0
	; wave barrier
	global_store_dwordx2 v2, v[0:1], s[0:1]
	s_endpgm
	.section	.rodata,"a",@progbits
	.p2align	6, 0x0
	.amdhsa_kernel _Z26warp_inclusive_scan_kernelIN10test_utils16custom_test_typeIiEELj1ELj37EENSt9enable_ifIXsr10test_utilsE35device_test_enabled_for_warp_size_vIXT1_EEEvE4typeEPT_S7_
		.amdhsa_group_segment_fixed_size 296
		.amdhsa_private_segment_fixed_size 0
		.amdhsa_kernarg_size 272
		.amdhsa_user_sgpr_count 6
		.amdhsa_user_sgpr_private_segment_buffer 1
		.amdhsa_user_sgpr_dispatch_ptr 0
		.amdhsa_user_sgpr_queue_ptr 0
		.amdhsa_user_sgpr_kernarg_segment_ptr 1
		.amdhsa_user_sgpr_dispatch_id 0
		.amdhsa_user_sgpr_flat_scratch_init 0
		.amdhsa_user_sgpr_private_segment_size 0
		.amdhsa_uses_dynamic_stack 0
		.amdhsa_system_sgpr_private_segment_wavefront_offset 0
		.amdhsa_system_sgpr_workgroup_id_x 1
		.amdhsa_system_sgpr_workgroup_id_y 0
		.amdhsa_system_sgpr_workgroup_id_z 0
		.amdhsa_system_sgpr_workgroup_info 0
		.amdhsa_system_vgpr_workitem_id 0
		.amdhsa_next_free_vgpr 5
		.amdhsa_next_free_sgpr 10
		.amdhsa_reserve_vcc 1
		.amdhsa_reserve_flat_scratch 0
		.amdhsa_float_round_mode_32 0
		.amdhsa_float_round_mode_16_64 0
		.amdhsa_float_denorm_mode_32 3
		.amdhsa_float_denorm_mode_16_64 3
		.amdhsa_dx10_clamp 1
		.amdhsa_ieee_mode 1
		.amdhsa_fp16_overflow 0
		.amdhsa_exception_fp_ieee_invalid_op 0
		.amdhsa_exception_fp_denorm_src 0
		.amdhsa_exception_fp_ieee_div_zero 0
		.amdhsa_exception_fp_ieee_overflow 0
		.amdhsa_exception_fp_ieee_underflow 0
		.amdhsa_exception_fp_ieee_inexact 0
		.amdhsa_exception_int_div_zero 0
	.end_amdhsa_kernel
	.section	.text._Z26warp_inclusive_scan_kernelIN10test_utils16custom_test_typeIiEELj1ELj37EENSt9enable_ifIXsr10test_utilsE35device_test_enabled_for_warp_size_vIXT1_EEEvE4typeEPT_S7_,"axG",@progbits,_Z26warp_inclusive_scan_kernelIN10test_utils16custom_test_typeIiEELj1ELj37EENSt9enable_ifIXsr10test_utilsE35device_test_enabled_for_warp_size_vIXT1_EEEvE4typeEPT_S7_,comdat
.Lfunc_end292:
	.size	_Z26warp_inclusive_scan_kernelIN10test_utils16custom_test_typeIiEELj1ELj37EENSt9enable_ifIXsr10test_utilsE35device_test_enabled_for_warp_size_vIXT1_EEEvE4typeEPT_S7_, .Lfunc_end292-_Z26warp_inclusive_scan_kernelIN10test_utils16custom_test_typeIiEELj1ELj37EENSt9enable_ifIXsr10test_utilsE35device_test_enabled_for_warp_size_vIXT1_EEEvE4typeEPT_S7_
                                        ; -- End function
	.set _Z26warp_inclusive_scan_kernelIN10test_utils16custom_test_typeIiEELj1ELj37EENSt9enable_ifIXsr10test_utilsE35device_test_enabled_for_warp_size_vIXT1_EEEvE4typeEPT_S7_.num_vgpr, 5
	.set _Z26warp_inclusive_scan_kernelIN10test_utils16custom_test_typeIiEELj1ELj37EENSt9enable_ifIXsr10test_utilsE35device_test_enabled_for_warp_size_vIXT1_EEEvE4typeEPT_S7_.num_agpr, 0
	.set _Z26warp_inclusive_scan_kernelIN10test_utils16custom_test_typeIiEELj1ELj37EENSt9enable_ifIXsr10test_utilsE35device_test_enabled_for_warp_size_vIXT1_EEEvE4typeEPT_S7_.numbered_sgpr, 10
	.set _Z26warp_inclusive_scan_kernelIN10test_utils16custom_test_typeIiEELj1ELj37EENSt9enable_ifIXsr10test_utilsE35device_test_enabled_for_warp_size_vIXT1_EEEvE4typeEPT_S7_.num_named_barrier, 0
	.set _Z26warp_inclusive_scan_kernelIN10test_utils16custom_test_typeIiEELj1ELj37EENSt9enable_ifIXsr10test_utilsE35device_test_enabled_for_warp_size_vIXT1_EEEvE4typeEPT_S7_.private_seg_size, 0
	.set _Z26warp_inclusive_scan_kernelIN10test_utils16custom_test_typeIiEELj1ELj37EENSt9enable_ifIXsr10test_utilsE35device_test_enabled_for_warp_size_vIXT1_EEEvE4typeEPT_S7_.uses_vcc, 1
	.set _Z26warp_inclusive_scan_kernelIN10test_utils16custom_test_typeIiEELj1ELj37EENSt9enable_ifIXsr10test_utilsE35device_test_enabled_for_warp_size_vIXT1_EEEvE4typeEPT_S7_.uses_flat_scratch, 0
	.set _Z26warp_inclusive_scan_kernelIN10test_utils16custom_test_typeIiEELj1ELj37EENSt9enable_ifIXsr10test_utilsE35device_test_enabled_for_warp_size_vIXT1_EEEvE4typeEPT_S7_.has_dyn_sized_stack, 0
	.set _Z26warp_inclusive_scan_kernelIN10test_utils16custom_test_typeIiEELj1ELj37EENSt9enable_ifIXsr10test_utilsE35device_test_enabled_for_warp_size_vIXT1_EEEvE4typeEPT_S7_.has_recursion, 0
	.set _Z26warp_inclusive_scan_kernelIN10test_utils16custom_test_typeIiEELj1ELj37EENSt9enable_ifIXsr10test_utilsE35device_test_enabled_for_warp_size_vIXT1_EEEvE4typeEPT_S7_.has_indirect_call, 0
	.section	.AMDGPU.csdata,"",@progbits
; Kernel info:
; codeLenInByte = 504
; TotalNumSgprs: 14
; NumVgprs: 5
; ScratchSize: 0
; MemoryBound: 0
; FloatMode: 240
; IeeeMode: 1
; LDSByteSize: 296 bytes/workgroup (compile time only)
; SGPRBlocks: 1
; VGPRBlocks: 1
; NumSGPRsForWavesPerEU: 14
; NumVGPRsForWavesPerEU: 5
; Occupancy: 10
; WaveLimiterHint : 0
; COMPUTE_PGM_RSRC2:SCRATCH_EN: 0
; COMPUTE_PGM_RSRC2:USER_SGPR: 6
; COMPUTE_PGM_RSRC2:TRAP_HANDLER: 0
; COMPUTE_PGM_RSRC2:TGID_X_EN: 1
; COMPUTE_PGM_RSRC2:TGID_Y_EN: 0
; COMPUTE_PGM_RSRC2:TGID_Z_EN: 0
; COMPUTE_PGM_RSRC2:TIDIG_COMP_CNT: 0
	.section	.text._Z26warp_inclusive_scan_kernelIN10test_utils16custom_test_typeIiEELj37ELj37EENSt9enable_ifIXsr10test_utilsE35device_test_enabled_for_warp_size_vIXT1_EEEvE4typeEPT_S7_,"axG",@progbits,_Z26warp_inclusive_scan_kernelIN10test_utils16custom_test_typeIiEELj37ELj37EENSt9enable_ifIXsr10test_utilsE35device_test_enabled_for_warp_size_vIXT1_EEEvE4typeEPT_S7_,comdat
	.protected	_Z26warp_inclusive_scan_kernelIN10test_utils16custom_test_typeIiEELj37ELj37EENSt9enable_ifIXsr10test_utilsE35device_test_enabled_for_warp_size_vIXT1_EEEvE4typeEPT_S7_ ; -- Begin function _Z26warp_inclusive_scan_kernelIN10test_utils16custom_test_typeIiEELj37ELj37EENSt9enable_ifIXsr10test_utilsE35device_test_enabled_for_warp_size_vIXT1_EEEvE4typeEPT_S7_
	.globl	_Z26warp_inclusive_scan_kernelIN10test_utils16custom_test_typeIiEELj37ELj37EENSt9enable_ifIXsr10test_utilsE35device_test_enabled_for_warp_size_vIXT1_EEEvE4typeEPT_S7_
	.p2align	8
	.type	_Z26warp_inclusive_scan_kernelIN10test_utils16custom_test_typeIiEELj37ELj37EENSt9enable_ifIXsr10test_utilsE35device_test_enabled_for_warp_size_vIXT1_EEEvE4typeEPT_S7_,@function
_Z26warp_inclusive_scan_kernelIN10test_utils16custom_test_typeIiEELj37ELj37EENSt9enable_ifIXsr10test_utilsE35device_test_enabled_for_warp_size_vIXT1_EEEvE4typeEPT_S7_: ; @_Z26warp_inclusive_scan_kernelIN10test_utils16custom_test_typeIiEELj37ELj37EENSt9enable_ifIXsr10test_utilsE35device_test_enabled_for_warp_size_vIXT1_EEEvE4typeEPT_S7_
; %bb.0:
	s_load_dword s7, s[4:5], 0x1c
	s_load_dwordx4 s[0:3], s[4:5], 0x0
	v_mov_b32_e32 v2, 0
	v_mbcnt_lo_u32_b32 v5, -1, 0
	v_mbcnt_hi_u32_b32 v5, -1, v5
	s_waitcnt lgkmcnt(0)
	s_and_b32 s4, s7, 0xffff
	s_mul_i32 s6, s6, s4
	v_add_u32_e32 v1, s6, v0
	v_lshlrev_b64 v[1:2], 3, v[1:2]
	v_mov_b32_e32 v4, s1
	v_add_co_u32_e32 v3, vcc, s0, v1
	v_addc_co_u32_e32 v4, vcc, v4, v2, vcc
	global_load_dwordx2 v[3:4], v[3:4], off
	s_mov_b32 s0, 0x6eb3e46
	v_mul_hi_u32 v6, v5, s0
	v_mul_u32_u24_e32 v0, 0x6ec, v0
	s_movk_i32 s0, 0x128
	v_lshrrev_b32_e32 v0, 16, v0
	v_mul_u32_u24_e32 v6, 37, v6
	v_sub_u32_e32 v5, v5, v6
	v_lshlrev_b32_e32 v6, 3, v5
	v_mad_u32_u24 v0, v0, s0, v6
	v_cmp_ne_u32_e32 vcc, 0, v5
	s_waitcnt vmcnt(0)
	ds_write_b64 v0, v[3:4]
	; wave barrier
	s_and_saveexec_b64 s[0:1], vcc
	s_cbranch_execz .LBB293_2
; %bb.1:
	v_add_u32_e32 v6, -8, v0
	ds_read_b64 v[6:7], v6
	s_waitcnt lgkmcnt(0)
	v_add_u32_e32 v3, v6, v3
	v_add_u32_e32 v4, v7, v4
.LBB293_2:
	s_or_b64 exec, exec, s[0:1]
	; wave barrier
	s_and_saveexec_b64 s[0:1], vcc
; %bb.3:
	ds_write_b64 v0, v[3:4]
; %bb.4:
	s_or_b64 exec, exec, s[0:1]
	v_cmp_lt_u32_e32 vcc, 1, v5
	; wave barrier
	s_and_saveexec_b64 s[0:1], vcc
	s_cbranch_execz .LBB293_6
; %bb.5:
	v_add_u32_e32 v6, -16, v0
	ds_read_b64 v[6:7], v6
	s_waitcnt lgkmcnt(0)
	v_add_u32_e32 v3, v3, v6
	v_add_u32_e32 v4, v4, v7
.LBB293_6:
	s_or_b64 exec, exec, s[0:1]
	; wave barrier
	s_and_saveexec_b64 s[0:1], vcc
; %bb.7:
	ds_write_b64 v0, v[3:4]
; %bb.8:
	s_or_b64 exec, exec, s[0:1]
	v_cmp_lt_u32_e32 vcc, 3, v5
	; wave barrier
	s_and_saveexec_b64 s[0:1], vcc
	s_cbranch_execz .LBB293_10
; %bb.9:
	v_subrev_u32_e32 v6, 32, v0
	ds_read_b64 v[6:7], v6
	s_waitcnt lgkmcnt(0)
	v_add_u32_e32 v3, v3, v6
	v_add_u32_e32 v4, v4, v7
.LBB293_10:
	s_or_b64 exec, exec, s[0:1]
	; wave barrier
	s_and_saveexec_b64 s[0:1], vcc
; %bb.11:
	ds_write_b64 v0, v[3:4]
; %bb.12:
	s_or_b64 exec, exec, s[0:1]
	v_cmp_lt_u32_e32 vcc, 7, v5
	; wave barrier
	s_and_saveexec_b64 s[0:1], vcc
	s_cbranch_execz .LBB293_14
; %bb.13:
	v_subrev_u32_e32 v6, 64, v0
	ds_read_b64 v[6:7], v6
	s_waitcnt lgkmcnt(0)
	v_add_u32_e32 v3, v3, v6
	v_add_u32_e32 v4, v4, v7
.LBB293_14:
	s_or_b64 exec, exec, s[0:1]
	; wave barrier
	s_and_saveexec_b64 s[0:1], vcc
; %bb.15:
	ds_write_b64 v0, v[3:4]
; %bb.16:
	s_or_b64 exec, exec, s[0:1]
	v_cmp_lt_u32_e32 vcc, 15, v5
	; wave barrier
	s_and_saveexec_b64 s[0:1], vcc
	s_cbranch_execz .LBB293_18
; %bb.17:
	v_add_u32_e32 v6, 0xffffff80, v0
	ds_read_b64 v[6:7], v6
	s_waitcnt lgkmcnt(0)
	v_add_u32_e32 v3, v3, v6
	v_add_u32_e32 v4, v4, v7
.LBB293_18:
	s_or_b64 exec, exec, s[0:1]
	; wave barrier
	s_and_saveexec_b64 s[0:1], vcc
; %bb.19:
	ds_write_b64 v0, v[3:4]
; %bb.20:
	s_or_b64 exec, exec, s[0:1]
	v_cmp_lt_u32_e32 vcc, 31, v5
	; wave barrier
	s_and_saveexec_b64 s[0:1], vcc
	s_cbranch_execz .LBB293_22
; %bb.21:
	v_add_u32_e32 v5, 0xffffff00, v0
	ds_read_b64 v[5:6], v5
	s_waitcnt lgkmcnt(0)
	v_add_u32_e32 v3, v3, v5
	v_add_u32_e32 v4, v4, v6
.LBB293_22:
	s_or_b64 exec, exec, s[0:1]
	; wave barrier
	s_and_saveexec_b64 s[0:1], vcc
; %bb.23:
	ds_write_b64 v0, v[3:4]
; %bb.24:
	s_or_b64 exec, exec, s[0:1]
	v_mov_b32_e32 v5, s3
	v_add_co_u32_e32 v0, vcc, s2, v1
	v_addc_co_u32_e32 v1, vcc, v5, v2, vcc
	; wave barrier
	global_store_dwordx2 v[0:1], v[3:4], off
	s_endpgm
	.section	.rodata,"a",@progbits
	.p2align	6, 0x0
	.amdhsa_kernel _Z26warp_inclusive_scan_kernelIN10test_utils16custom_test_typeIiEELj37ELj37EENSt9enable_ifIXsr10test_utilsE35device_test_enabled_for_warp_size_vIXT1_EEEvE4typeEPT_S7_
		.amdhsa_group_segment_fixed_size 296
		.amdhsa_private_segment_fixed_size 0
		.amdhsa_kernarg_size 272
		.amdhsa_user_sgpr_count 6
		.amdhsa_user_sgpr_private_segment_buffer 1
		.amdhsa_user_sgpr_dispatch_ptr 0
		.amdhsa_user_sgpr_queue_ptr 0
		.amdhsa_user_sgpr_kernarg_segment_ptr 1
		.amdhsa_user_sgpr_dispatch_id 0
		.amdhsa_user_sgpr_flat_scratch_init 0
		.amdhsa_user_sgpr_private_segment_size 0
		.amdhsa_uses_dynamic_stack 0
		.amdhsa_system_sgpr_private_segment_wavefront_offset 0
		.amdhsa_system_sgpr_workgroup_id_x 1
		.amdhsa_system_sgpr_workgroup_id_y 0
		.amdhsa_system_sgpr_workgroup_id_z 0
		.amdhsa_system_sgpr_workgroup_info 0
		.amdhsa_system_vgpr_workitem_id 0
		.amdhsa_next_free_vgpr 8
		.amdhsa_next_free_sgpr 8
		.amdhsa_reserve_vcc 1
		.amdhsa_reserve_flat_scratch 0
		.amdhsa_float_round_mode_32 0
		.amdhsa_float_round_mode_16_64 0
		.amdhsa_float_denorm_mode_32 3
		.amdhsa_float_denorm_mode_16_64 3
		.amdhsa_dx10_clamp 1
		.amdhsa_ieee_mode 1
		.amdhsa_fp16_overflow 0
		.amdhsa_exception_fp_ieee_invalid_op 0
		.amdhsa_exception_fp_denorm_src 0
		.amdhsa_exception_fp_ieee_div_zero 0
		.amdhsa_exception_fp_ieee_overflow 0
		.amdhsa_exception_fp_ieee_underflow 0
		.amdhsa_exception_fp_ieee_inexact 0
		.amdhsa_exception_int_div_zero 0
	.end_amdhsa_kernel
	.section	.text._Z26warp_inclusive_scan_kernelIN10test_utils16custom_test_typeIiEELj37ELj37EENSt9enable_ifIXsr10test_utilsE35device_test_enabled_for_warp_size_vIXT1_EEEvE4typeEPT_S7_,"axG",@progbits,_Z26warp_inclusive_scan_kernelIN10test_utils16custom_test_typeIiEELj37ELj37EENSt9enable_ifIXsr10test_utilsE35device_test_enabled_for_warp_size_vIXT1_EEEvE4typeEPT_S7_,comdat
.Lfunc_end293:
	.size	_Z26warp_inclusive_scan_kernelIN10test_utils16custom_test_typeIiEELj37ELj37EENSt9enable_ifIXsr10test_utilsE35device_test_enabled_for_warp_size_vIXT1_EEEvE4typeEPT_S7_, .Lfunc_end293-_Z26warp_inclusive_scan_kernelIN10test_utils16custom_test_typeIiEELj37ELj37EENSt9enable_ifIXsr10test_utilsE35device_test_enabled_for_warp_size_vIXT1_EEEvE4typeEPT_S7_
                                        ; -- End function
	.set _Z26warp_inclusive_scan_kernelIN10test_utils16custom_test_typeIiEELj37ELj37EENSt9enable_ifIXsr10test_utilsE35device_test_enabled_for_warp_size_vIXT1_EEEvE4typeEPT_S7_.num_vgpr, 8
	.set _Z26warp_inclusive_scan_kernelIN10test_utils16custom_test_typeIiEELj37ELj37EENSt9enable_ifIXsr10test_utilsE35device_test_enabled_for_warp_size_vIXT1_EEEvE4typeEPT_S7_.num_agpr, 0
	.set _Z26warp_inclusive_scan_kernelIN10test_utils16custom_test_typeIiEELj37ELj37EENSt9enable_ifIXsr10test_utilsE35device_test_enabled_for_warp_size_vIXT1_EEEvE4typeEPT_S7_.numbered_sgpr, 8
	.set _Z26warp_inclusive_scan_kernelIN10test_utils16custom_test_typeIiEELj37ELj37EENSt9enable_ifIXsr10test_utilsE35device_test_enabled_for_warp_size_vIXT1_EEEvE4typeEPT_S7_.num_named_barrier, 0
	.set _Z26warp_inclusive_scan_kernelIN10test_utils16custom_test_typeIiEELj37ELj37EENSt9enable_ifIXsr10test_utilsE35device_test_enabled_for_warp_size_vIXT1_EEEvE4typeEPT_S7_.private_seg_size, 0
	.set _Z26warp_inclusive_scan_kernelIN10test_utils16custom_test_typeIiEELj37ELj37EENSt9enable_ifIXsr10test_utilsE35device_test_enabled_for_warp_size_vIXT1_EEEvE4typeEPT_S7_.uses_vcc, 1
	.set _Z26warp_inclusive_scan_kernelIN10test_utils16custom_test_typeIiEELj37ELj37EENSt9enable_ifIXsr10test_utilsE35device_test_enabled_for_warp_size_vIXT1_EEEvE4typeEPT_S7_.uses_flat_scratch, 0
	.set _Z26warp_inclusive_scan_kernelIN10test_utils16custom_test_typeIiEELj37ELj37EENSt9enable_ifIXsr10test_utilsE35device_test_enabled_for_warp_size_vIXT1_EEEvE4typeEPT_S7_.has_dyn_sized_stack, 0
	.set _Z26warp_inclusive_scan_kernelIN10test_utils16custom_test_typeIiEELj37ELj37EENSt9enable_ifIXsr10test_utilsE35device_test_enabled_for_warp_size_vIXT1_EEEvE4typeEPT_S7_.has_recursion, 0
	.set _Z26warp_inclusive_scan_kernelIN10test_utils16custom_test_typeIiEELj37ELj37EENSt9enable_ifIXsr10test_utilsE35device_test_enabled_for_warp_size_vIXT1_EEEvE4typeEPT_S7_.has_indirect_call, 0
	.section	.AMDGPU.csdata,"",@progbits
; Kernel info:
; codeLenInByte = 516
; TotalNumSgprs: 12
; NumVgprs: 8
; ScratchSize: 0
; MemoryBound: 0
; FloatMode: 240
; IeeeMode: 1
; LDSByteSize: 296 bytes/workgroup (compile time only)
; SGPRBlocks: 1
; VGPRBlocks: 1
; NumSGPRsForWavesPerEU: 12
; NumVGPRsForWavesPerEU: 8
; Occupancy: 10
; WaveLimiterHint : 0
; COMPUTE_PGM_RSRC2:SCRATCH_EN: 0
; COMPUTE_PGM_RSRC2:USER_SGPR: 6
; COMPUTE_PGM_RSRC2:TRAP_HANDLER: 0
; COMPUTE_PGM_RSRC2:TGID_X_EN: 1
; COMPUTE_PGM_RSRC2:TGID_Y_EN: 0
; COMPUTE_PGM_RSRC2:TGID_Z_EN: 0
; COMPUTE_PGM_RSRC2:TIDIG_COMP_CNT: 0
	.section	.text._Z26warp_inclusive_scan_kernelIN10test_utils16custom_test_typeIiEELj30ELj15EENSt9enable_ifIXsr10test_utilsE35device_test_enabled_for_warp_size_vIXT1_EEEvE4typeEPT_S7_,"axG",@progbits,_Z26warp_inclusive_scan_kernelIN10test_utils16custom_test_typeIiEELj30ELj15EENSt9enable_ifIXsr10test_utilsE35device_test_enabled_for_warp_size_vIXT1_EEEvE4typeEPT_S7_,comdat
	.protected	_Z26warp_inclusive_scan_kernelIN10test_utils16custom_test_typeIiEELj30ELj15EENSt9enable_ifIXsr10test_utilsE35device_test_enabled_for_warp_size_vIXT1_EEEvE4typeEPT_S7_ ; -- Begin function _Z26warp_inclusive_scan_kernelIN10test_utils16custom_test_typeIiEELj30ELj15EENSt9enable_ifIXsr10test_utilsE35device_test_enabled_for_warp_size_vIXT1_EEEvE4typeEPT_S7_
	.globl	_Z26warp_inclusive_scan_kernelIN10test_utils16custom_test_typeIiEELj30ELj15EENSt9enable_ifIXsr10test_utilsE35device_test_enabled_for_warp_size_vIXT1_EEEvE4typeEPT_S7_
	.p2align	8
	.type	_Z26warp_inclusive_scan_kernelIN10test_utils16custom_test_typeIiEELj30ELj15EENSt9enable_ifIXsr10test_utilsE35device_test_enabled_for_warp_size_vIXT1_EEEvE4typeEPT_S7_,@function
_Z26warp_inclusive_scan_kernelIN10test_utils16custom_test_typeIiEELj30ELj15EENSt9enable_ifIXsr10test_utilsE35device_test_enabled_for_warp_size_vIXT1_EEEvE4typeEPT_S7_: ; @_Z26warp_inclusive_scan_kernelIN10test_utils16custom_test_typeIiEELj30ELj15EENSt9enable_ifIXsr10test_utilsE35device_test_enabled_for_warp_size_vIXT1_EEEvE4typeEPT_S7_
; %bb.0:
	s_load_dword s7, s[4:5], 0x1c
	s_load_dwordx4 s[0:3], s[4:5], 0x0
	v_mov_b32_e32 v2, 0
	v_mbcnt_lo_u32_b32 v5, -1, 0
	v_mbcnt_hi_u32_b32 v5, -1, v5
	s_waitcnt lgkmcnt(0)
	s_and_b32 s4, s7, 0xffff
	s_mul_i32 s6, s6, s4
	v_add_u32_e32 v1, s6, v0
	v_lshlrev_b64 v[1:2], 3, v[1:2]
	v_mov_b32_e32 v4, s1
	v_add_co_u32_e32 v3, vcc, s0, v1
	v_addc_co_u32_e32 v4, vcc, v4, v2, vcc
	global_load_dwordx2 v[3:4], v[3:4], off
	s_mov_b32 s0, 0x11111112
	v_mul_hi_u32 v6, v5, s0
	v_mul_u32_u24_e32 v0, 0x1112, v0
	s_movk_i32 s0, 0x78
	v_lshrrev_b32_e32 v0, 16, v0
	v_mul_u32_u24_e32 v6, 15, v6
	v_sub_u32_e32 v5, v5, v6
	v_lshlrev_b32_e32 v6, 3, v5
	v_mad_u32_u24 v0, v0, s0, v6
	v_cmp_ne_u32_e32 vcc, 0, v5
	s_waitcnt vmcnt(0)
	ds_write_b64 v0, v[3:4]
	; wave barrier
	s_and_saveexec_b64 s[0:1], vcc
	s_cbranch_execz .LBB294_2
; %bb.1:
	v_add_u32_e32 v6, -8, v0
	ds_read_b64 v[6:7], v6
	s_waitcnt lgkmcnt(0)
	v_add_u32_e32 v3, v6, v3
	v_add_u32_e32 v4, v7, v4
.LBB294_2:
	s_or_b64 exec, exec, s[0:1]
	; wave barrier
	s_and_saveexec_b64 s[0:1], vcc
; %bb.3:
	ds_write_b64 v0, v[3:4]
; %bb.4:
	s_or_b64 exec, exec, s[0:1]
	v_cmp_lt_u32_e32 vcc, 1, v5
	; wave barrier
	s_and_saveexec_b64 s[0:1], vcc
	s_cbranch_execz .LBB294_6
; %bb.5:
	v_add_u32_e32 v6, -16, v0
	ds_read_b64 v[6:7], v6
	s_waitcnt lgkmcnt(0)
	v_add_u32_e32 v3, v3, v6
	v_add_u32_e32 v4, v4, v7
.LBB294_6:
	s_or_b64 exec, exec, s[0:1]
	; wave barrier
	s_and_saveexec_b64 s[0:1], vcc
; %bb.7:
	ds_write_b64 v0, v[3:4]
; %bb.8:
	s_or_b64 exec, exec, s[0:1]
	v_cmp_lt_u32_e32 vcc, 3, v5
	; wave barrier
	s_and_saveexec_b64 s[0:1], vcc
	s_cbranch_execz .LBB294_10
; %bb.9:
	v_subrev_u32_e32 v6, 32, v0
	ds_read_b64 v[6:7], v6
	s_waitcnt lgkmcnt(0)
	v_add_u32_e32 v3, v3, v6
	v_add_u32_e32 v4, v4, v7
.LBB294_10:
	s_or_b64 exec, exec, s[0:1]
	; wave barrier
	s_and_saveexec_b64 s[0:1], vcc
; %bb.11:
	ds_write_b64 v0, v[3:4]
; %bb.12:
	s_or_b64 exec, exec, s[0:1]
	v_cmp_lt_u32_e32 vcc, 7, v5
	; wave barrier
	s_and_saveexec_b64 s[0:1], vcc
	s_cbranch_execz .LBB294_14
; %bb.13:
	v_subrev_u32_e32 v5, 64, v0
	ds_read_b64 v[5:6], v5
	s_waitcnt lgkmcnt(0)
	v_add_u32_e32 v3, v3, v5
	v_add_u32_e32 v4, v4, v6
.LBB294_14:
	s_or_b64 exec, exec, s[0:1]
	; wave barrier
	s_and_saveexec_b64 s[0:1], vcc
; %bb.15:
	ds_write_b64 v0, v[3:4]
; %bb.16:
	s_or_b64 exec, exec, s[0:1]
	v_mov_b32_e32 v5, s3
	v_add_co_u32_e32 v0, vcc, s2, v1
	v_addc_co_u32_e32 v1, vcc, v5, v2, vcc
	; wave barrier
	global_store_dwordx2 v[0:1], v[3:4], off
	s_endpgm
	.section	.rodata,"a",@progbits
	.p2align	6, 0x0
	.amdhsa_kernel _Z26warp_inclusive_scan_kernelIN10test_utils16custom_test_typeIiEELj30ELj15EENSt9enable_ifIXsr10test_utilsE35device_test_enabled_for_warp_size_vIXT1_EEEvE4typeEPT_S7_
		.amdhsa_group_segment_fixed_size 240
		.amdhsa_private_segment_fixed_size 0
		.amdhsa_kernarg_size 272
		.amdhsa_user_sgpr_count 6
		.amdhsa_user_sgpr_private_segment_buffer 1
		.amdhsa_user_sgpr_dispatch_ptr 0
		.amdhsa_user_sgpr_queue_ptr 0
		.amdhsa_user_sgpr_kernarg_segment_ptr 1
		.amdhsa_user_sgpr_dispatch_id 0
		.amdhsa_user_sgpr_flat_scratch_init 0
		.amdhsa_user_sgpr_private_segment_size 0
		.amdhsa_uses_dynamic_stack 0
		.amdhsa_system_sgpr_private_segment_wavefront_offset 0
		.amdhsa_system_sgpr_workgroup_id_x 1
		.amdhsa_system_sgpr_workgroup_id_y 0
		.amdhsa_system_sgpr_workgroup_id_z 0
		.amdhsa_system_sgpr_workgroup_info 0
		.amdhsa_system_vgpr_workitem_id 0
		.amdhsa_next_free_vgpr 8
		.amdhsa_next_free_sgpr 8
		.amdhsa_reserve_vcc 1
		.amdhsa_reserve_flat_scratch 0
		.amdhsa_float_round_mode_32 0
		.amdhsa_float_round_mode_16_64 0
		.amdhsa_float_denorm_mode_32 3
		.amdhsa_float_denorm_mode_16_64 3
		.amdhsa_dx10_clamp 1
		.amdhsa_ieee_mode 1
		.amdhsa_fp16_overflow 0
		.amdhsa_exception_fp_ieee_invalid_op 0
		.amdhsa_exception_fp_denorm_src 0
		.amdhsa_exception_fp_ieee_div_zero 0
		.amdhsa_exception_fp_ieee_overflow 0
		.amdhsa_exception_fp_ieee_underflow 0
		.amdhsa_exception_fp_ieee_inexact 0
		.amdhsa_exception_int_div_zero 0
	.end_amdhsa_kernel
	.section	.text._Z26warp_inclusive_scan_kernelIN10test_utils16custom_test_typeIiEELj30ELj15EENSt9enable_ifIXsr10test_utilsE35device_test_enabled_for_warp_size_vIXT1_EEEvE4typeEPT_S7_,"axG",@progbits,_Z26warp_inclusive_scan_kernelIN10test_utils16custom_test_typeIiEELj30ELj15EENSt9enable_ifIXsr10test_utilsE35device_test_enabled_for_warp_size_vIXT1_EEEvE4typeEPT_S7_,comdat
.Lfunc_end294:
	.size	_Z26warp_inclusive_scan_kernelIN10test_utils16custom_test_typeIiEELj30ELj15EENSt9enable_ifIXsr10test_utilsE35device_test_enabled_for_warp_size_vIXT1_EEEvE4typeEPT_S7_, .Lfunc_end294-_Z26warp_inclusive_scan_kernelIN10test_utils16custom_test_typeIiEELj30ELj15EENSt9enable_ifIXsr10test_utilsE35device_test_enabled_for_warp_size_vIXT1_EEEvE4typeEPT_S7_
                                        ; -- End function
	.set _Z26warp_inclusive_scan_kernelIN10test_utils16custom_test_typeIiEELj30ELj15EENSt9enable_ifIXsr10test_utilsE35device_test_enabled_for_warp_size_vIXT1_EEEvE4typeEPT_S7_.num_vgpr, 8
	.set _Z26warp_inclusive_scan_kernelIN10test_utils16custom_test_typeIiEELj30ELj15EENSt9enable_ifIXsr10test_utilsE35device_test_enabled_for_warp_size_vIXT1_EEEvE4typeEPT_S7_.num_agpr, 0
	.set _Z26warp_inclusive_scan_kernelIN10test_utils16custom_test_typeIiEELj30ELj15EENSt9enable_ifIXsr10test_utilsE35device_test_enabled_for_warp_size_vIXT1_EEEvE4typeEPT_S7_.numbered_sgpr, 8
	.set _Z26warp_inclusive_scan_kernelIN10test_utils16custom_test_typeIiEELj30ELj15EENSt9enable_ifIXsr10test_utilsE35device_test_enabled_for_warp_size_vIXT1_EEEvE4typeEPT_S7_.num_named_barrier, 0
	.set _Z26warp_inclusive_scan_kernelIN10test_utils16custom_test_typeIiEELj30ELj15EENSt9enable_ifIXsr10test_utilsE35device_test_enabled_for_warp_size_vIXT1_EEEvE4typeEPT_S7_.private_seg_size, 0
	.set _Z26warp_inclusive_scan_kernelIN10test_utils16custom_test_typeIiEELj30ELj15EENSt9enable_ifIXsr10test_utilsE35device_test_enabled_for_warp_size_vIXT1_EEEvE4typeEPT_S7_.uses_vcc, 1
	.set _Z26warp_inclusive_scan_kernelIN10test_utils16custom_test_typeIiEELj30ELj15EENSt9enable_ifIXsr10test_utilsE35device_test_enabled_for_warp_size_vIXT1_EEEvE4typeEPT_S7_.uses_flat_scratch, 0
	.set _Z26warp_inclusive_scan_kernelIN10test_utils16custom_test_typeIiEELj30ELj15EENSt9enable_ifIXsr10test_utilsE35device_test_enabled_for_warp_size_vIXT1_EEEvE4typeEPT_S7_.has_dyn_sized_stack, 0
	.set _Z26warp_inclusive_scan_kernelIN10test_utils16custom_test_typeIiEELj30ELj15EENSt9enable_ifIXsr10test_utilsE35device_test_enabled_for_warp_size_vIXT1_EEEvE4typeEPT_S7_.has_recursion, 0
	.set _Z26warp_inclusive_scan_kernelIN10test_utils16custom_test_typeIiEELj30ELj15EENSt9enable_ifIXsr10test_utilsE35device_test_enabled_for_warp_size_vIXT1_EEEvE4typeEPT_S7_.has_indirect_call, 0
	.section	.AMDGPU.csdata,"",@progbits
; Kernel info:
; codeLenInByte = 396
; TotalNumSgprs: 12
; NumVgprs: 8
; ScratchSize: 0
; MemoryBound: 0
; FloatMode: 240
; IeeeMode: 1
; LDSByteSize: 240 bytes/workgroup (compile time only)
; SGPRBlocks: 1
; VGPRBlocks: 1
; NumSGPRsForWavesPerEU: 12
; NumVGPRsForWavesPerEU: 8
; Occupancy: 10
; WaveLimiterHint : 0
; COMPUTE_PGM_RSRC2:SCRATCH_EN: 0
; COMPUTE_PGM_RSRC2:USER_SGPR: 6
; COMPUTE_PGM_RSRC2:TRAP_HANDLER: 0
; COMPUTE_PGM_RSRC2:TGID_X_EN: 1
; COMPUTE_PGM_RSRC2:TGID_Y_EN: 0
; COMPUTE_PGM_RSRC2:TGID_Z_EN: 0
; COMPUTE_PGM_RSRC2:TIDIG_COMP_CNT: 0
	.section	.text._Z26warp_inclusive_scan_kernelIN10test_utils16custom_test_typeIiEELj60ELj15EENSt9enable_ifIXsr10test_utilsE35device_test_enabled_for_warp_size_vIXT1_EEEvE4typeEPT_S7_,"axG",@progbits,_Z26warp_inclusive_scan_kernelIN10test_utils16custom_test_typeIiEELj60ELj15EENSt9enable_ifIXsr10test_utilsE35device_test_enabled_for_warp_size_vIXT1_EEEvE4typeEPT_S7_,comdat
	.protected	_Z26warp_inclusive_scan_kernelIN10test_utils16custom_test_typeIiEELj60ELj15EENSt9enable_ifIXsr10test_utilsE35device_test_enabled_for_warp_size_vIXT1_EEEvE4typeEPT_S7_ ; -- Begin function _Z26warp_inclusive_scan_kernelIN10test_utils16custom_test_typeIiEELj60ELj15EENSt9enable_ifIXsr10test_utilsE35device_test_enabled_for_warp_size_vIXT1_EEEvE4typeEPT_S7_
	.globl	_Z26warp_inclusive_scan_kernelIN10test_utils16custom_test_typeIiEELj60ELj15EENSt9enable_ifIXsr10test_utilsE35device_test_enabled_for_warp_size_vIXT1_EEEvE4typeEPT_S7_
	.p2align	8
	.type	_Z26warp_inclusive_scan_kernelIN10test_utils16custom_test_typeIiEELj60ELj15EENSt9enable_ifIXsr10test_utilsE35device_test_enabled_for_warp_size_vIXT1_EEEvE4typeEPT_S7_,@function
_Z26warp_inclusive_scan_kernelIN10test_utils16custom_test_typeIiEELj60ELj15EENSt9enable_ifIXsr10test_utilsE35device_test_enabled_for_warp_size_vIXT1_EEEvE4typeEPT_S7_: ; @_Z26warp_inclusive_scan_kernelIN10test_utils16custom_test_typeIiEELj60ELj15EENSt9enable_ifIXsr10test_utilsE35device_test_enabled_for_warp_size_vIXT1_EEEvE4typeEPT_S7_
; %bb.0:
	s_load_dword s7, s[4:5], 0x1c
	s_load_dwordx4 s[0:3], s[4:5], 0x0
	v_mov_b32_e32 v2, 0
	v_mbcnt_lo_u32_b32 v5, -1, 0
	v_mbcnt_hi_u32_b32 v5, -1, v5
	s_waitcnt lgkmcnt(0)
	s_and_b32 s4, s7, 0xffff
	s_mul_i32 s6, s6, s4
	v_add_u32_e32 v1, s6, v0
	v_lshlrev_b64 v[1:2], 3, v[1:2]
	v_mov_b32_e32 v4, s1
	v_add_co_u32_e32 v3, vcc, s0, v1
	v_addc_co_u32_e32 v4, vcc, v4, v2, vcc
	global_load_dwordx2 v[3:4], v[3:4], off
	s_mov_b32 s0, 0x11111112
	v_mul_hi_u32 v6, v5, s0
	v_mul_u32_u24_e32 v0, 0x1112, v0
	s_movk_i32 s0, 0x78
	v_lshrrev_b32_e32 v0, 16, v0
	v_mul_u32_u24_e32 v6, 15, v6
	v_sub_u32_e32 v5, v5, v6
	v_lshlrev_b32_e32 v6, 3, v5
	v_mad_u32_u24 v0, v0, s0, v6
	v_cmp_ne_u32_e32 vcc, 0, v5
	s_waitcnt vmcnt(0)
	ds_write_b64 v0, v[3:4]
	; wave barrier
	s_and_saveexec_b64 s[0:1], vcc
	s_cbranch_execz .LBB295_2
; %bb.1:
	v_add_u32_e32 v6, -8, v0
	ds_read_b64 v[6:7], v6
	s_waitcnt lgkmcnt(0)
	v_add_u32_e32 v3, v6, v3
	v_add_u32_e32 v4, v7, v4
.LBB295_2:
	s_or_b64 exec, exec, s[0:1]
	; wave barrier
	s_and_saveexec_b64 s[0:1], vcc
; %bb.3:
	ds_write_b64 v0, v[3:4]
; %bb.4:
	s_or_b64 exec, exec, s[0:1]
	v_cmp_lt_u32_e32 vcc, 1, v5
	; wave barrier
	s_and_saveexec_b64 s[0:1], vcc
	s_cbranch_execz .LBB295_6
; %bb.5:
	v_add_u32_e32 v6, -16, v0
	ds_read_b64 v[6:7], v6
	s_waitcnt lgkmcnt(0)
	v_add_u32_e32 v3, v3, v6
	v_add_u32_e32 v4, v4, v7
.LBB295_6:
	s_or_b64 exec, exec, s[0:1]
	; wave barrier
	s_and_saveexec_b64 s[0:1], vcc
; %bb.7:
	ds_write_b64 v0, v[3:4]
; %bb.8:
	s_or_b64 exec, exec, s[0:1]
	v_cmp_lt_u32_e32 vcc, 3, v5
	; wave barrier
	s_and_saveexec_b64 s[0:1], vcc
	s_cbranch_execz .LBB295_10
; %bb.9:
	v_subrev_u32_e32 v6, 32, v0
	ds_read_b64 v[6:7], v6
	s_waitcnt lgkmcnt(0)
	v_add_u32_e32 v3, v3, v6
	v_add_u32_e32 v4, v4, v7
.LBB295_10:
	s_or_b64 exec, exec, s[0:1]
	; wave barrier
	s_and_saveexec_b64 s[0:1], vcc
; %bb.11:
	ds_write_b64 v0, v[3:4]
; %bb.12:
	s_or_b64 exec, exec, s[0:1]
	v_cmp_lt_u32_e32 vcc, 7, v5
	; wave barrier
	s_and_saveexec_b64 s[0:1], vcc
	s_cbranch_execz .LBB295_14
; %bb.13:
	v_subrev_u32_e32 v5, 64, v0
	ds_read_b64 v[5:6], v5
	s_waitcnt lgkmcnt(0)
	v_add_u32_e32 v3, v3, v5
	v_add_u32_e32 v4, v4, v6
.LBB295_14:
	s_or_b64 exec, exec, s[0:1]
	; wave barrier
	s_and_saveexec_b64 s[0:1], vcc
; %bb.15:
	ds_write_b64 v0, v[3:4]
; %bb.16:
	s_or_b64 exec, exec, s[0:1]
	v_mov_b32_e32 v5, s3
	v_add_co_u32_e32 v0, vcc, s2, v1
	v_addc_co_u32_e32 v1, vcc, v5, v2, vcc
	; wave barrier
	global_store_dwordx2 v[0:1], v[3:4], off
	s_endpgm
	.section	.rodata,"a",@progbits
	.p2align	6, 0x0
	.amdhsa_kernel _Z26warp_inclusive_scan_kernelIN10test_utils16custom_test_typeIiEELj60ELj15EENSt9enable_ifIXsr10test_utilsE35device_test_enabled_for_warp_size_vIXT1_EEEvE4typeEPT_S7_
		.amdhsa_group_segment_fixed_size 480
		.amdhsa_private_segment_fixed_size 0
		.amdhsa_kernarg_size 272
		.amdhsa_user_sgpr_count 6
		.amdhsa_user_sgpr_private_segment_buffer 1
		.amdhsa_user_sgpr_dispatch_ptr 0
		.amdhsa_user_sgpr_queue_ptr 0
		.amdhsa_user_sgpr_kernarg_segment_ptr 1
		.amdhsa_user_sgpr_dispatch_id 0
		.amdhsa_user_sgpr_flat_scratch_init 0
		.amdhsa_user_sgpr_private_segment_size 0
		.amdhsa_uses_dynamic_stack 0
		.amdhsa_system_sgpr_private_segment_wavefront_offset 0
		.amdhsa_system_sgpr_workgroup_id_x 1
		.amdhsa_system_sgpr_workgroup_id_y 0
		.amdhsa_system_sgpr_workgroup_id_z 0
		.amdhsa_system_sgpr_workgroup_info 0
		.amdhsa_system_vgpr_workitem_id 0
		.amdhsa_next_free_vgpr 8
		.amdhsa_next_free_sgpr 8
		.amdhsa_reserve_vcc 1
		.amdhsa_reserve_flat_scratch 0
		.amdhsa_float_round_mode_32 0
		.amdhsa_float_round_mode_16_64 0
		.amdhsa_float_denorm_mode_32 3
		.amdhsa_float_denorm_mode_16_64 3
		.amdhsa_dx10_clamp 1
		.amdhsa_ieee_mode 1
		.amdhsa_fp16_overflow 0
		.amdhsa_exception_fp_ieee_invalid_op 0
		.amdhsa_exception_fp_denorm_src 0
		.amdhsa_exception_fp_ieee_div_zero 0
		.amdhsa_exception_fp_ieee_overflow 0
		.amdhsa_exception_fp_ieee_underflow 0
		.amdhsa_exception_fp_ieee_inexact 0
		.amdhsa_exception_int_div_zero 0
	.end_amdhsa_kernel
	.section	.text._Z26warp_inclusive_scan_kernelIN10test_utils16custom_test_typeIiEELj60ELj15EENSt9enable_ifIXsr10test_utilsE35device_test_enabled_for_warp_size_vIXT1_EEEvE4typeEPT_S7_,"axG",@progbits,_Z26warp_inclusive_scan_kernelIN10test_utils16custom_test_typeIiEELj60ELj15EENSt9enable_ifIXsr10test_utilsE35device_test_enabled_for_warp_size_vIXT1_EEEvE4typeEPT_S7_,comdat
.Lfunc_end295:
	.size	_Z26warp_inclusive_scan_kernelIN10test_utils16custom_test_typeIiEELj60ELj15EENSt9enable_ifIXsr10test_utilsE35device_test_enabled_for_warp_size_vIXT1_EEEvE4typeEPT_S7_, .Lfunc_end295-_Z26warp_inclusive_scan_kernelIN10test_utils16custom_test_typeIiEELj60ELj15EENSt9enable_ifIXsr10test_utilsE35device_test_enabled_for_warp_size_vIXT1_EEEvE4typeEPT_S7_
                                        ; -- End function
	.set _Z26warp_inclusive_scan_kernelIN10test_utils16custom_test_typeIiEELj60ELj15EENSt9enable_ifIXsr10test_utilsE35device_test_enabled_for_warp_size_vIXT1_EEEvE4typeEPT_S7_.num_vgpr, 8
	.set _Z26warp_inclusive_scan_kernelIN10test_utils16custom_test_typeIiEELj60ELj15EENSt9enable_ifIXsr10test_utilsE35device_test_enabled_for_warp_size_vIXT1_EEEvE4typeEPT_S7_.num_agpr, 0
	.set _Z26warp_inclusive_scan_kernelIN10test_utils16custom_test_typeIiEELj60ELj15EENSt9enable_ifIXsr10test_utilsE35device_test_enabled_for_warp_size_vIXT1_EEEvE4typeEPT_S7_.numbered_sgpr, 8
	.set _Z26warp_inclusive_scan_kernelIN10test_utils16custom_test_typeIiEELj60ELj15EENSt9enable_ifIXsr10test_utilsE35device_test_enabled_for_warp_size_vIXT1_EEEvE4typeEPT_S7_.num_named_barrier, 0
	.set _Z26warp_inclusive_scan_kernelIN10test_utils16custom_test_typeIiEELj60ELj15EENSt9enable_ifIXsr10test_utilsE35device_test_enabled_for_warp_size_vIXT1_EEEvE4typeEPT_S7_.private_seg_size, 0
	.set _Z26warp_inclusive_scan_kernelIN10test_utils16custom_test_typeIiEELj60ELj15EENSt9enable_ifIXsr10test_utilsE35device_test_enabled_for_warp_size_vIXT1_EEEvE4typeEPT_S7_.uses_vcc, 1
	.set _Z26warp_inclusive_scan_kernelIN10test_utils16custom_test_typeIiEELj60ELj15EENSt9enable_ifIXsr10test_utilsE35device_test_enabled_for_warp_size_vIXT1_EEEvE4typeEPT_S7_.uses_flat_scratch, 0
	.set _Z26warp_inclusive_scan_kernelIN10test_utils16custom_test_typeIiEELj60ELj15EENSt9enable_ifIXsr10test_utilsE35device_test_enabled_for_warp_size_vIXT1_EEEvE4typeEPT_S7_.has_dyn_sized_stack, 0
	.set _Z26warp_inclusive_scan_kernelIN10test_utils16custom_test_typeIiEELj60ELj15EENSt9enable_ifIXsr10test_utilsE35device_test_enabled_for_warp_size_vIXT1_EEEvE4typeEPT_S7_.has_recursion, 0
	.set _Z26warp_inclusive_scan_kernelIN10test_utils16custom_test_typeIiEELj60ELj15EENSt9enable_ifIXsr10test_utilsE35device_test_enabled_for_warp_size_vIXT1_EEEvE4typeEPT_S7_.has_indirect_call, 0
	.section	.AMDGPU.csdata,"",@progbits
; Kernel info:
; codeLenInByte = 396
; TotalNumSgprs: 12
; NumVgprs: 8
; ScratchSize: 0
; MemoryBound: 0
; FloatMode: 240
; IeeeMode: 1
; LDSByteSize: 480 bytes/workgroup (compile time only)
; SGPRBlocks: 1
; VGPRBlocks: 1
; NumSGPRsForWavesPerEU: 12
; NumVGPRsForWavesPerEU: 8
; Occupancy: 10
; WaveLimiterHint : 0
; COMPUTE_PGM_RSRC2:SCRATCH_EN: 0
; COMPUTE_PGM_RSRC2:USER_SGPR: 6
; COMPUTE_PGM_RSRC2:TRAP_HANDLER: 0
; COMPUTE_PGM_RSRC2:TGID_X_EN: 1
; COMPUTE_PGM_RSRC2:TGID_Y_EN: 0
; COMPUTE_PGM_RSRC2:TGID_Z_EN: 0
; COMPUTE_PGM_RSRC2:TIDIG_COMP_CNT: 0
	.section	.text._Z26warp_inclusive_scan_kernelIN10test_utils16custom_test_typeIiEELj28ELj7EENSt9enable_ifIXsr10test_utilsE35device_test_enabled_for_warp_size_vIXT1_EEEvE4typeEPT_S7_,"axG",@progbits,_Z26warp_inclusive_scan_kernelIN10test_utils16custom_test_typeIiEELj28ELj7EENSt9enable_ifIXsr10test_utilsE35device_test_enabled_for_warp_size_vIXT1_EEEvE4typeEPT_S7_,comdat
	.protected	_Z26warp_inclusive_scan_kernelIN10test_utils16custom_test_typeIiEELj28ELj7EENSt9enable_ifIXsr10test_utilsE35device_test_enabled_for_warp_size_vIXT1_EEEvE4typeEPT_S7_ ; -- Begin function _Z26warp_inclusive_scan_kernelIN10test_utils16custom_test_typeIiEELj28ELj7EENSt9enable_ifIXsr10test_utilsE35device_test_enabled_for_warp_size_vIXT1_EEEvE4typeEPT_S7_
	.globl	_Z26warp_inclusive_scan_kernelIN10test_utils16custom_test_typeIiEELj28ELj7EENSt9enable_ifIXsr10test_utilsE35device_test_enabled_for_warp_size_vIXT1_EEEvE4typeEPT_S7_
	.p2align	8
	.type	_Z26warp_inclusive_scan_kernelIN10test_utils16custom_test_typeIiEELj28ELj7EENSt9enable_ifIXsr10test_utilsE35device_test_enabled_for_warp_size_vIXT1_EEEvE4typeEPT_S7_,@function
_Z26warp_inclusive_scan_kernelIN10test_utils16custom_test_typeIiEELj28ELj7EENSt9enable_ifIXsr10test_utilsE35device_test_enabled_for_warp_size_vIXT1_EEEvE4typeEPT_S7_: ; @_Z26warp_inclusive_scan_kernelIN10test_utils16custom_test_typeIiEELj28ELj7EENSt9enable_ifIXsr10test_utilsE35device_test_enabled_for_warp_size_vIXT1_EEEvE4typeEPT_S7_
; %bb.0:
	s_load_dword s7, s[4:5], 0x1c
	s_load_dwordx4 s[0:3], s[4:5], 0x0
	v_mov_b32_e32 v2, 0
	v_mbcnt_lo_u32_b32 v5, -1, 0
	v_mbcnt_hi_u32_b32 v5, -1, v5
	s_waitcnt lgkmcnt(0)
	s_and_b32 s4, s7, 0xffff
	s_mul_i32 s6, s6, s4
	v_add_u32_e32 v1, s6, v0
	v_lshlrev_b64 v[1:2], 3, v[1:2]
	v_mov_b32_e32 v4, s1
	v_add_co_u32_e32 v3, vcc, s0, v1
	v_addc_co_u32_e32 v4, vcc, v4, v2, vcc
	global_load_dwordx2 v[3:4], v[3:4], off
	s_mov_b32 s0, 0x24924925
	v_mul_hi_u32 v6, v5, s0
	v_mul_u32_u24_e32 v0, 0x2493, v0
	v_lshrrev_b32_e32 v0, 16, v0
	v_mul_u32_u24_e32 v6, 7, v6
	v_sub_u32_e32 v5, v5, v6
	v_lshlrev_b32_e32 v6, 3, v5
	v_mad_u32_u24 v0, v0, 56, v6
	v_cmp_ne_u32_e32 vcc, 0, v5
	s_waitcnt vmcnt(0)
	ds_write_b64 v0, v[3:4]
	; wave barrier
	s_and_saveexec_b64 s[0:1], vcc
	s_cbranch_execz .LBB296_2
; %bb.1:
	v_add_u32_e32 v6, -8, v0
	ds_read_b64 v[6:7], v6
	s_waitcnt lgkmcnt(0)
	v_add_u32_e32 v3, v6, v3
	v_add_u32_e32 v4, v7, v4
.LBB296_2:
	s_or_b64 exec, exec, s[0:1]
	; wave barrier
	s_and_saveexec_b64 s[0:1], vcc
; %bb.3:
	ds_write_b64 v0, v[3:4]
; %bb.4:
	s_or_b64 exec, exec, s[0:1]
	v_cmp_lt_u32_e32 vcc, 1, v5
	; wave barrier
	s_and_saveexec_b64 s[0:1], vcc
	s_cbranch_execz .LBB296_6
; %bb.5:
	v_add_u32_e32 v6, -16, v0
	ds_read_b64 v[6:7], v6
	s_waitcnt lgkmcnt(0)
	v_add_u32_e32 v3, v3, v6
	v_add_u32_e32 v4, v4, v7
.LBB296_6:
	s_or_b64 exec, exec, s[0:1]
	; wave barrier
	s_and_saveexec_b64 s[0:1], vcc
; %bb.7:
	ds_write_b64 v0, v[3:4]
; %bb.8:
	s_or_b64 exec, exec, s[0:1]
	v_cmp_lt_u32_e32 vcc, 3, v5
	; wave barrier
	s_and_saveexec_b64 s[0:1], vcc
	s_cbranch_execz .LBB296_10
; %bb.9:
	v_subrev_u32_e32 v5, 32, v0
	ds_read_b64 v[5:6], v5
	s_waitcnt lgkmcnt(0)
	v_add_u32_e32 v3, v3, v5
	v_add_u32_e32 v4, v4, v6
.LBB296_10:
	s_or_b64 exec, exec, s[0:1]
	; wave barrier
	s_and_saveexec_b64 s[0:1], vcc
; %bb.11:
	ds_write_b64 v0, v[3:4]
; %bb.12:
	s_or_b64 exec, exec, s[0:1]
	v_mov_b32_e32 v5, s3
	v_add_co_u32_e32 v0, vcc, s2, v1
	v_addc_co_u32_e32 v1, vcc, v5, v2, vcc
	; wave barrier
	global_store_dwordx2 v[0:1], v[3:4], off
	s_endpgm
	.section	.rodata,"a",@progbits
	.p2align	6, 0x0
	.amdhsa_kernel _Z26warp_inclusive_scan_kernelIN10test_utils16custom_test_typeIiEELj28ELj7EENSt9enable_ifIXsr10test_utilsE35device_test_enabled_for_warp_size_vIXT1_EEEvE4typeEPT_S7_
		.amdhsa_group_segment_fixed_size 224
		.amdhsa_private_segment_fixed_size 0
		.amdhsa_kernarg_size 272
		.amdhsa_user_sgpr_count 6
		.amdhsa_user_sgpr_private_segment_buffer 1
		.amdhsa_user_sgpr_dispatch_ptr 0
		.amdhsa_user_sgpr_queue_ptr 0
		.amdhsa_user_sgpr_kernarg_segment_ptr 1
		.amdhsa_user_sgpr_dispatch_id 0
		.amdhsa_user_sgpr_flat_scratch_init 0
		.amdhsa_user_sgpr_private_segment_size 0
		.amdhsa_uses_dynamic_stack 0
		.amdhsa_system_sgpr_private_segment_wavefront_offset 0
		.amdhsa_system_sgpr_workgroup_id_x 1
		.amdhsa_system_sgpr_workgroup_id_y 0
		.amdhsa_system_sgpr_workgroup_id_z 0
		.amdhsa_system_sgpr_workgroup_info 0
		.amdhsa_system_vgpr_workitem_id 0
		.amdhsa_next_free_vgpr 8
		.amdhsa_next_free_sgpr 8
		.amdhsa_reserve_vcc 1
		.amdhsa_reserve_flat_scratch 0
		.amdhsa_float_round_mode_32 0
		.amdhsa_float_round_mode_16_64 0
		.amdhsa_float_denorm_mode_32 3
		.amdhsa_float_denorm_mode_16_64 3
		.amdhsa_dx10_clamp 1
		.amdhsa_ieee_mode 1
		.amdhsa_fp16_overflow 0
		.amdhsa_exception_fp_ieee_invalid_op 0
		.amdhsa_exception_fp_denorm_src 0
		.amdhsa_exception_fp_ieee_div_zero 0
		.amdhsa_exception_fp_ieee_overflow 0
		.amdhsa_exception_fp_ieee_underflow 0
		.amdhsa_exception_fp_ieee_inexact 0
		.amdhsa_exception_int_div_zero 0
	.end_amdhsa_kernel
	.section	.text._Z26warp_inclusive_scan_kernelIN10test_utils16custom_test_typeIiEELj28ELj7EENSt9enable_ifIXsr10test_utilsE35device_test_enabled_for_warp_size_vIXT1_EEEvE4typeEPT_S7_,"axG",@progbits,_Z26warp_inclusive_scan_kernelIN10test_utils16custom_test_typeIiEELj28ELj7EENSt9enable_ifIXsr10test_utilsE35device_test_enabled_for_warp_size_vIXT1_EEEvE4typeEPT_S7_,comdat
.Lfunc_end296:
	.size	_Z26warp_inclusive_scan_kernelIN10test_utils16custom_test_typeIiEELj28ELj7EENSt9enable_ifIXsr10test_utilsE35device_test_enabled_for_warp_size_vIXT1_EEEvE4typeEPT_S7_, .Lfunc_end296-_Z26warp_inclusive_scan_kernelIN10test_utils16custom_test_typeIiEELj28ELj7EENSt9enable_ifIXsr10test_utilsE35device_test_enabled_for_warp_size_vIXT1_EEEvE4typeEPT_S7_
                                        ; -- End function
	.set _Z26warp_inclusive_scan_kernelIN10test_utils16custom_test_typeIiEELj28ELj7EENSt9enable_ifIXsr10test_utilsE35device_test_enabled_for_warp_size_vIXT1_EEEvE4typeEPT_S7_.num_vgpr, 8
	.set _Z26warp_inclusive_scan_kernelIN10test_utils16custom_test_typeIiEELj28ELj7EENSt9enable_ifIXsr10test_utilsE35device_test_enabled_for_warp_size_vIXT1_EEEvE4typeEPT_S7_.num_agpr, 0
	.set _Z26warp_inclusive_scan_kernelIN10test_utils16custom_test_typeIiEELj28ELj7EENSt9enable_ifIXsr10test_utilsE35device_test_enabled_for_warp_size_vIXT1_EEEvE4typeEPT_S7_.numbered_sgpr, 8
	.set _Z26warp_inclusive_scan_kernelIN10test_utils16custom_test_typeIiEELj28ELj7EENSt9enable_ifIXsr10test_utilsE35device_test_enabled_for_warp_size_vIXT1_EEEvE4typeEPT_S7_.num_named_barrier, 0
	.set _Z26warp_inclusive_scan_kernelIN10test_utils16custom_test_typeIiEELj28ELj7EENSt9enable_ifIXsr10test_utilsE35device_test_enabled_for_warp_size_vIXT1_EEEvE4typeEPT_S7_.private_seg_size, 0
	.set _Z26warp_inclusive_scan_kernelIN10test_utils16custom_test_typeIiEELj28ELj7EENSt9enable_ifIXsr10test_utilsE35device_test_enabled_for_warp_size_vIXT1_EEEvE4typeEPT_S7_.uses_vcc, 1
	.set _Z26warp_inclusive_scan_kernelIN10test_utils16custom_test_typeIiEELj28ELj7EENSt9enable_ifIXsr10test_utilsE35device_test_enabled_for_warp_size_vIXT1_EEEvE4typeEPT_S7_.uses_flat_scratch, 0
	.set _Z26warp_inclusive_scan_kernelIN10test_utils16custom_test_typeIiEELj28ELj7EENSt9enable_ifIXsr10test_utilsE35device_test_enabled_for_warp_size_vIXT1_EEEvE4typeEPT_S7_.has_dyn_sized_stack, 0
	.set _Z26warp_inclusive_scan_kernelIN10test_utils16custom_test_typeIiEELj28ELj7EENSt9enable_ifIXsr10test_utilsE35device_test_enabled_for_warp_size_vIXT1_EEEvE4typeEPT_S7_.has_recursion, 0
	.set _Z26warp_inclusive_scan_kernelIN10test_utils16custom_test_typeIiEELj28ELj7EENSt9enable_ifIXsr10test_utilsE35device_test_enabled_for_warp_size_vIXT1_EEEvE4typeEPT_S7_.has_indirect_call, 0
	.section	.AMDGPU.csdata,"",@progbits
; Kernel info:
; codeLenInByte = 336
; TotalNumSgprs: 12
; NumVgprs: 8
; ScratchSize: 0
; MemoryBound: 0
; FloatMode: 240
; IeeeMode: 1
; LDSByteSize: 224 bytes/workgroup (compile time only)
; SGPRBlocks: 1
; VGPRBlocks: 1
; NumSGPRsForWavesPerEU: 12
; NumVGPRsForWavesPerEU: 8
; Occupancy: 10
; WaveLimiterHint : 0
; COMPUTE_PGM_RSRC2:SCRATCH_EN: 0
; COMPUTE_PGM_RSRC2:USER_SGPR: 6
; COMPUTE_PGM_RSRC2:TRAP_HANDLER: 0
; COMPUTE_PGM_RSRC2:TGID_X_EN: 1
; COMPUTE_PGM_RSRC2:TGID_Y_EN: 0
; COMPUTE_PGM_RSRC2:TGID_Z_EN: 0
; COMPUTE_PGM_RSRC2:TIDIG_COMP_CNT: 0
	.section	.text._Z26warp_inclusive_scan_kernelIN10test_utils16custom_test_typeIiEELj63ELj7EENSt9enable_ifIXsr10test_utilsE35device_test_enabled_for_warp_size_vIXT1_EEEvE4typeEPT_S7_,"axG",@progbits,_Z26warp_inclusive_scan_kernelIN10test_utils16custom_test_typeIiEELj63ELj7EENSt9enable_ifIXsr10test_utilsE35device_test_enabled_for_warp_size_vIXT1_EEEvE4typeEPT_S7_,comdat
	.protected	_Z26warp_inclusive_scan_kernelIN10test_utils16custom_test_typeIiEELj63ELj7EENSt9enable_ifIXsr10test_utilsE35device_test_enabled_for_warp_size_vIXT1_EEEvE4typeEPT_S7_ ; -- Begin function _Z26warp_inclusive_scan_kernelIN10test_utils16custom_test_typeIiEELj63ELj7EENSt9enable_ifIXsr10test_utilsE35device_test_enabled_for_warp_size_vIXT1_EEEvE4typeEPT_S7_
	.globl	_Z26warp_inclusive_scan_kernelIN10test_utils16custom_test_typeIiEELj63ELj7EENSt9enable_ifIXsr10test_utilsE35device_test_enabled_for_warp_size_vIXT1_EEEvE4typeEPT_S7_
	.p2align	8
	.type	_Z26warp_inclusive_scan_kernelIN10test_utils16custom_test_typeIiEELj63ELj7EENSt9enable_ifIXsr10test_utilsE35device_test_enabled_for_warp_size_vIXT1_EEEvE4typeEPT_S7_,@function
_Z26warp_inclusive_scan_kernelIN10test_utils16custom_test_typeIiEELj63ELj7EENSt9enable_ifIXsr10test_utilsE35device_test_enabled_for_warp_size_vIXT1_EEEvE4typeEPT_S7_: ; @_Z26warp_inclusive_scan_kernelIN10test_utils16custom_test_typeIiEELj63ELj7EENSt9enable_ifIXsr10test_utilsE35device_test_enabled_for_warp_size_vIXT1_EEEvE4typeEPT_S7_
; %bb.0:
	s_load_dword s7, s[4:5], 0x1c
	s_load_dwordx4 s[0:3], s[4:5], 0x0
	v_mov_b32_e32 v2, 0
	v_mbcnt_lo_u32_b32 v5, -1, 0
	v_mbcnt_hi_u32_b32 v5, -1, v5
	s_waitcnt lgkmcnt(0)
	s_and_b32 s4, s7, 0xffff
	s_mul_i32 s6, s6, s4
	v_add_u32_e32 v1, s6, v0
	v_lshlrev_b64 v[1:2], 3, v[1:2]
	v_mov_b32_e32 v4, s1
	v_add_co_u32_e32 v3, vcc, s0, v1
	v_addc_co_u32_e32 v4, vcc, v4, v2, vcc
	global_load_dwordx2 v[3:4], v[3:4], off
	s_mov_b32 s0, 0x24924925
	v_mul_hi_u32 v6, v5, s0
	v_mul_u32_u24_e32 v0, 0x2493, v0
	v_lshrrev_b32_e32 v0, 16, v0
	v_mul_u32_u24_e32 v6, 7, v6
	v_sub_u32_e32 v5, v5, v6
	v_lshlrev_b32_e32 v6, 3, v5
	v_mad_u32_u24 v0, v0, 56, v6
	v_cmp_ne_u32_e32 vcc, 0, v5
	s_waitcnt vmcnt(0)
	ds_write_b64 v0, v[3:4]
	; wave barrier
	s_and_saveexec_b64 s[0:1], vcc
	s_cbranch_execz .LBB297_2
; %bb.1:
	v_add_u32_e32 v6, -8, v0
	ds_read_b64 v[6:7], v6
	s_waitcnt lgkmcnt(0)
	v_add_u32_e32 v3, v6, v3
	v_add_u32_e32 v4, v7, v4
.LBB297_2:
	s_or_b64 exec, exec, s[0:1]
	; wave barrier
	s_and_saveexec_b64 s[0:1], vcc
; %bb.3:
	ds_write_b64 v0, v[3:4]
; %bb.4:
	s_or_b64 exec, exec, s[0:1]
	v_cmp_lt_u32_e32 vcc, 1, v5
	; wave barrier
	s_and_saveexec_b64 s[0:1], vcc
	s_cbranch_execz .LBB297_6
; %bb.5:
	v_add_u32_e32 v6, -16, v0
	ds_read_b64 v[6:7], v6
	s_waitcnt lgkmcnt(0)
	v_add_u32_e32 v3, v3, v6
	v_add_u32_e32 v4, v4, v7
.LBB297_6:
	s_or_b64 exec, exec, s[0:1]
	; wave barrier
	s_and_saveexec_b64 s[0:1], vcc
; %bb.7:
	ds_write_b64 v0, v[3:4]
; %bb.8:
	s_or_b64 exec, exec, s[0:1]
	v_cmp_lt_u32_e32 vcc, 3, v5
	; wave barrier
	s_and_saveexec_b64 s[0:1], vcc
	s_cbranch_execz .LBB297_10
; %bb.9:
	v_subrev_u32_e32 v5, 32, v0
	ds_read_b64 v[5:6], v5
	s_waitcnt lgkmcnt(0)
	v_add_u32_e32 v3, v3, v5
	v_add_u32_e32 v4, v4, v6
.LBB297_10:
	s_or_b64 exec, exec, s[0:1]
	; wave barrier
	s_and_saveexec_b64 s[0:1], vcc
; %bb.11:
	ds_write_b64 v0, v[3:4]
; %bb.12:
	s_or_b64 exec, exec, s[0:1]
	v_mov_b32_e32 v5, s3
	v_add_co_u32_e32 v0, vcc, s2, v1
	v_addc_co_u32_e32 v1, vcc, v5, v2, vcc
	; wave barrier
	global_store_dwordx2 v[0:1], v[3:4], off
	s_endpgm
	.section	.rodata,"a",@progbits
	.p2align	6, 0x0
	.amdhsa_kernel _Z26warp_inclusive_scan_kernelIN10test_utils16custom_test_typeIiEELj63ELj7EENSt9enable_ifIXsr10test_utilsE35device_test_enabled_for_warp_size_vIXT1_EEEvE4typeEPT_S7_
		.amdhsa_group_segment_fixed_size 504
		.amdhsa_private_segment_fixed_size 0
		.amdhsa_kernarg_size 272
		.amdhsa_user_sgpr_count 6
		.amdhsa_user_sgpr_private_segment_buffer 1
		.amdhsa_user_sgpr_dispatch_ptr 0
		.amdhsa_user_sgpr_queue_ptr 0
		.amdhsa_user_sgpr_kernarg_segment_ptr 1
		.amdhsa_user_sgpr_dispatch_id 0
		.amdhsa_user_sgpr_flat_scratch_init 0
		.amdhsa_user_sgpr_private_segment_size 0
		.amdhsa_uses_dynamic_stack 0
		.amdhsa_system_sgpr_private_segment_wavefront_offset 0
		.amdhsa_system_sgpr_workgroup_id_x 1
		.amdhsa_system_sgpr_workgroup_id_y 0
		.amdhsa_system_sgpr_workgroup_id_z 0
		.amdhsa_system_sgpr_workgroup_info 0
		.amdhsa_system_vgpr_workitem_id 0
		.amdhsa_next_free_vgpr 8
		.amdhsa_next_free_sgpr 8
		.amdhsa_reserve_vcc 1
		.amdhsa_reserve_flat_scratch 0
		.amdhsa_float_round_mode_32 0
		.amdhsa_float_round_mode_16_64 0
		.amdhsa_float_denorm_mode_32 3
		.amdhsa_float_denorm_mode_16_64 3
		.amdhsa_dx10_clamp 1
		.amdhsa_ieee_mode 1
		.amdhsa_fp16_overflow 0
		.amdhsa_exception_fp_ieee_invalid_op 0
		.amdhsa_exception_fp_denorm_src 0
		.amdhsa_exception_fp_ieee_div_zero 0
		.amdhsa_exception_fp_ieee_overflow 0
		.amdhsa_exception_fp_ieee_underflow 0
		.amdhsa_exception_fp_ieee_inexact 0
		.amdhsa_exception_int_div_zero 0
	.end_amdhsa_kernel
	.section	.text._Z26warp_inclusive_scan_kernelIN10test_utils16custom_test_typeIiEELj63ELj7EENSt9enable_ifIXsr10test_utilsE35device_test_enabled_for_warp_size_vIXT1_EEEvE4typeEPT_S7_,"axG",@progbits,_Z26warp_inclusive_scan_kernelIN10test_utils16custom_test_typeIiEELj63ELj7EENSt9enable_ifIXsr10test_utilsE35device_test_enabled_for_warp_size_vIXT1_EEEvE4typeEPT_S7_,comdat
.Lfunc_end297:
	.size	_Z26warp_inclusive_scan_kernelIN10test_utils16custom_test_typeIiEELj63ELj7EENSt9enable_ifIXsr10test_utilsE35device_test_enabled_for_warp_size_vIXT1_EEEvE4typeEPT_S7_, .Lfunc_end297-_Z26warp_inclusive_scan_kernelIN10test_utils16custom_test_typeIiEELj63ELj7EENSt9enable_ifIXsr10test_utilsE35device_test_enabled_for_warp_size_vIXT1_EEEvE4typeEPT_S7_
                                        ; -- End function
	.set _Z26warp_inclusive_scan_kernelIN10test_utils16custom_test_typeIiEELj63ELj7EENSt9enable_ifIXsr10test_utilsE35device_test_enabled_for_warp_size_vIXT1_EEEvE4typeEPT_S7_.num_vgpr, 8
	.set _Z26warp_inclusive_scan_kernelIN10test_utils16custom_test_typeIiEELj63ELj7EENSt9enable_ifIXsr10test_utilsE35device_test_enabled_for_warp_size_vIXT1_EEEvE4typeEPT_S7_.num_agpr, 0
	.set _Z26warp_inclusive_scan_kernelIN10test_utils16custom_test_typeIiEELj63ELj7EENSt9enable_ifIXsr10test_utilsE35device_test_enabled_for_warp_size_vIXT1_EEEvE4typeEPT_S7_.numbered_sgpr, 8
	.set _Z26warp_inclusive_scan_kernelIN10test_utils16custom_test_typeIiEELj63ELj7EENSt9enable_ifIXsr10test_utilsE35device_test_enabled_for_warp_size_vIXT1_EEEvE4typeEPT_S7_.num_named_barrier, 0
	.set _Z26warp_inclusive_scan_kernelIN10test_utils16custom_test_typeIiEELj63ELj7EENSt9enable_ifIXsr10test_utilsE35device_test_enabled_for_warp_size_vIXT1_EEEvE4typeEPT_S7_.private_seg_size, 0
	.set _Z26warp_inclusive_scan_kernelIN10test_utils16custom_test_typeIiEELj63ELj7EENSt9enable_ifIXsr10test_utilsE35device_test_enabled_for_warp_size_vIXT1_EEEvE4typeEPT_S7_.uses_vcc, 1
	.set _Z26warp_inclusive_scan_kernelIN10test_utils16custom_test_typeIiEELj63ELj7EENSt9enable_ifIXsr10test_utilsE35device_test_enabled_for_warp_size_vIXT1_EEEvE4typeEPT_S7_.uses_flat_scratch, 0
	.set _Z26warp_inclusive_scan_kernelIN10test_utils16custom_test_typeIiEELj63ELj7EENSt9enable_ifIXsr10test_utilsE35device_test_enabled_for_warp_size_vIXT1_EEEvE4typeEPT_S7_.has_dyn_sized_stack, 0
	.set _Z26warp_inclusive_scan_kernelIN10test_utils16custom_test_typeIiEELj63ELj7EENSt9enable_ifIXsr10test_utilsE35device_test_enabled_for_warp_size_vIXT1_EEEvE4typeEPT_S7_.has_recursion, 0
	.set _Z26warp_inclusive_scan_kernelIN10test_utils16custom_test_typeIiEELj63ELj7EENSt9enable_ifIXsr10test_utilsE35device_test_enabled_for_warp_size_vIXT1_EEEvE4typeEPT_S7_.has_indirect_call, 0
	.section	.AMDGPU.csdata,"",@progbits
; Kernel info:
; codeLenInByte = 336
; TotalNumSgprs: 12
; NumVgprs: 8
; ScratchSize: 0
; MemoryBound: 0
; FloatMode: 240
; IeeeMode: 1
; LDSByteSize: 504 bytes/workgroup (compile time only)
; SGPRBlocks: 1
; VGPRBlocks: 1
; NumSGPRsForWavesPerEU: 12
; NumVGPRsForWavesPerEU: 8
; Occupancy: 10
; WaveLimiterHint : 0
; COMPUTE_PGM_RSRC2:SCRATCH_EN: 0
; COMPUTE_PGM_RSRC2:USER_SGPR: 6
; COMPUTE_PGM_RSRC2:TRAP_HANDLER: 0
; COMPUTE_PGM_RSRC2:TGID_X_EN: 1
; COMPUTE_PGM_RSRC2:TGID_Y_EN: 0
; COMPUTE_PGM_RSRC2:TGID_Z_EN: 0
; COMPUTE_PGM_RSRC2:TIDIG_COMP_CNT: 0
	.section	.text._Z26warp_inclusive_scan_kernelIN10test_utils16custom_test_typeIiEELj30ELj3EENSt9enable_ifIXsr10test_utilsE35device_test_enabled_for_warp_size_vIXT1_EEEvE4typeEPT_S7_,"axG",@progbits,_Z26warp_inclusive_scan_kernelIN10test_utils16custom_test_typeIiEELj30ELj3EENSt9enable_ifIXsr10test_utilsE35device_test_enabled_for_warp_size_vIXT1_EEEvE4typeEPT_S7_,comdat
	.protected	_Z26warp_inclusive_scan_kernelIN10test_utils16custom_test_typeIiEELj30ELj3EENSt9enable_ifIXsr10test_utilsE35device_test_enabled_for_warp_size_vIXT1_EEEvE4typeEPT_S7_ ; -- Begin function _Z26warp_inclusive_scan_kernelIN10test_utils16custom_test_typeIiEELj30ELj3EENSt9enable_ifIXsr10test_utilsE35device_test_enabled_for_warp_size_vIXT1_EEEvE4typeEPT_S7_
	.globl	_Z26warp_inclusive_scan_kernelIN10test_utils16custom_test_typeIiEELj30ELj3EENSt9enable_ifIXsr10test_utilsE35device_test_enabled_for_warp_size_vIXT1_EEEvE4typeEPT_S7_
	.p2align	8
	.type	_Z26warp_inclusive_scan_kernelIN10test_utils16custom_test_typeIiEELj30ELj3EENSt9enable_ifIXsr10test_utilsE35device_test_enabled_for_warp_size_vIXT1_EEEvE4typeEPT_S7_,@function
_Z26warp_inclusive_scan_kernelIN10test_utils16custom_test_typeIiEELj30ELj3EENSt9enable_ifIXsr10test_utilsE35device_test_enabled_for_warp_size_vIXT1_EEEvE4typeEPT_S7_: ; @_Z26warp_inclusive_scan_kernelIN10test_utils16custom_test_typeIiEELj30ELj3EENSt9enable_ifIXsr10test_utilsE35device_test_enabled_for_warp_size_vIXT1_EEEvE4typeEPT_S7_
; %bb.0:
	s_load_dword s7, s[4:5], 0x1c
	s_load_dwordx4 s[0:3], s[4:5], 0x0
	v_mov_b32_e32 v2, 0
	v_mbcnt_lo_u32_b32 v5, -1, 0
	v_mbcnt_hi_u32_b32 v6, -1, v5
	s_waitcnt lgkmcnt(0)
	s_and_b32 s4, s7, 0xffff
	s_mul_i32 s6, s6, s4
	v_add_u32_e32 v1, s6, v0
	v_lshlrev_b64 v[1:2], 3, v[1:2]
	v_mov_b32_e32 v4, s1
	v_add_co_u32_e32 v3, vcc, s0, v1
	v_addc_co_u32_e32 v4, vcc, v4, v2, vcc
	global_load_dwordx2 v[3:4], v[3:4], off
	s_mov_b32 s0, 0x55555556
	v_mul_hi_u32 v7, v6, s0
	v_mul_u32_u24_e32 v0, 0x5556, v0
	v_lshrrev_b32_e32 v5, 16, v0
	v_mul_u32_u24_e32 v0, 3, v7
	v_sub_u32_e32 v6, v6, v0
	v_lshlrev_b32_e32 v0, 3, v6
	v_mad_u32_u24 v0, v5, 24, v0
	v_cmp_ne_u32_e32 vcc, 0, v6
	s_waitcnt vmcnt(0)
	ds_write_b64 v0, v[3:4]
	; wave barrier
	s_and_saveexec_b64 s[0:1], vcc
	s_cbranch_execz .LBB298_2
; %bb.1:
	v_add_u32_e32 v7, -8, v0
	ds_read_b64 v[7:8], v7
	s_waitcnt lgkmcnt(0)
	v_add_u32_e32 v3, v7, v3
	v_add_u32_e32 v4, v8, v4
.LBB298_2:
	s_or_b64 exec, exec, s[0:1]
	; wave barrier
	s_and_saveexec_b64 s[0:1], vcc
; %bb.3:
	ds_write_b64 v0, v[3:4]
; %bb.4:
	s_or_b64 exec, exec, s[0:1]
	v_cmp_lt_u32_e32 vcc, 1, v6
	; wave barrier
	s_and_saveexec_b64 s[0:1], vcc
	s_cbranch_execz .LBB298_6
; %bb.5:
	v_mul_u32_u24_e32 v5, 24, v5
	ds_read_b64 v[5:6], v5
	s_waitcnt lgkmcnt(0)
	v_add_u32_e32 v3, v3, v5
	v_add_u32_e32 v4, v4, v6
.LBB298_6:
	s_or_b64 exec, exec, s[0:1]
	; wave barrier
	s_and_saveexec_b64 s[0:1], vcc
; %bb.7:
	ds_write_b64 v0, v[3:4]
; %bb.8:
	s_or_b64 exec, exec, s[0:1]
	v_mov_b32_e32 v5, s3
	v_add_co_u32_e32 v0, vcc, s2, v1
	v_addc_co_u32_e32 v1, vcc, v5, v2, vcc
	; wave barrier
	global_store_dwordx2 v[0:1], v[3:4], off
	s_endpgm
	.section	.rodata,"a",@progbits
	.p2align	6, 0x0
	.amdhsa_kernel _Z26warp_inclusive_scan_kernelIN10test_utils16custom_test_typeIiEELj30ELj3EENSt9enable_ifIXsr10test_utilsE35device_test_enabled_for_warp_size_vIXT1_EEEvE4typeEPT_S7_
		.amdhsa_group_segment_fixed_size 240
		.amdhsa_private_segment_fixed_size 0
		.amdhsa_kernarg_size 272
		.amdhsa_user_sgpr_count 6
		.amdhsa_user_sgpr_private_segment_buffer 1
		.amdhsa_user_sgpr_dispatch_ptr 0
		.amdhsa_user_sgpr_queue_ptr 0
		.amdhsa_user_sgpr_kernarg_segment_ptr 1
		.amdhsa_user_sgpr_dispatch_id 0
		.amdhsa_user_sgpr_flat_scratch_init 0
		.amdhsa_user_sgpr_private_segment_size 0
		.amdhsa_uses_dynamic_stack 0
		.amdhsa_system_sgpr_private_segment_wavefront_offset 0
		.amdhsa_system_sgpr_workgroup_id_x 1
		.amdhsa_system_sgpr_workgroup_id_y 0
		.amdhsa_system_sgpr_workgroup_id_z 0
		.amdhsa_system_sgpr_workgroup_info 0
		.amdhsa_system_vgpr_workitem_id 0
		.amdhsa_next_free_vgpr 9
		.amdhsa_next_free_sgpr 8
		.amdhsa_reserve_vcc 1
		.amdhsa_reserve_flat_scratch 0
		.amdhsa_float_round_mode_32 0
		.amdhsa_float_round_mode_16_64 0
		.amdhsa_float_denorm_mode_32 3
		.amdhsa_float_denorm_mode_16_64 3
		.amdhsa_dx10_clamp 1
		.amdhsa_ieee_mode 1
		.amdhsa_fp16_overflow 0
		.amdhsa_exception_fp_ieee_invalid_op 0
		.amdhsa_exception_fp_denorm_src 0
		.amdhsa_exception_fp_ieee_div_zero 0
		.amdhsa_exception_fp_ieee_overflow 0
		.amdhsa_exception_fp_ieee_underflow 0
		.amdhsa_exception_fp_ieee_inexact 0
		.amdhsa_exception_int_div_zero 0
	.end_amdhsa_kernel
	.section	.text._Z26warp_inclusive_scan_kernelIN10test_utils16custom_test_typeIiEELj30ELj3EENSt9enable_ifIXsr10test_utilsE35device_test_enabled_for_warp_size_vIXT1_EEEvE4typeEPT_S7_,"axG",@progbits,_Z26warp_inclusive_scan_kernelIN10test_utils16custom_test_typeIiEELj30ELj3EENSt9enable_ifIXsr10test_utilsE35device_test_enabled_for_warp_size_vIXT1_EEEvE4typeEPT_S7_,comdat
.Lfunc_end298:
	.size	_Z26warp_inclusive_scan_kernelIN10test_utils16custom_test_typeIiEELj30ELj3EENSt9enable_ifIXsr10test_utilsE35device_test_enabled_for_warp_size_vIXT1_EEEvE4typeEPT_S7_, .Lfunc_end298-_Z26warp_inclusive_scan_kernelIN10test_utils16custom_test_typeIiEELj30ELj3EENSt9enable_ifIXsr10test_utilsE35device_test_enabled_for_warp_size_vIXT1_EEEvE4typeEPT_S7_
                                        ; -- End function
	.set _Z26warp_inclusive_scan_kernelIN10test_utils16custom_test_typeIiEELj30ELj3EENSt9enable_ifIXsr10test_utilsE35device_test_enabled_for_warp_size_vIXT1_EEEvE4typeEPT_S7_.num_vgpr, 9
	.set _Z26warp_inclusive_scan_kernelIN10test_utils16custom_test_typeIiEELj30ELj3EENSt9enable_ifIXsr10test_utilsE35device_test_enabled_for_warp_size_vIXT1_EEEvE4typeEPT_S7_.num_agpr, 0
	.set _Z26warp_inclusive_scan_kernelIN10test_utils16custom_test_typeIiEELj30ELj3EENSt9enable_ifIXsr10test_utilsE35device_test_enabled_for_warp_size_vIXT1_EEEvE4typeEPT_S7_.numbered_sgpr, 8
	.set _Z26warp_inclusive_scan_kernelIN10test_utils16custom_test_typeIiEELj30ELj3EENSt9enable_ifIXsr10test_utilsE35device_test_enabled_for_warp_size_vIXT1_EEEvE4typeEPT_S7_.num_named_barrier, 0
	.set _Z26warp_inclusive_scan_kernelIN10test_utils16custom_test_typeIiEELj30ELj3EENSt9enable_ifIXsr10test_utilsE35device_test_enabled_for_warp_size_vIXT1_EEEvE4typeEPT_S7_.private_seg_size, 0
	.set _Z26warp_inclusive_scan_kernelIN10test_utils16custom_test_typeIiEELj30ELj3EENSt9enable_ifIXsr10test_utilsE35device_test_enabled_for_warp_size_vIXT1_EEEvE4typeEPT_S7_.uses_vcc, 1
	.set _Z26warp_inclusive_scan_kernelIN10test_utils16custom_test_typeIiEELj30ELj3EENSt9enable_ifIXsr10test_utilsE35device_test_enabled_for_warp_size_vIXT1_EEEvE4typeEPT_S7_.uses_flat_scratch, 0
	.set _Z26warp_inclusive_scan_kernelIN10test_utils16custom_test_typeIiEELj30ELj3EENSt9enable_ifIXsr10test_utilsE35device_test_enabled_for_warp_size_vIXT1_EEEvE4typeEPT_S7_.has_dyn_sized_stack, 0
	.set _Z26warp_inclusive_scan_kernelIN10test_utils16custom_test_typeIiEELj30ELj3EENSt9enable_ifIXsr10test_utilsE35device_test_enabled_for_warp_size_vIXT1_EEEvE4typeEPT_S7_.has_recursion, 0
	.set _Z26warp_inclusive_scan_kernelIN10test_utils16custom_test_typeIiEELj30ELj3EENSt9enable_ifIXsr10test_utilsE35device_test_enabled_for_warp_size_vIXT1_EEEvE4typeEPT_S7_.has_indirect_call, 0
	.section	.AMDGPU.csdata,"",@progbits
; Kernel info:
; codeLenInByte = 280
; TotalNumSgprs: 12
; NumVgprs: 9
; ScratchSize: 0
; MemoryBound: 0
; FloatMode: 240
; IeeeMode: 1
; LDSByteSize: 240 bytes/workgroup (compile time only)
; SGPRBlocks: 1
; VGPRBlocks: 2
; NumSGPRsForWavesPerEU: 12
; NumVGPRsForWavesPerEU: 9
; Occupancy: 10
; WaveLimiterHint : 0
; COMPUTE_PGM_RSRC2:SCRATCH_EN: 0
; COMPUTE_PGM_RSRC2:USER_SGPR: 6
; COMPUTE_PGM_RSRC2:TRAP_HANDLER: 0
; COMPUTE_PGM_RSRC2:TGID_X_EN: 1
; COMPUTE_PGM_RSRC2:TGID_Y_EN: 0
; COMPUTE_PGM_RSRC2:TGID_Z_EN: 0
; COMPUTE_PGM_RSRC2:TIDIG_COMP_CNT: 0
	.section	.text._Z26warp_inclusive_scan_kernelIN10test_utils16custom_test_typeIiEELj63ELj3EENSt9enable_ifIXsr10test_utilsE35device_test_enabled_for_warp_size_vIXT1_EEEvE4typeEPT_S7_,"axG",@progbits,_Z26warp_inclusive_scan_kernelIN10test_utils16custom_test_typeIiEELj63ELj3EENSt9enable_ifIXsr10test_utilsE35device_test_enabled_for_warp_size_vIXT1_EEEvE4typeEPT_S7_,comdat
	.protected	_Z26warp_inclusive_scan_kernelIN10test_utils16custom_test_typeIiEELj63ELj3EENSt9enable_ifIXsr10test_utilsE35device_test_enabled_for_warp_size_vIXT1_EEEvE4typeEPT_S7_ ; -- Begin function _Z26warp_inclusive_scan_kernelIN10test_utils16custom_test_typeIiEELj63ELj3EENSt9enable_ifIXsr10test_utilsE35device_test_enabled_for_warp_size_vIXT1_EEEvE4typeEPT_S7_
	.globl	_Z26warp_inclusive_scan_kernelIN10test_utils16custom_test_typeIiEELj63ELj3EENSt9enable_ifIXsr10test_utilsE35device_test_enabled_for_warp_size_vIXT1_EEEvE4typeEPT_S7_
	.p2align	8
	.type	_Z26warp_inclusive_scan_kernelIN10test_utils16custom_test_typeIiEELj63ELj3EENSt9enable_ifIXsr10test_utilsE35device_test_enabled_for_warp_size_vIXT1_EEEvE4typeEPT_S7_,@function
_Z26warp_inclusive_scan_kernelIN10test_utils16custom_test_typeIiEELj63ELj3EENSt9enable_ifIXsr10test_utilsE35device_test_enabled_for_warp_size_vIXT1_EEEvE4typeEPT_S7_: ; @_Z26warp_inclusive_scan_kernelIN10test_utils16custom_test_typeIiEELj63ELj3EENSt9enable_ifIXsr10test_utilsE35device_test_enabled_for_warp_size_vIXT1_EEEvE4typeEPT_S7_
; %bb.0:
	s_load_dword s7, s[4:5], 0x1c
	s_load_dwordx4 s[0:3], s[4:5], 0x0
	v_mov_b32_e32 v2, 0
	v_mbcnt_lo_u32_b32 v5, -1, 0
	v_mbcnt_hi_u32_b32 v6, -1, v5
	s_waitcnt lgkmcnt(0)
	s_and_b32 s4, s7, 0xffff
	s_mul_i32 s6, s6, s4
	v_add_u32_e32 v1, s6, v0
	v_lshlrev_b64 v[1:2], 3, v[1:2]
	v_mov_b32_e32 v4, s1
	v_add_co_u32_e32 v3, vcc, s0, v1
	v_addc_co_u32_e32 v4, vcc, v4, v2, vcc
	global_load_dwordx2 v[3:4], v[3:4], off
	s_mov_b32 s0, 0x55555556
	v_mul_hi_u32 v7, v6, s0
	v_mul_u32_u24_e32 v0, 0x5556, v0
	v_lshrrev_b32_e32 v5, 16, v0
	v_mul_u32_u24_e32 v0, 3, v7
	v_sub_u32_e32 v6, v6, v0
	v_lshlrev_b32_e32 v0, 3, v6
	v_mad_u32_u24 v0, v5, 24, v0
	v_cmp_ne_u32_e32 vcc, 0, v6
	s_waitcnt vmcnt(0)
	ds_write_b64 v0, v[3:4]
	; wave barrier
	s_and_saveexec_b64 s[0:1], vcc
	s_cbranch_execz .LBB299_2
; %bb.1:
	v_add_u32_e32 v7, -8, v0
	ds_read_b64 v[7:8], v7
	s_waitcnt lgkmcnt(0)
	v_add_u32_e32 v3, v7, v3
	v_add_u32_e32 v4, v8, v4
.LBB299_2:
	s_or_b64 exec, exec, s[0:1]
	; wave barrier
	s_and_saveexec_b64 s[0:1], vcc
; %bb.3:
	ds_write_b64 v0, v[3:4]
; %bb.4:
	s_or_b64 exec, exec, s[0:1]
	v_cmp_lt_u32_e32 vcc, 1, v6
	; wave barrier
	s_and_saveexec_b64 s[0:1], vcc
	s_cbranch_execz .LBB299_6
; %bb.5:
	v_mul_u32_u24_e32 v5, 24, v5
	ds_read_b64 v[5:6], v5
	s_waitcnt lgkmcnt(0)
	v_add_u32_e32 v3, v3, v5
	v_add_u32_e32 v4, v4, v6
.LBB299_6:
	s_or_b64 exec, exec, s[0:1]
	; wave barrier
	s_and_saveexec_b64 s[0:1], vcc
; %bb.7:
	ds_write_b64 v0, v[3:4]
; %bb.8:
	s_or_b64 exec, exec, s[0:1]
	v_mov_b32_e32 v5, s3
	v_add_co_u32_e32 v0, vcc, s2, v1
	v_addc_co_u32_e32 v1, vcc, v5, v2, vcc
	; wave barrier
	global_store_dwordx2 v[0:1], v[3:4], off
	s_endpgm
	.section	.rodata,"a",@progbits
	.p2align	6, 0x0
	.amdhsa_kernel _Z26warp_inclusive_scan_kernelIN10test_utils16custom_test_typeIiEELj63ELj3EENSt9enable_ifIXsr10test_utilsE35device_test_enabled_for_warp_size_vIXT1_EEEvE4typeEPT_S7_
		.amdhsa_group_segment_fixed_size 504
		.amdhsa_private_segment_fixed_size 0
		.amdhsa_kernarg_size 272
		.amdhsa_user_sgpr_count 6
		.amdhsa_user_sgpr_private_segment_buffer 1
		.amdhsa_user_sgpr_dispatch_ptr 0
		.amdhsa_user_sgpr_queue_ptr 0
		.amdhsa_user_sgpr_kernarg_segment_ptr 1
		.amdhsa_user_sgpr_dispatch_id 0
		.amdhsa_user_sgpr_flat_scratch_init 0
		.amdhsa_user_sgpr_private_segment_size 0
		.amdhsa_uses_dynamic_stack 0
		.amdhsa_system_sgpr_private_segment_wavefront_offset 0
		.amdhsa_system_sgpr_workgroup_id_x 1
		.amdhsa_system_sgpr_workgroup_id_y 0
		.amdhsa_system_sgpr_workgroup_id_z 0
		.amdhsa_system_sgpr_workgroup_info 0
		.amdhsa_system_vgpr_workitem_id 0
		.amdhsa_next_free_vgpr 9
		.amdhsa_next_free_sgpr 8
		.amdhsa_reserve_vcc 1
		.amdhsa_reserve_flat_scratch 0
		.amdhsa_float_round_mode_32 0
		.amdhsa_float_round_mode_16_64 0
		.amdhsa_float_denorm_mode_32 3
		.amdhsa_float_denorm_mode_16_64 3
		.amdhsa_dx10_clamp 1
		.amdhsa_ieee_mode 1
		.amdhsa_fp16_overflow 0
		.amdhsa_exception_fp_ieee_invalid_op 0
		.amdhsa_exception_fp_denorm_src 0
		.amdhsa_exception_fp_ieee_div_zero 0
		.amdhsa_exception_fp_ieee_overflow 0
		.amdhsa_exception_fp_ieee_underflow 0
		.amdhsa_exception_fp_ieee_inexact 0
		.amdhsa_exception_int_div_zero 0
	.end_amdhsa_kernel
	.section	.text._Z26warp_inclusive_scan_kernelIN10test_utils16custom_test_typeIiEELj63ELj3EENSt9enable_ifIXsr10test_utilsE35device_test_enabled_for_warp_size_vIXT1_EEEvE4typeEPT_S7_,"axG",@progbits,_Z26warp_inclusive_scan_kernelIN10test_utils16custom_test_typeIiEELj63ELj3EENSt9enable_ifIXsr10test_utilsE35device_test_enabled_for_warp_size_vIXT1_EEEvE4typeEPT_S7_,comdat
.Lfunc_end299:
	.size	_Z26warp_inclusive_scan_kernelIN10test_utils16custom_test_typeIiEELj63ELj3EENSt9enable_ifIXsr10test_utilsE35device_test_enabled_for_warp_size_vIXT1_EEEvE4typeEPT_S7_, .Lfunc_end299-_Z26warp_inclusive_scan_kernelIN10test_utils16custom_test_typeIiEELj63ELj3EENSt9enable_ifIXsr10test_utilsE35device_test_enabled_for_warp_size_vIXT1_EEEvE4typeEPT_S7_
                                        ; -- End function
	.set _Z26warp_inclusive_scan_kernelIN10test_utils16custom_test_typeIiEELj63ELj3EENSt9enable_ifIXsr10test_utilsE35device_test_enabled_for_warp_size_vIXT1_EEEvE4typeEPT_S7_.num_vgpr, 9
	.set _Z26warp_inclusive_scan_kernelIN10test_utils16custom_test_typeIiEELj63ELj3EENSt9enable_ifIXsr10test_utilsE35device_test_enabled_for_warp_size_vIXT1_EEEvE4typeEPT_S7_.num_agpr, 0
	.set _Z26warp_inclusive_scan_kernelIN10test_utils16custom_test_typeIiEELj63ELj3EENSt9enable_ifIXsr10test_utilsE35device_test_enabled_for_warp_size_vIXT1_EEEvE4typeEPT_S7_.numbered_sgpr, 8
	.set _Z26warp_inclusive_scan_kernelIN10test_utils16custom_test_typeIiEELj63ELj3EENSt9enable_ifIXsr10test_utilsE35device_test_enabled_for_warp_size_vIXT1_EEEvE4typeEPT_S7_.num_named_barrier, 0
	.set _Z26warp_inclusive_scan_kernelIN10test_utils16custom_test_typeIiEELj63ELj3EENSt9enable_ifIXsr10test_utilsE35device_test_enabled_for_warp_size_vIXT1_EEEvE4typeEPT_S7_.private_seg_size, 0
	.set _Z26warp_inclusive_scan_kernelIN10test_utils16custom_test_typeIiEELj63ELj3EENSt9enable_ifIXsr10test_utilsE35device_test_enabled_for_warp_size_vIXT1_EEEvE4typeEPT_S7_.uses_vcc, 1
	.set _Z26warp_inclusive_scan_kernelIN10test_utils16custom_test_typeIiEELj63ELj3EENSt9enable_ifIXsr10test_utilsE35device_test_enabled_for_warp_size_vIXT1_EEEvE4typeEPT_S7_.uses_flat_scratch, 0
	.set _Z26warp_inclusive_scan_kernelIN10test_utils16custom_test_typeIiEELj63ELj3EENSt9enable_ifIXsr10test_utilsE35device_test_enabled_for_warp_size_vIXT1_EEEvE4typeEPT_S7_.has_dyn_sized_stack, 0
	.set _Z26warp_inclusive_scan_kernelIN10test_utils16custom_test_typeIiEELj63ELj3EENSt9enable_ifIXsr10test_utilsE35device_test_enabled_for_warp_size_vIXT1_EEEvE4typeEPT_S7_.has_recursion, 0
	.set _Z26warp_inclusive_scan_kernelIN10test_utils16custom_test_typeIiEELj63ELj3EENSt9enable_ifIXsr10test_utilsE35device_test_enabled_for_warp_size_vIXT1_EEEvE4typeEPT_S7_.has_indirect_call, 0
	.section	.AMDGPU.csdata,"",@progbits
; Kernel info:
; codeLenInByte = 280
; TotalNumSgprs: 12
; NumVgprs: 9
; ScratchSize: 0
; MemoryBound: 0
; FloatMode: 240
; IeeeMode: 1
; LDSByteSize: 504 bytes/workgroup (compile time only)
; SGPRBlocks: 1
; VGPRBlocks: 2
; NumSGPRsForWavesPerEU: 12
; NumVGPRsForWavesPerEU: 9
; Occupancy: 10
; WaveLimiterHint : 0
; COMPUTE_PGM_RSRC2:SCRATCH_EN: 0
; COMPUTE_PGM_RSRC2:USER_SGPR: 6
; COMPUTE_PGM_RSRC2:TRAP_HANDLER: 0
; COMPUTE_PGM_RSRC2:TGID_X_EN: 1
; COMPUTE_PGM_RSRC2:TGID_Y_EN: 0
; COMPUTE_PGM_RSRC2:TGID_Z_EN: 0
; COMPUTE_PGM_RSRC2:TIDIG_COMP_CNT: 0
	.section	.text._Z26warp_inclusive_scan_kernelIN10test_utils16custom_test_typeI12hip_bfloat16EELj256ELj64EENSt9enable_ifIXsr10test_utilsE35device_test_enabled_for_warp_size_vIXT1_EEEvE4typeEPT_S8_,"axG",@progbits,_Z26warp_inclusive_scan_kernelIN10test_utils16custom_test_typeI12hip_bfloat16EELj256ELj64EENSt9enable_ifIXsr10test_utilsE35device_test_enabled_for_warp_size_vIXT1_EEEvE4typeEPT_S8_,comdat
	.protected	_Z26warp_inclusive_scan_kernelIN10test_utils16custom_test_typeI12hip_bfloat16EELj256ELj64EENSt9enable_ifIXsr10test_utilsE35device_test_enabled_for_warp_size_vIXT1_EEEvE4typeEPT_S8_ ; -- Begin function _Z26warp_inclusive_scan_kernelIN10test_utils16custom_test_typeI12hip_bfloat16EELj256ELj64EENSt9enable_ifIXsr10test_utilsE35device_test_enabled_for_warp_size_vIXT1_EEEvE4typeEPT_S8_
	.globl	_Z26warp_inclusive_scan_kernelIN10test_utils16custom_test_typeI12hip_bfloat16EELj256ELj64EENSt9enable_ifIXsr10test_utilsE35device_test_enabled_for_warp_size_vIXT1_EEEvE4typeEPT_S8_
	.p2align	8
	.type	_Z26warp_inclusive_scan_kernelIN10test_utils16custom_test_typeI12hip_bfloat16EELj256ELj64EENSt9enable_ifIXsr10test_utilsE35device_test_enabled_for_warp_size_vIXT1_EEEvE4typeEPT_S8_,@function
_Z26warp_inclusive_scan_kernelIN10test_utils16custom_test_typeI12hip_bfloat16EELj256ELj64EENSt9enable_ifIXsr10test_utilsE35device_test_enabled_for_warp_size_vIXT1_EEEvE4typeEPT_S8_: ; @_Z26warp_inclusive_scan_kernelIN10test_utils16custom_test_typeI12hip_bfloat16EELj256ELj64EENSt9enable_ifIXsr10test_utilsE35device_test_enabled_for_warp_size_vIXT1_EEEvE4typeEPT_S8_
; %bb.0:
	s_load_dword s7, s[4:5], 0x1c
	s_load_dwordx4 s[0:3], s[4:5], 0x0
	v_mov_b32_e32 v1, 0
                                        ; implicit-def: $vgpr8
	s_waitcnt lgkmcnt(0)
	s_and_b32 s4, s7, 0xffff
	s_mul_i32 s6, s6, s4
	v_add_u32_e32 v0, s6, v0
	v_lshlrev_b64 v[0:1], 2, v[0:1]
	v_mov_b32_e32 v3, s1
	v_add_co_u32_e32 v2, vcc, s0, v0
	v_addc_co_u32_e32 v3, vcc, v3, v1, vcc
	global_load_dword v2, v[2:3], off
	s_mov_b32 s0, 0x7f800000
	s_waitcnt vmcnt(0)
	v_lshlrev_b32_e32 v4, 16, v2
	v_mov_b32_dpp v3, v2 row_shr:1 row_mask:0xf bank_mask:0xf
	v_lshlrev_b32_e32 v5, 16, v3
	v_add_f32_e32 v5, v4, v5
	v_and_b32_e32 v6, 0x7f800000, v5
	v_cmp_ne_u32_e32 vcc, s0, v6
	s_and_saveexec_b64 s[0:1], vcc
	s_xor_b64 s[0:1], exec, s[0:1]
; %bb.1:
	v_bfe_u32 v6, v5, 16, 1
	s_movk_i32 s4, 0x7fff
	v_add3_u32 v8, v5, v6, s4
                                        ; implicit-def: $vgpr5
; %bb.2:
	s_andn2_saveexec_b64 s[0:1], s[0:1]
; %bb.3:
	v_mov_b32_e32 v6, 0
	v_or_b32_e32 v7, 0x10000, v5
	v_cmp_eq_u32_sdwa vcc, v5, v6 src0_sel:WORD_0 src1_sel:DWORD
	v_cndmask_b32_e32 v8, v7, v5, vcc
; %bb.4:
	s_or_b64 exec, exec, s[0:1]
	v_and_b32_e32 v3, 0xffff0000, v3
	v_and_b32_e32 v5, 0xffff0000, v2
	v_add_f32_e32 v3, v5, v3
	s_mov_b32 s0, 0x7f800000
	v_and_b32_e32 v5, 0x7f800000, v3
	v_cmp_ne_u32_e32 vcc, s0, v5
                                        ; implicit-def: $vgpr9
	s_and_saveexec_b64 s[0:1], vcc
	s_xor_b64 s[0:1], exec, s[0:1]
; %bb.5:
	v_bfe_u32 v5, v3, 16, 1
	s_movk_i32 s4, 0x7fff
	v_add3_u32 v9, v3, v5, s4
                                        ; implicit-def: $vgpr3
; %bb.6:
	s_andn2_saveexec_b64 s[0:1], s[0:1]
; %bb.7:
	v_mov_b32_e32 v5, 0
	v_or_b32_e32 v6, 0x10000, v3
	v_cmp_eq_u32_sdwa vcc, v3, v5 src0_sel:WORD_0 src1_sel:DWORD
	v_cndmask_b32_e32 v9, v6, v3, vcc
; %bb.8:
	s_or_b64 exec, exec, s[0:1]
	v_mbcnt_lo_u32_b32 v3, -1, 0
	v_mbcnt_hi_u32_b32 v3, -1, v3
	v_and_b32_e32 v7, 15, v3
	v_cmp_ne_u32_e32 vcc, 0, v7
	v_mov_b32_e32 v5, v2
	v_mov_b32_e32 v6, v2
	s_and_saveexec_b64 s[0:1], vcc
; %bb.9:
	v_lshrrev_b32_e32 v2, 16, v8
	s_mov_b32 s4, 0xffff0000
	v_and_or_b32 v6, v9, s4, v2
	v_and_b32_e32 v4, 0xffff0000, v8
	v_mov_b32_e32 v5, v9
; %bb.10:
	s_or_b64 exec, exec, s[0:1]
	v_mov_b32_dpp v9, v6 row_shr:2 row_mask:0xf bank_mask:0xf
	v_lshlrev_b32_e32 v8, 16, v9
	v_add_f32_e32 v10, v4, v8
	s_mov_b32 s0, 0x7f800000
	v_and_b32_e32 v8, 0x7f800000, v10
	v_cmp_ne_u32_e32 vcc, s0, v8
                                        ; implicit-def: $vgpr8
	s_and_saveexec_b64 s[0:1], vcc
	s_xor_b64 s[0:1], exec, s[0:1]
; %bb.11:
	v_bfe_u32 v8, v10, 16, 1
	s_movk_i32 s4, 0x7fff
	v_add3_u32 v8, v10, v8, s4
                                        ; implicit-def: $vgpr10
; %bb.12:
	s_andn2_saveexec_b64 s[0:1], s[0:1]
; %bb.13:
	v_mov_b32_e32 v8, 0
	v_or_b32_e32 v11, 0x10000, v10
	v_cmp_eq_u32_sdwa vcc, v10, v8 src0_sel:WORD_0 src1_sel:DWORD
	v_cndmask_b32_e32 v8, v11, v10, vcc
; %bb.14:
	s_or_b64 exec, exec, s[0:1]
	v_and_b32_e32 v9, 0xffff0000, v9
	v_and_b32_e32 v10, 0xffff0000, v6
	v_add_f32_e32 v10, v10, v9
	s_mov_b32 s0, 0x7f800000
	v_and_b32_e32 v9, 0x7f800000, v10
	v_cmp_ne_u32_e32 vcc, s0, v9
                                        ; implicit-def: $vgpr9
	s_and_saveexec_b64 s[0:1], vcc
	s_xor_b64 s[0:1], exec, s[0:1]
	s_cbranch_execnz .LBB300_53
; %bb.15:
	s_andn2_saveexec_b64 s[0:1], s[0:1]
	s_cbranch_execnz .LBB300_54
.LBB300_16:
	s_or_b64 exec, exec, s[0:1]
	v_cmp_lt_u32_e32 vcc, 1, v7
	s_and_saveexec_b64 s[0:1], vcc
.LBB300_17:
	v_lshrrev_b32_e32 v2, 16, v8
	s_mov_b32 s4, 0xffff0000
	v_and_or_b32 v6, v9, s4, v2
	v_and_b32_e32 v4, 0xffff0000, v8
	v_mov_b32_e32 v5, v9
.LBB300_18:
	s_or_b64 exec, exec, s[0:1]
	v_mov_b32_dpp v9, v6 row_shr:4 row_mask:0xf bank_mask:0xf
	v_lshlrev_b32_e32 v8, 16, v9
	v_add_f32_e32 v10, v4, v8
	s_mov_b32 s0, 0x7f800000
	v_and_b32_e32 v8, 0x7f800000, v10
	v_cmp_ne_u32_e32 vcc, s0, v8
                                        ; implicit-def: $vgpr8
	s_and_saveexec_b64 s[0:1], vcc
	s_xor_b64 s[0:1], exec, s[0:1]
; %bb.19:
	v_bfe_u32 v8, v10, 16, 1
	s_movk_i32 s4, 0x7fff
	v_add3_u32 v8, v10, v8, s4
                                        ; implicit-def: $vgpr10
; %bb.20:
	s_andn2_saveexec_b64 s[0:1], s[0:1]
; %bb.21:
	v_mov_b32_e32 v8, 0
	v_or_b32_e32 v11, 0x10000, v10
	v_cmp_eq_u32_sdwa vcc, v10, v8 src0_sel:WORD_0 src1_sel:DWORD
	v_cndmask_b32_e32 v8, v11, v10, vcc
; %bb.22:
	s_or_b64 exec, exec, s[0:1]
	v_and_b32_e32 v9, 0xffff0000, v9
	v_and_b32_e32 v10, 0xffff0000, v6
	v_add_f32_e32 v10, v10, v9
	s_mov_b32 s0, 0x7f800000
	v_and_b32_e32 v9, 0x7f800000, v10
	v_cmp_ne_u32_e32 vcc, s0, v9
                                        ; implicit-def: $vgpr9
	s_and_saveexec_b64 s[0:1], vcc
	s_xor_b64 s[0:1], exec, s[0:1]
	s_cbranch_execnz .LBB300_55
; %bb.23:
	s_andn2_saveexec_b64 s[0:1], s[0:1]
	s_cbranch_execnz .LBB300_56
.LBB300_24:
	s_or_b64 exec, exec, s[0:1]
	v_cmp_lt_u32_e32 vcc, 3, v7
	s_and_saveexec_b64 s[0:1], vcc
.LBB300_25:
	v_lshrrev_b32_e32 v2, 16, v8
	s_mov_b32 s4, 0xffff0000
	v_and_or_b32 v6, v9, s4, v2
	v_and_b32_e32 v4, 0xffff0000, v8
	v_mov_b32_e32 v5, v9
.LBB300_26:
	s_or_b64 exec, exec, s[0:1]
	v_mov_b32_dpp v9, v6 row_shr:8 row_mask:0xf bank_mask:0xf
	v_lshlrev_b32_e32 v8, 16, v9
	v_add_f32_e32 v10, v4, v8
	s_mov_b32 s0, 0x7f800000
	v_and_b32_e32 v8, 0x7f800000, v10
	v_cmp_ne_u32_e32 vcc, s0, v8
                                        ; implicit-def: $vgpr8
	s_and_saveexec_b64 s[0:1], vcc
	s_xor_b64 s[0:1], exec, s[0:1]
; %bb.27:
	v_bfe_u32 v8, v10, 16, 1
	s_movk_i32 s4, 0x7fff
	v_add3_u32 v8, v10, v8, s4
                                        ; implicit-def: $vgpr10
; %bb.28:
	s_andn2_saveexec_b64 s[0:1], s[0:1]
; %bb.29:
	v_mov_b32_e32 v8, 0
	v_or_b32_e32 v11, 0x10000, v10
	v_cmp_eq_u32_sdwa vcc, v10, v8 src0_sel:WORD_0 src1_sel:DWORD
	v_cndmask_b32_e32 v8, v11, v10, vcc
; %bb.30:
	s_or_b64 exec, exec, s[0:1]
	v_and_b32_e32 v9, 0xffff0000, v9
	v_and_b32_e32 v10, 0xffff0000, v6
	v_add_f32_e32 v10, v10, v9
	s_mov_b32 s0, 0x7f800000
	v_and_b32_e32 v9, 0x7f800000, v10
	v_cmp_ne_u32_e32 vcc, s0, v9
                                        ; implicit-def: $vgpr9
	s_and_saveexec_b64 s[0:1], vcc
	s_xor_b64 s[0:1], exec, s[0:1]
	s_cbranch_execnz .LBB300_57
; %bb.31:
	s_andn2_saveexec_b64 s[0:1], s[0:1]
	s_cbranch_execnz .LBB300_58
.LBB300_32:
	s_or_b64 exec, exec, s[0:1]
	v_cmp_lt_u32_e32 vcc, 7, v7
	s_and_saveexec_b64 s[0:1], vcc
.LBB300_33:
	v_lshrrev_b32_e32 v2, 16, v8
	s_mov_b32 s4, 0xffff0000
	v_and_or_b32 v6, v9, s4, v2
	v_and_b32_e32 v4, 0xffff0000, v8
	v_mov_b32_e32 v5, v9
.LBB300_34:
	s_or_b64 exec, exec, s[0:1]
	v_mov_b32_dpp v7, v6 row_bcast:15 row_mask:0xf bank_mask:0xf
	v_lshlrev_b32_e32 v8, 16, v7
	v_add_f32_e32 v9, v4, v8
	s_mov_b32 s0, 0x7f800000
	v_and_b32_e32 v8, 0x7f800000, v9
	v_cmp_ne_u32_e32 vcc, s0, v8
                                        ; implicit-def: $vgpr8
	s_and_saveexec_b64 s[0:1], vcc
	s_xor_b64 s[0:1], exec, s[0:1]
; %bb.35:
	v_bfe_u32 v8, v9, 16, 1
	s_movk_i32 s4, 0x7fff
	v_add3_u32 v8, v9, v8, s4
                                        ; implicit-def: $vgpr9
; %bb.36:
	s_andn2_saveexec_b64 s[0:1], s[0:1]
; %bb.37:
	v_mov_b32_e32 v8, 0
	v_or_b32_e32 v10, 0x10000, v9
	v_cmp_eq_u32_sdwa vcc, v9, v8 src0_sel:WORD_0 src1_sel:DWORD
	v_cndmask_b32_e32 v8, v10, v9, vcc
; %bb.38:
	s_or_b64 exec, exec, s[0:1]
	v_and_b32_e32 v9, 0xffff0000, v7
	v_and_b32_e32 v7, 0xffff0000, v6
	v_add_f32_e32 v10, v7, v9
	s_mov_b32 s0, 0x7f800000
	v_and_b32_e32 v9, 0x7f800000, v10
	v_cmp_ne_u32_e32 vcc, s0, v9
                                        ; implicit-def: $vgpr9
	s_and_saveexec_b64 s[0:1], vcc
	s_xor_b64 s[0:1], exec, s[0:1]
; %bb.39:
	v_bfe_u32 v9, v10, 16, 1
	s_movk_i32 s4, 0x7fff
	v_add3_u32 v9, v10, v9, s4
                                        ; implicit-def: $vgpr10
; %bb.40:
	s_andn2_saveexec_b64 s[0:1], s[0:1]
; %bb.41:
	v_mov_b32_e32 v9, 0
	v_or_b32_e32 v11, 0x10000, v10
	v_cmp_eq_u32_sdwa vcc, v10, v9 src0_sel:WORD_0 src1_sel:DWORD
	v_cndmask_b32_e32 v9, v11, v10, vcc
; %bb.42:
	s_or_b64 exec, exec, s[0:1]
	v_and_b32_e32 v10, 16, v3
	v_cmp_ne_u32_e32 vcc, 0, v10
	s_and_saveexec_b64 s[0:1], vcc
; %bb.43:
	v_lshrrev_b32_e32 v2, 16, v8
	v_and_b32_e32 v7, 0xffff0000, v9
	v_or_b32_e32 v6, v7, v2
	v_and_b32_e32 v4, 0xffff0000, v8
	v_mov_b32_e32 v5, v9
; %bb.44:
	s_or_b64 exec, exec, s[0:1]
	v_mov_b32_dpp v6, v6 row_bcast:31 row_mask:0xf bank_mask:0xf
	v_lshlrev_b32_e32 v8, 16, v6
	v_add_f32_e32 v8, v4, v8
	s_mov_b32 s0, 0x7f800000
	v_and_b32_e32 v4, 0x7f800000, v8
	v_cmp_ne_u32_e32 vcc, s0, v4
                                        ; implicit-def: $vgpr4
	s_and_saveexec_b64 s[0:1], vcc
	s_xor_b64 s[0:1], exec, s[0:1]
; %bb.45:
	v_bfe_u32 v4, v8, 16, 1
	s_movk_i32 s4, 0x7fff
	v_add3_u32 v4, v8, v4, s4
                                        ; implicit-def: $vgpr8
; %bb.46:
	s_andn2_saveexec_b64 s[0:1], s[0:1]
; %bb.47:
	v_mov_b32_e32 v4, 0
	v_or_b32_e32 v9, 0x10000, v8
	v_cmp_eq_u32_sdwa vcc, v8, v4 src0_sel:WORD_0 src1_sel:DWORD
	v_cndmask_b32_e32 v4, v9, v8, vcc
; %bb.48:
	s_or_b64 exec, exec, s[0:1]
	v_and_b32_e32 v6, 0xffff0000, v6
	v_add_f32_e32 v6, v7, v6
	s_mov_b32 s0, 0x7f800000
	v_and_b32_e32 v7, 0x7f800000, v6
	v_cmp_ne_u32_e32 vcc, s0, v7
                                        ; implicit-def: $vgpr7
	s_and_saveexec_b64 s[0:1], vcc
	s_xor_b64 s[0:1], exec, s[0:1]
; %bb.49:
	v_bfe_u32 v7, v6, 16, 1
	s_movk_i32 s4, 0x7fff
	v_add3_u32 v7, v6, v7, s4
                                        ; implicit-def: $vgpr6
; %bb.50:
	s_andn2_saveexec_b64 s[0:1], s[0:1]
; %bb.51:
	v_mov_b32_e32 v7, 0
	v_or_b32_e32 v8, 0x10000, v6
	v_cmp_eq_u32_sdwa vcc, v6, v7 src0_sel:WORD_0 src1_sel:DWORD
	v_cndmask_b32_e32 v7, v8, v6, vcc
; %bb.52:
	s_or_b64 exec, exec, s[0:1]
	v_cmp_lt_u32_e32 vcc, 31, v3
	v_cndmask_b32_e32 v3, v5, v7, vcc
	v_cndmask_b32_sdwa v2, v2, v4, vcc dst_sel:DWORD dst_unused:UNUSED_PAD src0_sel:DWORD src1_sel:WORD_1
	v_mov_b32_e32 v4, s3
	v_add_co_u32_e32 v0, vcc, s2, v0
	s_mov_b32 s0, 0xffff
	v_addc_co_u32_e32 v1, vcc, v4, v1, vcc
	v_bfi_b32 v2, s0, v2, v3
	global_store_dword v[0:1], v2, off
	s_endpgm
.LBB300_53:
	v_bfe_u32 v9, v10, 16, 1
	s_movk_i32 s4, 0x7fff
	v_add3_u32 v9, v10, v9, s4
                                        ; implicit-def: $vgpr10
	s_andn2_saveexec_b64 s[0:1], s[0:1]
	s_cbranch_execz .LBB300_16
.LBB300_54:
	v_mov_b32_e32 v9, 0
	v_or_b32_e32 v11, 0x10000, v10
	v_cmp_eq_u32_sdwa vcc, v10, v9 src0_sel:WORD_0 src1_sel:DWORD
	v_cndmask_b32_e32 v9, v11, v10, vcc
	s_or_b64 exec, exec, s[0:1]
	v_cmp_lt_u32_e32 vcc, 1, v7
	s_and_saveexec_b64 s[0:1], vcc
	s_cbranch_execnz .LBB300_17
	s_branch .LBB300_18
.LBB300_55:
	v_bfe_u32 v9, v10, 16, 1
	s_movk_i32 s4, 0x7fff
	v_add3_u32 v9, v10, v9, s4
                                        ; implicit-def: $vgpr10
	s_andn2_saveexec_b64 s[0:1], s[0:1]
	s_cbranch_execz .LBB300_24
.LBB300_56:
	v_mov_b32_e32 v9, 0
	v_or_b32_e32 v11, 0x10000, v10
	v_cmp_eq_u32_sdwa vcc, v10, v9 src0_sel:WORD_0 src1_sel:DWORD
	v_cndmask_b32_e32 v9, v11, v10, vcc
	s_or_b64 exec, exec, s[0:1]
	v_cmp_lt_u32_e32 vcc, 3, v7
	s_and_saveexec_b64 s[0:1], vcc
	s_cbranch_execnz .LBB300_25
	s_branch .LBB300_26
.LBB300_57:
	v_bfe_u32 v9, v10, 16, 1
	s_movk_i32 s4, 0x7fff
	v_add3_u32 v9, v10, v9, s4
                                        ; implicit-def: $vgpr10
	s_andn2_saveexec_b64 s[0:1], s[0:1]
	s_cbranch_execz .LBB300_32
.LBB300_58:
	v_mov_b32_e32 v9, 0
	v_or_b32_e32 v11, 0x10000, v10
	v_cmp_eq_u32_sdwa vcc, v10, v9 src0_sel:WORD_0 src1_sel:DWORD
	v_cndmask_b32_e32 v9, v11, v10, vcc
	s_or_b64 exec, exec, s[0:1]
	v_cmp_lt_u32_e32 vcc, 7, v7
	s_and_saveexec_b64 s[0:1], vcc
	s_cbranch_execnz .LBB300_33
	s_branch .LBB300_34
	.section	.rodata,"a",@progbits
	.p2align	6, 0x0
	.amdhsa_kernel _Z26warp_inclusive_scan_kernelIN10test_utils16custom_test_typeI12hip_bfloat16EELj256ELj64EENSt9enable_ifIXsr10test_utilsE35device_test_enabled_for_warp_size_vIXT1_EEEvE4typeEPT_S8_
		.amdhsa_group_segment_fixed_size 0
		.amdhsa_private_segment_fixed_size 0
		.amdhsa_kernarg_size 272
		.amdhsa_user_sgpr_count 6
		.amdhsa_user_sgpr_private_segment_buffer 1
		.amdhsa_user_sgpr_dispatch_ptr 0
		.amdhsa_user_sgpr_queue_ptr 0
		.amdhsa_user_sgpr_kernarg_segment_ptr 1
		.amdhsa_user_sgpr_dispatch_id 0
		.amdhsa_user_sgpr_flat_scratch_init 0
		.amdhsa_user_sgpr_private_segment_size 0
		.amdhsa_uses_dynamic_stack 0
		.amdhsa_system_sgpr_private_segment_wavefront_offset 0
		.amdhsa_system_sgpr_workgroup_id_x 1
		.amdhsa_system_sgpr_workgroup_id_y 0
		.amdhsa_system_sgpr_workgroup_id_z 0
		.amdhsa_system_sgpr_workgroup_info 0
		.amdhsa_system_vgpr_workitem_id 0
		.amdhsa_next_free_vgpr 12
		.amdhsa_next_free_sgpr 8
		.amdhsa_reserve_vcc 1
		.amdhsa_reserve_flat_scratch 0
		.amdhsa_float_round_mode_32 0
		.amdhsa_float_round_mode_16_64 0
		.amdhsa_float_denorm_mode_32 3
		.amdhsa_float_denorm_mode_16_64 3
		.amdhsa_dx10_clamp 1
		.amdhsa_ieee_mode 1
		.amdhsa_fp16_overflow 0
		.amdhsa_exception_fp_ieee_invalid_op 0
		.amdhsa_exception_fp_denorm_src 0
		.amdhsa_exception_fp_ieee_div_zero 0
		.amdhsa_exception_fp_ieee_overflow 0
		.amdhsa_exception_fp_ieee_underflow 0
		.amdhsa_exception_fp_ieee_inexact 0
		.amdhsa_exception_int_div_zero 0
	.end_amdhsa_kernel
	.section	.text._Z26warp_inclusive_scan_kernelIN10test_utils16custom_test_typeI12hip_bfloat16EELj256ELj64EENSt9enable_ifIXsr10test_utilsE35device_test_enabled_for_warp_size_vIXT1_EEEvE4typeEPT_S8_,"axG",@progbits,_Z26warp_inclusive_scan_kernelIN10test_utils16custom_test_typeI12hip_bfloat16EELj256ELj64EENSt9enable_ifIXsr10test_utilsE35device_test_enabled_for_warp_size_vIXT1_EEEvE4typeEPT_S8_,comdat
.Lfunc_end300:
	.size	_Z26warp_inclusive_scan_kernelIN10test_utils16custom_test_typeI12hip_bfloat16EELj256ELj64EENSt9enable_ifIXsr10test_utilsE35device_test_enabled_for_warp_size_vIXT1_EEEvE4typeEPT_S8_, .Lfunc_end300-_Z26warp_inclusive_scan_kernelIN10test_utils16custom_test_typeI12hip_bfloat16EELj256ELj64EENSt9enable_ifIXsr10test_utilsE35device_test_enabled_for_warp_size_vIXT1_EEEvE4typeEPT_S8_
                                        ; -- End function
	.set _Z26warp_inclusive_scan_kernelIN10test_utils16custom_test_typeI12hip_bfloat16EELj256ELj64EENSt9enable_ifIXsr10test_utilsE35device_test_enabled_for_warp_size_vIXT1_EEEvE4typeEPT_S8_.num_vgpr, 12
	.set _Z26warp_inclusive_scan_kernelIN10test_utils16custom_test_typeI12hip_bfloat16EELj256ELj64EENSt9enable_ifIXsr10test_utilsE35device_test_enabled_for_warp_size_vIXT1_EEEvE4typeEPT_S8_.num_agpr, 0
	.set _Z26warp_inclusive_scan_kernelIN10test_utils16custom_test_typeI12hip_bfloat16EELj256ELj64EENSt9enable_ifIXsr10test_utilsE35device_test_enabled_for_warp_size_vIXT1_EEEvE4typeEPT_S8_.numbered_sgpr, 8
	.set _Z26warp_inclusive_scan_kernelIN10test_utils16custom_test_typeI12hip_bfloat16EELj256ELj64EENSt9enable_ifIXsr10test_utilsE35device_test_enabled_for_warp_size_vIXT1_EEEvE4typeEPT_S8_.num_named_barrier, 0
	.set _Z26warp_inclusive_scan_kernelIN10test_utils16custom_test_typeI12hip_bfloat16EELj256ELj64EENSt9enable_ifIXsr10test_utilsE35device_test_enabled_for_warp_size_vIXT1_EEEvE4typeEPT_S8_.private_seg_size, 0
	.set _Z26warp_inclusive_scan_kernelIN10test_utils16custom_test_typeI12hip_bfloat16EELj256ELj64EENSt9enable_ifIXsr10test_utilsE35device_test_enabled_for_warp_size_vIXT1_EEEvE4typeEPT_S8_.uses_vcc, 1
	.set _Z26warp_inclusive_scan_kernelIN10test_utils16custom_test_typeI12hip_bfloat16EELj256ELj64EENSt9enable_ifIXsr10test_utilsE35device_test_enabled_for_warp_size_vIXT1_EEEvE4typeEPT_S8_.uses_flat_scratch, 0
	.set _Z26warp_inclusive_scan_kernelIN10test_utils16custom_test_typeI12hip_bfloat16EELj256ELj64EENSt9enable_ifIXsr10test_utilsE35device_test_enabled_for_warp_size_vIXT1_EEEvE4typeEPT_S8_.has_dyn_sized_stack, 0
	.set _Z26warp_inclusive_scan_kernelIN10test_utils16custom_test_typeI12hip_bfloat16EELj256ELj64EENSt9enable_ifIXsr10test_utilsE35device_test_enabled_for_warp_size_vIXT1_EEEvE4typeEPT_S8_.has_recursion, 0
	.set _Z26warp_inclusive_scan_kernelIN10test_utils16custom_test_typeI12hip_bfloat16EELj256ELj64EENSt9enable_ifIXsr10test_utilsE35device_test_enabled_for_warp_size_vIXT1_EEEvE4typeEPT_S8_.has_indirect_call, 0
	.section	.AMDGPU.csdata,"",@progbits
; Kernel info:
; codeLenInByte = 1656
; TotalNumSgprs: 12
; NumVgprs: 12
; ScratchSize: 0
; MemoryBound: 0
; FloatMode: 240
; IeeeMode: 1
; LDSByteSize: 0 bytes/workgroup (compile time only)
; SGPRBlocks: 1
; VGPRBlocks: 2
; NumSGPRsForWavesPerEU: 12
; NumVGPRsForWavesPerEU: 12
; Occupancy: 10
; WaveLimiterHint : 0
; COMPUTE_PGM_RSRC2:SCRATCH_EN: 0
; COMPUTE_PGM_RSRC2:USER_SGPR: 6
; COMPUTE_PGM_RSRC2:TRAP_HANDLER: 0
; COMPUTE_PGM_RSRC2:TGID_X_EN: 1
; COMPUTE_PGM_RSRC2:TGID_Y_EN: 0
; COMPUTE_PGM_RSRC2:TGID_Z_EN: 0
; COMPUTE_PGM_RSRC2:TIDIG_COMP_CNT: 0
	.section	.text._Z26warp_inclusive_scan_kernelIN10test_utils16custom_test_typeI12hip_bfloat16EELj128ELj32EENSt9enable_ifIXsr10test_utilsE35device_test_enabled_for_warp_size_vIXT1_EEEvE4typeEPT_S8_,"axG",@progbits,_Z26warp_inclusive_scan_kernelIN10test_utils16custom_test_typeI12hip_bfloat16EELj128ELj32EENSt9enable_ifIXsr10test_utilsE35device_test_enabled_for_warp_size_vIXT1_EEEvE4typeEPT_S8_,comdat
	.protected	_Z26warp_inclusive_scan_kernelIN10test_utils16custom_test_typeI12hip_bfloat16EELj128ELj32EENSt9enable_ifIXsr10test_utilsE35device_test_enabled_for_warp_size_vIXT1_EEEvE4typeEPT_S8_ ; -- Begin function _Z26warp_inclusive_scan_kernelIN10test_utils16custom_test_typeI12hip_bfloat16EELj128ELj32EENSt9enable_ifIXsr10test_utilsE35device_test_enabled_for_warp_size_vIXT1_EEEvE4typeEPT_S8_
	.globl	_Z26warp_inclusive_scan_kernelIN10test_utils16custom_test_typeI12hip_bfloat16EELj128ELj32EENSt9enable_ifIXsr10test_utilsE35device_test_enabled_for_warp_size_vIXT1_EEEvE4typeEPT_S8_
	.p2align	8
	.type	_Z26warp_inclusive_scan_kernelIN10test_utils16custom_test_typeI12hip_bfloat16EELj128ELj32EENSt9enable_ifIXsr10test_utilsE35device_test_enabled_for_warp_size_vIXT1_EEEvE4typeEPT_S8_,@function
_Z26warp_inclusive_scan_kernelIN10test_utils16custom_test_typeI12hip_bfloat16EELj128ELj32EENSt9enable_ifIXsr10test_utilsE35device_test_enabled_for_warp_size_vIXT1_EEEvE4typeEPT_S8_: ; @_Z26warp_inclusive_scan_kernelIN10test_utils16custom_test_typeI12hip_bfloat16EELj128ELj32EENSt9enable_ifIXsr10test_utilsE35device_test_enabled_for_warp_size_vIXT1_EEEvE4typeEPT_S8_
; %bb.0:
	s_load_dword s7, s[4:5], 0x1c
	s_load_dwordx4 s[0:3], s[4:5], 0x0
	v_mov_b32_e32 v1, 0
                                        ; implicit-def: $vgpr8
	s_waitcnt lgkmcnt(0)
	s_and_b32 s4, s7, 0xffff
	s_mul_i32 s6, s6, s4
	v_add_u32_e32 v0, s6, v0
	v_lshlrev_b64 v[0:1], 2, v[0:1]
	v_mov_b32_e32 v3, s1
	v_add_co_u32_e32 v2, vcc, s0, v0
	v_addc_co_u32_e32 v3, vcc, v3, v1, vcc
	global_load_dword v2, v[2:3], off
	s_mov_b32 s0, 0x7f800000
	s_waitcnt vmcnt(0)
	v_lshlrev_b32_e32 v4, 16, v2
	v_mov_b32_dpp v3, v2 row_shr:1 row_mask:0xf bank_mask:0xf
	v_lshlrev_b32_e32 v5, 16, v3
	v_add_f32_e32 v5, v4, v5
	v_and_b32_e32 v6, 0x7f800000, v5
	v_cmp_ne_u32_e32 vcc, s0, v6
	s_and_saveexec_b64 s[0:1], vcc
	s_xor_b64 s[0:1], exec, s[0:1]
; %bb.1:
	v_bfe_u32 v6, v5, 16, 1
	s_movk_i32 s4, 0x7fff
	v_add3_u32 v8, v5, v6, s4
                                        ; implicit-def: $vgpr5
; %bb.2:
	s_andn2_saveexec_b64 s[0:1], s[0:1]
; %bb.3:
	v_mov_b32_e32 v6, 0
	v_or_b32_e32 v7, 0x10000, v5
	v_cmp_eq_u32_sdwa vcc, v5, v6 src0_sel:WORD_0 src1_sel:DWORD
	v_cndmask_b32_e32 v8, v7, v5, vcc
; %bb.4:
	s_or_b64 exec, exec, s[0:1]
	v_and_b32_e32 v3, 0xffff0000, v3
	v_and_b32_e32 v5, 0xffff0000, v2
	v_add_f32_e32 v3, v5, v3
	s_mov_b32 s0, 0x7f800000
	v_and_b32_e32 v5, 0x7f800000, v3
	v_cmp_ne_u32_e32 vcc, s0, v5
                                        ; implicit-def: $vgpr9
	s_and_saveexec_b64 s[0:1], vcc
	s_xor_b64 s[0:1], exec, s[0:1]
; %bb.5:
	v_bfe_u32 v5, v3, 16, 1
	s_movk_i32 s4, 0x7fff
	v_add3_u32 v9, v3, v5, s4
                                        ; implicit-def: $vgpr3
; %bb.6:
	s_andn2_saveexec_b64 s[0:1], s[0:1]
; %bb.7:
	v_mov_b32_e32 v5, 0
	v_or_b32_e32 v6, 0x10000, v3
	v_cmp_eq_u32_sdwa vcc, v3, v5 src0_sel:WORD_0 src1_sel:DWORD
	v_cndmask_b32_e32 v9, v6, v3, vcc
; %bb.8:
	s_or_b64 exec, exec, s[0:1]
	v_mbcnt_lo_u32_b32 v3, -1, 0
	v_mbcnt_hi_u32_b32 v3, -1, v3
	v_and_b32_e32 v7, 15, v3
	v_cmp_ne_u32_e32 vcc, 0, v7
	v_mov_b32_e32 v5, v2
	v_mov_b32_e32 v6, v2
	s_and_saveexec_b64 s[0:1], vcc
; %bb.9:
	v_lshrrev_b32_e32 v2, 16, v8
	s_mov_b32 s4, 0xffff0000
	v_and_or_b32 v6, v9, s4, v2
	v_and_b32_e32 v4, 0xffff0000, v8
	v_mov_b32_e32 v5, v9
; %bb.10:
	s_or_b64 exec, exec, s[0:1]
	v_mov_b32_dpp v9, v6 row_shr:2 row_mask:0xf bank_mask:0xf
	v_lshlrev_b32_e32 v8, 16, v9
	v_add_f32_e32 v10, v4, v8
	s_mov_b32 s0, 0x7f800000
	v_and_b32_e32 v8, 0x7f800000, v10
	v_cmp_ne_u32_e32 vcc, s0, v8
                                        ; implicit-def: $vgpr8
	s_and_saveexec_b64 s[0:1], vcc
	s_xor_b64 s[0:1], exec, s[0:1]
; %bb.11:
	v_bfe_u32 v8, v10, 16, 1
	s_movk_i32 s4, 0x7fff
	v_add3_u32 v8, v10, v8, s4
                                        ; implicit-def: $vgpr10
; %bb.12:
	s_andn2_saveexec_b64 s[0:1], s[0:1]
; %bb.13:
	v_mov_b32_e32 v8, 0
	v_or_b32_e32 v11, 0x10000, v10
	v_cmp_eq_u32_sdwa vcc, v10, v8 src0_sel:WORD_0 src1_sel:DWORD
	v_cndmask_b32_e32 v8, v11, v10, vcc
; %bb.14:
	s_or_b64 exec, exec, s[0:1]
	v_and_b32_e32 v9, 0xffff0000, v9
	v_and_b32_e32 v10, 0xffff0000, v6
	v_add_f32_e32 v10, v10, v9
	s_mov_b32 s0, 0x7f800000
	v_and_b32_e32 v9, 0x7f800000, v10
	v_cmp_ne_u32_e32 vcc, s0, v9
                                        ; implicit-def: $vgpr9
	s_and_saveexec_b64 s[0:1], vcc
	s_xor_b64 s[0:1], exec, s[0:1]
	s_cbranch_execnz .LBB301_43
; %bb.15:
	s_andn2_saveexec_b64 s[0:1], s[0:1]
	s_cbranch_execnz .LBB301_44
.LBB301_16:
	s_or_b64 exec, exec, s[0:1]
	v_cmp_lt_u32_e32 vcc, 1, v7
	s_and_saveexec_b64 s[0:1], vcc
.LBB301_17:
	v_lshrrev_b32_e32 v2, 16, v8
	s_mov_b32 s4, 0xffff0000
	v_and_or_b32 v6, v9, s4, v2
	v_and_b32_e32 v4, 0xffff0000, v8
	v_mov_b32_e32 v5, v9
.LBB301_18:
	s_or_b64 exec, exec, s[0:1]
	v_mov_b32_dpp v9, v6 row_shr:4 row_mask:0xf bank_mask:0xf
	v_lshlrev_b32_e32 v8, 16, v9
	v_add_f32_e32 v10, v4, v8
	s_mov_b32 s0, 0x7f800000
	v_and_b32_e32 v8, 0x7f800000, v10
	v_cmp_ne_u32_e32 vcc, s0, v8
                                        ; implicit-def: $vgpr8
	s_and_saveexec_b64 s[0:1], vcc
	s_xor_b64 s[0:1], exec, s[0:1]
; %bb.19:
	v_bfe_u32 v8, v10, 16, 1
	s_movk_i32 s4, 0x7fff
	v_add3_u32 v8, v10, v8, s4
                                        ; implicit-def: $vgpr10
; %bb.20:
	s_andn2_saveexec_b64 s[0:1], s[0:1]
; %bb.21:
	v_mov_b32_e32 v8, 0
	v_or_b32_e32 v11, 0x10000, v10
	v_cmp_eq_u32_sdwa vcc, v10, v8 src0_sel:WORD_0 src1_sel:DWORD
	v_cndmask_b32_e32 v8, v11, v10, vcc
; %bb.22:
	s_or_b64 exec, exec, s[0:1]
	v_and_b32_e32 v9, 0xffff0000, v9
	v_and_b32_e32 v10, 0xffff0000, v6
	v_add_f32_e32 v10, v10, v9
	s_mov_b32 s0, 0x7f800000
	v_and_b32_e32 v9, 0x7f800000, v10
	v_cmp_ne_u32_e32 vcc, s0, v9
                                        ; implicit-def: $vgpr9
	s_and_saveexec_b64 s[0:1], vcc
	s_xor_b64 s[0:1], exec, s[0:1]
	s_cbranch_execnz .LBB301_45
; %bb.23:
	s_andn2_saveexec_b64 s[0:1], s[0:1]
	s_cbranch_execnz .LBB301_46
.LBB301_24:
	s_or_b64 exec, exec, s[0:1]
	v_cmp_lt_u32_e32 vcc, 3, v7
	s_and_saveexec_b64 s[0:1], vcc
.LBB301_25:
	v_lshrrev_b32_e32 v2, 16, v8
	s_mov_b32 s4, 0xffff0000
	v_and_or_b32 v6, v9, s4, v2
	v_and_b32_e32 v4, 0xffff0000, v8
	v_mov_b32_e32 v5, v9
.LBB301_26:
	s_or_b64 exec, exec, s[0:1]
	v_mov_b32_dpp v8, v6 row_shr:8 row_mask:0xf bank_mask:0xf
	v_lshlrev_b32_e32 v9, 16, v8
	v_add_f32_e32 v10, v4, v9
	s_mov_b32 s0, 0x7f800000
	v_and_b32_e32 v9, 0x7f800000, v10
	v_cmp_ne_u32_e32 vcc, s0, v9
                                        ; implicit-def: $vgpr9
	s_and_saveexec_b64 s[0:1], vcc
	s_xor_b64 s[0:1], exec, s[0:1]
; %bb.27:
	v_bfe_u32 v9, v10, 16, 1
	s_movk_i32 s4, 0x7fff
	v_add3_u32 v9, v10, v9, s4
                                        ; implicit-def: $vgpr10
; %bb.28:
	s_andn2_saveexec_b64 s[0:1], s[0:1]
; %bb.29:
	v_mov_b32_e32 v9, 0
	v_or_b32_e32 v11, 0x10000, v10
	v_cmp_eq_u32_sdwa vcc, v10, v9 src0_sel:WORD_0 src1_sel:DWORD
	v_cndmask_b32_e32 v9, v11, v10, vcc
; %bb.30:
	s_or_b64 exec, exec, s[0:1]
	v_and_b32_e32 v10, 0xffff0000, v8
	v_and_b32_e32 v8, 0xffff0000, v6
	v_add_f32_e32 v11, v8, v10
	s_mov_b32 s0, 0x7f800000
	v_and_b32_e32 v10, 0x7f800000, v11
	v_cmp_ne_u32_e32 vcc, s0, v10
                                        ; implicit-def: $vgpr10
	s_and_saveexec_b64 s[0:1], vcc
	s_xor_b64 s[0:1], exec, s[0:1]
	s_cbranch_execnz .LBB301_47
; %bb.31:
	s_andn2_saveexec_b64 s[0:1], s[0:1]
	s_cbranch_execnz .LBB301_48
.LBB301_32:
	s_or_b64 exec, exec, s[0:1]
	v_cmp_lt_u32_e32 vcc, 7, v7
	s_and_saveexec_b64 s[0:1], vcc
.LBB301_33:
	v_lshrrev_b32_e32 v2, 16, v9
	v_and_b32_e32 v8, 0xffff0000, v10
	v_or_b32_e32 v6, v8, v2
	v_and_b32_e32 v4, 0xffff0000, v9
	v_mov_b32_e32 v5, v10
.LBB301_34:
	s_or_b64 exec, exec, s[0:1]
	v_mov_b32_dpp v6, v6 row_bcast:15 row_mask:0xf bank_mask:0xf
	v_lshlrev_b32_e32 v7, 16, v6
	v_add_f32_e32 v7, v4, v7
	s_mov_b32 s0, 0x7f800000
	v_and_b32_e32 v4, 0x7f800000, v7
	v_cmp_ne_u32_e32 vcc, s0, v4
                                        ; implicit-def: $vgpr4
	s_and_saveexec_b64 s[0:1], vcc
	s_xor_b64 s[0:1], exec, s[0:1]
; %bb.35:
	v_bfe_u32 v4, v7, 16, 1
	s_movk_i32 s4, 0x7fff
	v_add3_u32 v4, v7, v4, s4
                                        ; implicit-def: $vgpr7
; %bb.36:
	s_andn2_saveexec_b64 s[0:1], s[0:1]
; %bb.37:
	v_mov_b32_e32 v4, 0
	v_or_b32_e32 v9, 0x10000, v7
	v_cmp_eq_u32_sdwa vcc, v7, v4 src0_sel:WORD_0 src1_sel:DWORD
	v_cndmask_b32_e32 v4, v9, v7, vcc
; %bb.38:
	s_or_b64 exec, exec, s[0:1]
	v_and_b32_e32 v6, 0xffff0000, v6
	v_add_f32_e32 v6, v8, v6
	s_mov_b32 s0, 0x7f800000
	v_and_b32_e32 v7, 0x7f800000, v6
	v_cmp_ne_u32_e32 vcc, s0, v7
                                        ; implicit-def: $vgpr7
	s_and_saveexec_b64 s[0:1], vcc
	s_xor_b64 s[0:1], exec, s[0:1]
; %bb.39:
	v_bfe_u32 v7, v6, 16, 1
	s_movk_i32 s4, 0x7fff
	v_add3_u32 v7, v6, v7, s4
                                        ; implicit-def: $vgpr6
; %bb.40:
	s_andn2_saveexec_b64 s[0:1], s[0:1]
; %bb.41:
	v_mov_b32_e32 v7, 0
	v_or_b32_e32 v8, 0x10000, v6
	v_cmp_eq_u32_sdwa vcc, v6, v7 src0_sel:WORD_0 src1_sel:DWORD
	v_cndmask_b32_e32 v7, v8, v6, vcc
; %bb.42:
	s_or_b64 exec, exec, s[0:1]
	v_and_b32_e32 v3, 16, v3
	v_cmp_eq_u32_e32 vcc, 0, v3
	v_cndmask_b32_e32 v3, v7, v5, vcc
	v_cndmask_b32_sdwa v2, v4, v2, vcc dst_sel:DWORD dst_unused:UNUSED_PAD src0_sel:WORD_1 src1_sel:DWORD
	v_mov_b32_e32 v4, s3
	v_add_co_u32_e32 v0, vcc, s2, v0
	s_mov_b32 s0, 0xffff
	v_addc_co_u32_e32 v1, vcc, v4, v1, vcc
	v_bfi_b32 v2, s0, v2, v3
	global_store_dword v[0:1], v2, off
	s_endpgm
.LBB301_43:
	v_bfe_u32 v9, v10, 16, 1
	s_movk_i32 s4, 0x7fff
	v_add3_u32 v9, v10, v9, s4
                                        ; implicit-def: $vgpr10
	s_andn2_saveexec_b64 s[0:1], s[0:1]
	s_cbranch_execz .LBB301_16
.LBB301_44:
	v_mov_b32_e32 v9, 0
	v_or_b32_e32 v11, 0x10000, v10
	v_cmp_eq_u32_sdwa vcc, v10, v9 src0_sel:WORD_0 src1_sel:DWORD
	v_cndmask_b32_e32 v9, v11, v10, vcc
	s_or_b64 exec, exec, s[0:1]
	v_cmp_lt_u32_e32 vcc, 1, v7
	s_and_saveexec_b64 s[0:1], vcc
	s_cbranch_execnz .LBB301_17
	s_branch .LBB301_18
.LBB301_45:
	v_bfe_u32 v9, v10, 16, 1
	s_movk_i32 s4, 0x7fff
	v_add3_u32 v9, v10, v9, s4
                                        ; implicit-def: $vgpr10
	s_andn2_saveexec_b64 s[0:1], s[0:1]
	s_cbranch_execz .LBB301_24
.LBB301_46:
	v_mov_b32_e32 v9, 0
	v_or_b32_e32 v11, 0x10000, v10
	v_cmp_eq_u32_sdwa vcc, v10, v9 src0_sel:WORD_0 src1_sel:DWORD
	v_cndmask_b32_e32 v9, v11, v10, vcc
	s_or_b64 exec, exec, s[0:1]
	v_cmp_lt_u32_e32 vcc, 3, v7
	s_and_saveexec_b64 s[0:1], vcc
	s_cbranch_execnz .LBB301_25
	s_branch .LBB301_26
.LBB301_47:
	v_bfe_u32 v10, v11, 16, 1
	s_movk_i32 s4, 0x7fff
	v_add3_u32 v10, v11, v10, s4
                                        ; implicit-def: $vgpr11
	s_andn2_saveexec_b64 s[0:1], s[0:1]
	s_cbranch_execz .LBB301_32
.LBB301_48:
	v_mov_b32_e32 v10, 0
	v_or_b32_e32 v12, 0x10000, v11
	v_cmp_eq_u32_sdwa vcc, v11, v10 src0_sel:WORD_0 src1_sel:DWORD
	v_cndmask_b32_e32 v10, v12, v11, vcc
	s_or_b64 exec, exec, s[0:1]
	v_cmp_lt_u32_e32 vcc, 7, v7
	s_and_saveexec_b64 s[0:1], vcc
	s_cbranch_execnz .LBB301_33
	s_branch .LBB301_34
	.section	.rodata,"a",@progbits
	.p2align	6, 0x0
	.amdhsa_kernel _Z26warp_inclusive_scan_kernelIN10test_utils16custom_test_typeI12hip_bfloat16EELj128ELj32EENSt9enable_ifIXsr10test_utilsE35device_test_enabled_for_warp_size_vIXT1_EEEvE4typeEPT_S8_
		.amdhsa_group_segment_fixed_size 0
		.amdhsa_private_segment_fixed_size 0
		.amdhsa_kernarg_size 272
		.amdhsa_user_sgpr_count 6
		.amdhsa_user_sgpr_private_segment_buffer 1
		.amdhsa_user_sgpr_dispatch_ptr 0
		.amdhsa_user_sgpr_queue_ptr 0
		.amdhsa_user_sgpr_kernarg_segment_ptr 1
		.amdhsa_user_sgpr_dispatch_id 0
		.amdhsa_user_sgpr_flat_scratch_init 0
		.amdhsa_user_sgpr_private_segment_size 0
		.amdhsa_uses_dynamic_stack 0
		.amdhsa_system_sgpr_private_segment_wavefront_offset 0
		.amdhsa_system_sgpr_workgroup_id_x 1
		.amdhsa_system_sgpr_workgroup_id_y 0
		.amdhsa_system_sgpr_workgroup_id_z 0
		.amdhsa_system_sgpr_workgroup_info 0
		.amdhsa_system_vgpr_workitem_id 0
		.amdhsa_next_free_vgpr 13
		.amdhsa_next_free_sgpr 8
		.amdhsa_reserve_vcc 1
		.amdhsa_reserve_flat_scratch 0
		.amdhsa_float_round_mode_32 0
		.amdhsa_float_round_mode_16_64 0
		.amdhsa_float_denorm_mode_32 3
		.amdhsa_float_denorm_mode_16_64 3
		.amdhsa_dx10_clamp 1
		.amdhsa_ieee_mode 1
		.amdhsa_fp16_overflow 0
		.amdhsa_exception_fp_ieee_invalid_op 0
		.amdhsa_exception_fp_denorm_src 0
		.amdhsa_exception_fp_ieee_div_zero 0
		.amdhsa_exception_fp_ieee_overflow 0
		.amdhsa_exception_fp_ieee_underflow 0
		.amdhsa_exception_fp_ieee_inexact 0
		.amdhsa_exception_int_div_zero 0
	.end_amdhsa_kernel
	.section	.text._Z26warp_inclusive_scan_kernelIN10test_utils16custom_test_typeI12hip_bfloat16EELj128ELj32EENSt9enable_ifIXsr10test_utilsE35device_test_enabled_for_warp_size_vIXT1_EEEvE4typeEPT_S8_,"axG",@progbits,_Z26warp_inclusive_scan_kernelIN10test_utils16custom_test_typeI12hip_bfloat16EELj128ELj32EENSt9enable_ifIXsr10test_utilsE35device_test_enabled_for_warp_size_vIXT1_EEEvE4typeEPT_S8_,comdat
.Lfunc_end301:
	.size	_Z26warp_inclusive_scan_kernelIN10test_utils16custom_test_typeI12hip_bfloat16EELj128ELj32EENSt9enable_ifIXsr10test_utilsE35device_test_enabled_for_warp_size_vIXT1_EEEvE4typeEPT_S8_, .Lfunc_end301-_Z26warp_inclusive_scan_kernelIN10test_utils16custom_test_typeI12hip_bfloat16EELj128ELj32EENSt9enable_ifIXsr10test_utilsE35device_test_enabled_for_warp_size_vIXT1_EEEvE4typeEPT_S8_
                                        ; -- End function
	.set _Z26warp_inclusive_scan_kernelIN10test_utils16custom_test_typeI12hip_bfloat16EELj128ELj32EENSt9enable_ifIXsr10test_utilsE35device_test_enabled_for_warp_size_vIXT1_EEEvE4typeEPT_S8_.num_vgpr, 13
	.set _Z26warp_inclusive_scan_kernelIN10test_utils16custom_test_typeI12hip_bfloat16EELj128ELj32EENSt9enable_ifIXsr10test_utilsE35device_test_enabled_for_warp_size_vIXT1_EEEvE4typeEPT_S8_.num_agpr, 0
	.set _Z26warp_inclusive_scan_kernelIN10test_utils16custom_test_typeI12hip_bfloat16EELj128ELj32EENSt9enable_ifIXsr10test_utilsE35device_test_enabled_for_warp_size_vIXT1_EEEvE4typeEPT_S8_.numbered_sgpr, 8
	.set _Z26warp_inclusive_scan_kernelIN10test_utils16custom_test_typeI12hip_bfloat16EELj128ELj32EENSt9enable_ifIXsr10test_utilsE35device_test_enabled_for_warp_size_vIXT1_EEEvE4typeEPT_S8_.num_named_barrier, 0
	.set _Z26warp_inclusive_scan_kernelIN10test_utils16custom_test_typeI12hip_bfloat16EELj128ELj32EENSt9enable_ifIXsr10test_utilsE35device_test_enabled_for_warp_size_vIXT1_EEEvE4typeEPT_S8_.private_seg_size, 0
	.set _Z26warp_inclusive_scan_kernelIN10test_utils16custom_test_typeI12hip_bfloat16EELj128ELj32EENSt9enable_ifIXsr10test_utilsE35device_test_enabled_for_warp_size_vIXT1_EEEvE4typeEPT_S8_.uses_vcc, 1
	.set _Z26warp_inclusive_scan_kernelIN10test_utils16custom_test_typeI12hip_bfloat16EELj128ELj32EENSt9enable_ifIXsr10test_utilsE35device_test_enabled_for_warp_size_vIXT1_EEEvE4typeEPT_S8_.uses_flat_scratch, 0
	.set _Z26warp_inclusive_scan_kernelIN10test_utils16custom_test_typeI12hip_bfloat16EELj128ELj32EENSt9enable_ifIXsr10test_utilsE35device_test_enabled_for_warp_size_vIXT1_EEEvE4typeEPT_S8_.has_dyn_sized_stack, 0
	.set _Z26warp_inclusive_scan_kernelIN10test_utils16custom_test_typeI12hip_bfloat16EELj128ELj32EENSt9enable_ifIXsr10test_utilsE35device_test_enabled_for_warp_size_vIXT1_EEEvE4typeEPT_S8_.has_recursion, 0
	.set _Z26warp_inclusive_scan_kernelIN10test_utils16custom_test_typeI12hip_bfloat16EELj128ELj32EENSt9enable_ifIXsr10test_utilsE35device_test_enabled_for_warp_size_vIXT1_EEEvE4typeEPT_S8_.has_indirect_call, 0
	.section	.AMDGPU.csdata,"",@progbits
; Kernel info:
; codeLenInByte = 1416
; TotalNumSgprs: 12
; NumVgprs: 13
; ScratchSize: 0
; MemoryBound: 0
; FloatMode: 240
; IeeeMode: 1
; LDSByteSize: 0 bytes/workgroup (compile time only)
; SGPRBlocks: 1
; VGPRBlocks: 3
; NumSGPRsForWavesPerEU: 12
; NumVGPRsForWavesPerEU: 13
; Occupancy: 10
; WaveLimiterHint : 0
; COMPUTE_PGM_RSRC2:SCRATCH_EN: 0
; COMPUTE_PGM_RSRC2:USER_SGPR: 6
; COMPUTE_PGM_RSRC2:TRAP_HANDLER: 0
; COMPUTE_PGM_RSRC2:TGID_X_EN: 1
; COMPUTE_PGM_RSRC2:TGID_Y_EN: 0
; COMPUTE_PGM_RSRC2:TGID_Z_EN: 0
; COMPUTE_PGM_RSRC2:TIDIG_COMP_CNT: 0
	.section	.text._Z26warp_inclusive_scan_kernelIN10test_utils16custom_test_typeI12hip_bfloat16EELj64ELj16EENSt9enable_ifIXsr10test_utilsE35device_test_enabled_for_warp_size_vIXT1_EEEvE4typeEPT_S8_,"axG",@progbits,_Z26warp_inclusive_scan_kernelIN10test_utils16custom_test_typeI12hip_bfloat16EELj64ELj16EENSt9enable_ifIXsr10test_utilsE35device_test_enabled_for_warp_size_vIXT1_EEEvE4typeEPT_S8_,comdat
	.protected	_Z26warp_inclusive_scan_kernelIN10test_utils16custom_test_typeI12hip_bfloat16EELj64ELj16EENSt9enable_ifIXsr10test_utilsE35device_test_enabled_for_warp_size_vIXT1_EEEvE4typeEPT_S8_ ; -- Begin function _Z26warp_inclusive_scan_kernelIN10test_utils16custom_test_typeI12hip_bfloat16EELj64ELj16EENSt9enable_ifIXsr10test_utilsE35device_test_enabled_for_warp_size_vIXT1_EEEvE4typeEPT_S8_
	.globl	_Z26warp_inclusive_scan_kernelIN10test_utils16custom_test_typeI12hip_bfloat16EELj64ELj16EENSt9enable_ifIXsr10test_utilsE35device_test_enabled_for_warp_size_vIXT1_EEEvE4typeEPT_S8_
	.p2align	8
	.type	_Z26warp_inclusive_scan_kernelIN10test_utils16custom_test_typeI12hip_bfloat16EELj64ELj16EENSt9enable_ifIXsr10test_utilsE35device_test_enabled_for_warp_size_vIXT1_EEEvE4typeEPT_S8_,@function
_Z26warp_inclusive_scan_kernelIN10test_utils16custom_test_typeI12hip_bfloat16EELj64ELj16EENSt9enable_ifIXsr10test_utilsE35device_test_enabled_for_warp_size_vIXT1_EEEvE4typeEPT_S8_: ; @_Z26warp_inclusive_scan_kernelIN10test_utils16custom_test_typeI12hip_bfloat16EELj64ELj16EENSt9enable_ifIXsr10test_utilsE35device_test_enabled_for_warp_size_vIXT1_EEEvE4typeEPT_S8_
; %bb.0:
	s_load_dword s7, s[4:5], 0x1c
	s_load_dwordx4 s[0:3], s[4:5], 0x0
	v_mov_b32_e32 v1, 0
                                        ; implicit-def: $vgpr7
	s_waitcnt lgkmcnt(0)
	s_and_b32 s4, s7, 0xffff
	s_mul_i32 s6, s6, s4
	v_add_u32_e32 v0, s6, v0
	v_lshlrev_b64 v[0:1], 2, v[0:1]
	v_mov_b32_e32 v3, s1
	v_add_co_u32_e32 v2, vcc, s0, v0
	v_addc_co_u32_e32 v3, vcc, v3, v1, vcc
	global_load_dword v2, v[2:3], off
	s_mov_b32 s0, 0x7f800000
	s_waitcnt vmcnt(0)
	v_lshlrev_b32_e32 v4, 16, v2
	v_mov_b32_dpp v3, v2 row_shr:1 row_mask:0xf bank_mask:0xf
	v_lshlrev_b32_e32 v5, 16, v3
	v_add_f32_e32 v5, v4, v5
	v_and_b32_e32 v6, 0x7f800000, v5
	v_cmp_ne_u32_e32 vcc, s0, v6
	s_and_saveexec_b64 s[0:1], vcc
	s_xor_b64 s[0:1], exec, s[0:1]
; %bb.1:
	v_bfe_u32 v6, v5, 16, 1
	s_movk_i32 s4, 0x7fff
	v_add3_u32 v7, v5, v6, s4
                                        ; implicit-def: $vgpr5
; %bb.2:
	s_andn2_saveexec_b64 s[0:1], s[0:1]
; %bb.3:
	v_mov_b32_e32 v6, 0
	v_or_b32_e32 v7, 0x10000, v5
	v_cmp_eq_u32_sdwa vcc, v5, v6 src0_sel:WORD_0 src1_sel:DWORD
	v_cndmask_b32_e32 v7, v7, v5, vcc
; %bb.4:
	s_or_b64 exec, exec, s[0:1]
	v_and_b32_e32 v3, 0xffff0000, v3
	v_and_b32_e32 v5, 0xffff0000, v2
	v_add_f32_e32 v3, v5, v3
	s_mov_b32 s0, 0x7f800000
	v_and_b32_e32 v5, 0x7f800000, v3
	v_cmp_ne_u32_e32 vcc, s0, v5
                                        ; implicit-def: $vgpr8
	s_and_saveexec_b64 s[0:1], vcc
	s_xor_b64 s[0:1], exec, s[0:1]
; %bb.5:
	v_bfe_u32 v5, v3, 16, 1
	s_movk_i32 s4, 0x7fff
	v_add3_u32 v8, v3, v5, s4
                                        ; implicit-def: $vgpr3
; %bb.6:
	s_andn2_saveexec_b64 s[0:1], s[0:1]
; %bb.7:
	v_mov_b32_e32 v5, 0
	v_or_b32_e32 v6, 0x10000, v3
	v_cmp_eq_u32_sdwa vcc, v3, v5 src0_sel:WORD_0 src1_sel:DWORD
	v_cndmask_b32_e32 v8, v6, v3, vcc
; %bb.8:
	s_or_b64 exec, exec, s[0:1]
	v_mbcnt_lo_u32_b32 v3, -1, 0
	v_mbcnt_hi_u32_b32 v3, -1, v3
	v_and_b32_e32 v3, 15, v3
	v_cmp_ne_u32_e32 vcc, 0, v3
	v_mov_b32_e32 v5, v2
	v_mov_b32_e32 v6, v2
	s_and_saveexec_b64 s[0:1], vcc
; %bb.9:
	v_lshrrev_b32_e32 v2, 16, v7
	s_mov_b32 s4, 0xffff0000
	v_and_or_b32 v6, v8, s4, v2
	v_and_b32_e32 v4, 0xffff0000, v7
	v_mov_b32_e32 v5, v8
; %bb.10:
	s_or_b64 exec, exec, s[0:1]
	v_mov_b32_dpp v8, v6 row_shr:2 row_mask:0xf bank_mask:0xf
	v_lshlrev_b32_e32 v7, 16, v8
	v_add_f32_e32 v9, v4, v7
	s_mov_b32 s0, 0x7f800000
	v_and_b32_e32 v7, 0x7f800000, v9
	v_cmp_ne_u32_e32 vcc, s0, v7
                                        ; implicit-def: $vgpr7
	s_and_saveexec_b64 s[0:1], vcc
	s_xor_b64 s[0:1], exec, s[0:1]
; %bb.11:
	v_bfe_u32 v7, v9, 16, 1
	s_movk_i32 s4, 0x7fff
	v_add3_u32 v7, v9, v7, s4
                                        ; implicit-def: $vgpr9
; %bb.12:
	s_andn2_saveexec_b64 s[0:1], s[0:1]
; %bb.13:
	v_mov_b32_e32 v7, 0
	v_or_b32_e32 v10, 0x10000, v9
	v_cmp_eq_u32_sdwa vcc, v9, v7 src0_sel:WORD_0 src1_sel:DWORD
	v_cndmask_b32_e32 v7, v10, v9, vcc
; %bb.14:
	s_or_b64 exec, exec, s[0:1]
	v_and_b32_e32 v8, 0xffff0000, v8
	v_and_b32_e32 v9, 0xffff0000, v6
	v_add_f32_e32 v9, v9, v8
	s_mov_b32 s0, 0x7f800000
	v_and_b32_e32 v8, 0x7f800000, v9
	v_cmp_ne_u32_e32 vcc, s0, v8
                                        ; implicit-def: $vgpr8
	s_and_saveexec_b64 s[0:1], vcc
	s_xor_b64 s[0:1], exec, s[0:1]
	s_cbranch_execnz .LBB302_35
; %bb.15:
	s_andn2_saveexec_b64 s[0:1], s[0:1]
	s_cbranch_execnz .LBB302_36
.LBB302_16:
	s_or_b64 exec, exec, s[0:1]
	v_cmp_lt_u32_e32 vcc, 1, v3
	s_and_saveexec_b64 s[0:1], vcc
.LBB302_17:
	v_lshrrev_b32_e32 v2, 16, v7
	s_mov_b32 s4, 0xffff0000
	v_and_or_b32 v6, v8, s4, v2
	v_and_b32_e32 v4, 0xffff0000, v7
	v_mov_b32_e32 v5, v8
.LBB302_18:
	s_or_b64 exec, exec, s[0:1]
	v_mov_b32_dpp v7, v6 row_shr:4 row_mask:0xf bank_mask:0xf
	v_lshlrev_b32_e32 v8, 16, v7
	v_add_f32_e32 v9, v4, v8
	s_mov_b32 s0, 0x7f800000
	v_and_b32_e32 v8, 0x7f800000, v9
	v_cmp_ne_u32_e32 vcc, s0, v8
                                        ; implicit-def: $vgpr8
	s_and_saveexec_b64 s[0:1], vcc
	s_xor_b64 s[0:1], exec, s[0:1]
; %bb.19:
	v_bfe_u32 v8, v9, 16, 1
	s_movk_i32 s4, 0x7fff
	v_add3_u32 v8, v9, v8, s4
                                        ; implicit-def: $vgpr9
; %bb.20:
	s_andn2_saveexec_b64 s[0:1], s[0:1]
; %bb.21:
	v_mov_b32_e32 v8, 0
	v_or_b32_e32 v10, 0x10000, v9
	v_cmp_eq_u32_sdwa vcc, v9, v8 src0_sel:WORD_0 src1_sel:DWORD
	v_cndmask_b32_e32 v8, v10, v9, vcc
; %bb.22:
	s_or_b64 exec, exec, s[0:1]
	v_and_b32_e32 v9, 0xffff0000, v7
	v_and_b32_e32 v7, 0xffff0000, v6
	v_add_f32_e32 v10, v7, v9
	s_mov_b32 s0, 0x7f800000
	v_and_b32_e32 v9, 0x7f800000, v10
	v_cmp_ne_u32_e32 vcc, s0, v9
                                        ; implicit-def: $vgpr9
	s_and_saveexec_b64 s[0:1], vcc
	s_xor_b64 s[0:1], exec, s[0:1]
	s_cbranch_execnz .LBB302_37
; %bb.23:
	s_andn2_saveexec_b64 s[0:1], s[0:1]
	s_cbranch_execnz .LBB302_38
.LBB302_24:
	s_or_b64 exec, exec, s[0:1]
	v_cmp_lt_u32_e32 vcc, 3, v3
	s_and_saveexec_b64 s[0:1], vcc
.LBB302_25:
	v_lshrrev_b32_e32 v2, 16, v8
	v_and_b32_e32 v7, 0xffff0000, v9
	v_or_b32_e32 v6, v7, v2
	v_and_b32_e32 v4, 0xffff0000, v8
	v_mov_b32_e32 v5, v9
.LBB302_26:
	s_or_b64 exec, exec, s[0:1]
	v_mov_b32_dpp v6, v6 row_shr:8 row_mask:0xf bank_mask:0xf
	v_lshlrev_b32_e32 v8, 16, v6
	v_add_f32_e32 v8, v4, v8
	s_mov_b32 s0, 0x7f800000
	v_and_b32_e32 v4, 0x7f800000, v8
	v_cmp_ne_u32_e32 vcc, s0, v4
                                        ; implicit-def: $vgpr4
	s_and_saveexec_b64 s[0:1], vcc
	s_xor_b64 s[0:1], exec, s[0:1]
; %bb.27:
	v_bfe_u32 v4, v8, 16, 1
	s_movk_i32 s4, 0x7fff
	v_add3_u32 v4, v8, v4, s4
                                        ; implicit-def: $vgpr8
; %bb.28:
	s_andn2_saveexec_b64 s[0:1], s[0:1]
; %bb.29:
	v_mov_b32_e32 v4, 0
	v_or_b32_e32 v9, 0x10000, v8
	v_cmp_eq_u32_sdwa vcc, v8, v4 src0_sel:WORD_0 src1_sel:DWORD
	v_cndmask_b32_e32 v4, v9, v8, vcc
; %bb.30:
	s_or_b64 exec, exec, s[0:1]
	v_and_b32_e32 v6, 0xffff0000, v6
	v_add_f32_e32 v6, v7, v6
	s_mov_b32 s0, 0x7f800000
	v_and_b32_e32 v7, 0x7f800000, v6
	v_cmp_ne_u32_e32 vcc, s0, v7
                                        ; implicit-def: $vgpr7
	s_and_saveexec_b64 s[0:1], vcc
	s_xor_b64 s[0:1], exec, s[0:1]
; %bb.31:
	v_bfe_u32 v7, v6, 16, 1
	s_movk_i32 s4, 0x7fff
	v_add3_u32 v7, v6, v7, s4
                                        ; implicit-def: $vgpr6
; %bb.32:
	s_andn2_saveexec_b64 s[0:1], s[0:1]
; %bb.33:
	v_mov_b32_e32 v7, 0
	v_or_b32_e32 v8, 0x10000, v6
	v_cmp_eq_u32_sdwa vcc, v6, v7 src0_sel:WORD_0 src1_sel:DWORD
	v_cndmask_b32_e32 v7, v8, v6, vcc
; %bb.34:
	s_or_b64 exec, exec, s[0:1]
	v_cmp_lt_u32_e32 vcc, 7, v3
	v_cndmask_b32_e32 v3, v5, v7, vcc
	v_cndmask_b32_sdwa v2, v2, v4, vcc dst_sel:DWORD dst_unused:UNUSED_PAD src0_sel:DWORD src1_sel:WORD_1
	v_mov_b32_e32 v4, s3
	v_add_co_u32_e32 v0, vcc, s2, v0
	s_mov_b32 s0, 0xffff
	v_addc_co_u32_e32 v1, vcc, v4, v1, vcc
	v_bfi_b32 v2, s0, v2, v3
	global_store_dword v[0:1], v2, off
	s_endpgm
.LBB302_35:
	v_bfe_u32 v8, v9, 16, 1
	s_movk_i32 s4, 0x7fff
	v_add3_u32 v8, v9, v8, s4
                                        ; implicit-def: $vgpr9
	s_andn2_saveexec_b64 s[0:1], s[0:1]
	s_cbranch_execz .LBB302_16
.LBB302_36:
	v_mov_b32_e32 v8, 0
	v_or_b32_e32 v10, 0x10000, v9
	v_cmp_eq_u32_sdwa vcc, v9, v8 src0_sel:WORD_0 src1_sel:DWORD
	v_cndmask_b32_e32 v8, v10, v9, vcc
	s_or_b64 exec, exec, s[0:1]
	v_cmp_lt_u32_e32 vcc, 1, v3
	s_and_saveexec_b64 s[0:1], vcc
	s_cbranch_execnz .LBB302_17
	s_branch .LBB302_18
.LBB302_37:
	v_bfe_u32 v9, v10, 16, 1
	s_movk_i32 s4, 0x7fff
	v_add3_u32 v9, v10, v9, s4
                                        ; implicit-def: $vgpr10
	s_andn2_saveexec_b64 s[0:1], s[0:1]
	s_cbranch_execz .LBB302_24
.LBB302_38:
	v_mov_b32_e32 v9, 0
	v_or_b32_e32 v11, 0x10000, v10
	v_cmp_eq_u32_sdwa vcc, v10, v9 src0_sel:WORD_0 src1_sel:DWORD
	v_cndmask_b32_e32 v9, v11, v10, vcc
	s_or_b64 exec, exec, s[0:1]
	v_cmp_lt_u32_e32 vcc, 3, v3
	s_and_saveexec_b64 s[0:1], vcc
	s_cbranch_execnz .LBB302_25
	s_branch .LBB302_26
	.section	.rodata,"a",@progbits
	.p2align	6, 0x0
	.amdhsa_kernel _Z26warp_inclusive_scan_kernelIN10test_utils16custom_test_typeI12hip_bfloat16EELj64ELj16EENSt9enable_ifIXsr10test_utilsE35device_test_enabled_for_warp_size_vIXT1_EEEvE4typeEPT_S8_
		.amdhsa_group_segment_fixed_size 0
		.amdhsa_private_segment_fixed_size 0
		.amdhsa_kernarg_size 272
		.amdhsa_user_sgpr_count 6
		.amdhsa_user_sgpr_private_segment_buffer 1
		.amdhsa_user_sgpr_dispatch_ptr 0
		.amdhsa_user_sgpr_queue_ptr 0
		.amdhsa_user_sgpr_kernarg_segment_ptr 1
		.amdhsa_user_sgpr_dispatch_id 0
		.amdhsa_user_sgpr_flat_scratch_init 0
		.amdhsa_user_sgpr_private_segment_size 0
		.amdhsa_uses_dynamic_stack 0
		.amdhsa_system_sgpr_private_segment_wavefront_offset 0
		.amdhsa_system_sgpr_workgroup_id_x 1
		.amdhsa_system_sgpr_workgroup_id_y 0
		.amdhsa_system_sgpr_workgroup_id_z 0
		.amdhsa_system_sgpr_workgroup_info 0
		.amdhsa_system_vgpr_workitem_id 0
		.amdhsa_next_free_vgpr 12
		.amdhsa_next_free_sgpr 8
		.amdhsa_reserve_vcc 1
		.amdhsa_reserve_flat_scratch 0
		.amdhsa_float_round_mode_32 0
		.amdhsa_float_round_mode_16_64 0
		.amdhsa_float_denorm_mode_32 3
		.amdhsa_float_denorm_mode_16_64 3
		.amdhsa_dx10_clamp 1
		.amdhsa_ieee_mode 1
		.amdhsa_fp16_overflow 0
		.amdhsa_exception_fp_ieee_invalid_op 0
		.amdhsa_exception_fp_denorm_src 0
		.amdhsa_exception_fp_ieee_div_zero 0
		.amdhsa_exception_fp_ieee_overflow 0
		.amdhsa_exception_fp_ieee_underflow 0
		.amdhsa_exception_fp_ieee_inexact 0
		.amdhsa_exception_int_div_zero 0
	.end_amdhsa_kernel
	.section	.text._Z26warp_inclusive_scan_kernelIN10test_utils16custom_test_typeI12hip_bfloat16EELj64ELj16EENSt9enable_ifIXsr10test_utilsE35device_test_enabled_for_warp_size_vIXT1_EEEvE4typeEPT_S8_,"axG",@progbits,_Z26warp_inclusive_scan_kernelIN10test_utils16custom_test_typeI12hip_bfloat16EELj64ELj16EENSt9enable_ifIXsr10test_utilsE35device_test_enabled_for_warp_size_vIXT1_EEEvE4typeEPT_S8_,comdat
.Lfunc_end302:
	.size	_Z26warp_inclusive_scan_kernelIN10test_utils16custom_test_typeI12hip_bfloat16EELj64ELj16EENSt9enable_ifIXsr10test_utilsE35device_test_enabled_for_warp_size_vIXT1_EEEvE4typeEPT_S8_, .Lfunc_end302-_Z26warp_inclusive_scan_kernelIN10test_utils16custom_test_typeI12hip_bfloat16EELj64ELj16EENSt9enable_ifIXsr10test_utilsE35device_test_enabled_for_warp_size_vIXT1_EEEvE4typeEPT_S8_
                                        ; -- End function
	.set _Z26warp_inclusive_scan_kernelIN10test_utils16custom_test_typeI12hip_bfloat16EELj64ELj16EENSt9enable_ifIXsr10test_utilsE35device_test_enabled_for_warp_size_vIXT1_EEEvE4typeEPT_S8_.num_vgpr, 12
	.set _Z26warp_inclusive_scan_kernelIN10test_utils16custom_test_typeI12hip_bfloat16EELj64ELj16EENSt9enable_ifIXsr10test_utilsE35device_test_enabled_for_warp_size_vIXT1_EEEvE4typeEPT_S8_.num_agpr, 0
	.set _Z26warp_inclusive_scan_kernelIN10test_utils16custom_test_typeI12hip_bfloat16EELj64ELj16EENSt9enable_ifIXsr10test_utilsE35device_test_enabled_for_warp_size_vIXT1_EEEvE4typeEPT_S8_.numbered_sgpr, 8
	.set _Z26warp_inclusive_scan_kernelIN10test_utils16custom_test_typeI12hip_bfloat16EELj64ELj16EENSt9enable_ifIXsr10test_utilsE35device_test_enabled_for_warp_size_vIXT1_EEEvE4typeEPT_S8_.num_named_barrier, 0
	.set _Z26warp_inclusive_scan_kernelIN10test_utils16custom_test_typeI12hip_bfloat16EELj64ELj16EENSt9enable_ifIXsr10test_utilsE35device_test_enabled_for_warp_size_vIXT1_EEEvE4typeEPT_S8_.private_seg_size, 0
	.set _Z26warp_inclusive_scan_kernelIN10test_utils16custom_test_typeI12hip_bfloat16EELj64ELj16EENSt9enable_ifIXsr10test_utilsE35device_test_enabled_for_warp_size_vIXT1_EEEvE4typeEPT_S8_.uses_vcc, 1
	.set _Z26warp_inclusive_scan_kernelIN10test_utils16custom_test_typeI12hip_bfloat16EELj64ELj16EENSt9enable_ifIXsr10test_utilsE35device_test_enabled_for_warp_size_vIXT1_EEEvE4typeEPT_S8_.uses_flat_scratch, 0
	.set _Z26warp_inclusive_scan_kernelIN10test_utils16custom_test_typeI12hip_bfloat16EELj64ELj16EENSt9enable_ifIXsr10test_utilsE35device_test_enabled_for_warp_size_vIXT1_EEEvE4typeEPT_S8_.has_dyn_sized_stack, 0
	.set _Z26warp_inclusive_scan_kernelIN10test_utils16custom_test_typeI12hip_bfloat16EELj64ELj16EENSt9enable_ifIXsr10test_utilsE35device_test_enabled_for_warp_size_vIXT1_EEEvE4typeEPT_S8_.has_recursion, 0
	.set _Z26warp_inclusive_scan_kernelIN10test_utils16custom_test_typeI12hip_bfloat16EELj64ELj16EENSt9enable_ifIXsr10test_utilsE35device_test_enabled_for_warp_size_vIXT1_EEEvE4typeEPT_S8_.has_indirect_call, 0
	.section	.AMDGPU.csdata,"",@progbits
; Kernel info:
; codeLenInByte = 1136
; TotalNumSgprs: 12
; NumVgprs: 12
; ScratchSize: 0
; MemoryBound: 0
; FloatMode: 240
; IeeeMode: 1
; LDSByteSize: 0 bytes/workgroup (compile time only)
; SGPRBlocks: 1
; VGPRBlocks: 2
; NumSGPRsForWavesPerEU: 12
; NumVGPRsForWavesPerEU: 12
; Occupancy: 10
; WaveLimiterHint : 0
; COMPUTE_PGM_RSRC2:SCRATCH_EN: 0
; COMPUTE_PGM_RSRC2:USER_SGPR: 6
; COMPUTE_PGM_RSRC2:TRAP_HANDLER: 0
; COMPUTE_PGM_RSRC2:TGID_X_EN: 1
; COMPUTE_PGM_RSRC2:TGID_Y_EN: 0
; COMPUTE_PGM_RSRC2:TGID_Z_EN: 0
; COMPUTE_PGM_RSRC2:TIDIG_COMP_CNT: 0
	.section	.text._Z26warp_inclusive_scan_kernelIN10test_utils16custom_test_typeI12hip_bfloat16EELj32ELj8EENSt9enable_ifIXsr10test_utilsE35device_test_enabled_for_warp_size_vIXT1_EEEvE4typeEPT_S8_,"axG",@progbits,_Z26warp_inclusive_scan_kernelIN10test_utils16custom_test_typeI12hip_bfloat16EELj32ELj8EENSt9enable_ifIXsr10test_utilsE35device_test_enabled_for_warp_size_vIXT1_EEEvE4typeEPT_S8_,comdat
	.protected	_Z26warp_inclusive_scan_kernelIN10test_utils16custom_test_typeI12hip_bfloat16EELj32ELj8EENSt9enable_ifIXsr10test_utilsE35device_test_enabled_for_warp_size_vIXT1_EEEvE4typeEPT_S8_ ; -- Begin function _Z26warp_inclusive_scan_kernelIN10test_utils16custom_test_typeI12hip_bfloat16EELj32ELj8EENSt9enable_ifIXsr10test_utilsE35device_test_enabled_for_warp_size_vIXT1_EEEvE4typeEPT_S8_
	.globl	_Z26warp_inclusive_scan_kernelIN10test_utils16custom_test_typeI12hip_bfloat16EELj32ELj8EENSt9enable_ifIXsr10test_utilsE35device_test_enabled_for_warp_size_vIXT1_EEEvE4typeEPT_S8_
	.p2align	8
	.type	_Z26warp_inclusive_scan_kernelIN10test_utils16custom_test_typeI12hip_bfloat16EELj32ELj8EENSt9enable_ifIXsr10test_utilsE35device_test_enabled_for_warp_size_vIXT1_EEEvE4typeEPT_S8_,@function
_Z26warp_inclusive_scan_kernelIN10test_utils16custom_test_typeI12hip_bfloat16EELj32ELj8EENSt9enable_ifIXsr10test_utilsE35device_test_enabled_for_warp_size_vIXT1_EEEvE4typeEPT_S8_: ; @_Z26warp_inclusive_scan_kernelIN10test_utils16custom_test_typeI12hip_bfloat16EELj32ELj8EENSt9enable_ifIXsr10test_utilsE35device_test_enabled_for_warp_size_vIXT1_EEEvE4typeEPT_S8_
; %bb.0:
	s_load_dword s7, s[4:5], 0x1c
	s_load_dwordx4 s[0:3], s[4:5], 0x0
	v_mov_b32_e32 v1, 0
                                        ; implicit-def: $vgpr7
	s_waitcnt lgkmcnt(0)
	s_and_b32 s4, s7, 0xffff
	s_mul_i32 s6, s6, s4
	v_add_u32_e32 v0, s6, v0
	v_lshlrev_b64 v[0:1], 2, v[0:1]
	v_mov_b32_e32 v3, s1
	v_add_co_u32_e32 v2, vcc, s0, v0
	v_addc_co_u32_e32 v3, vcc, v3, v1, vcc
	global_load_dword v2, v[2:3], off
	s_mov_b32 s0, 0x7f800000
	s_waitcnt vmcnt(0)
	v_lshlrev_b32_e32 v4, 16, v2
	v_mov_b32_dpp v3, v2 row_shr:1 row_mask:0xf bank_mask:0xf
	v_lshlrev_b32_e32 v5, 16, v3
	v_add_f32_e32 v5, v4, v5
	v_and_b32_e32 v6, 0x7f800000, v5
	v_cmp_ne_u32_e32 vcc, s0, v6
	s_and_saveexec_b64 s[0:1], vcc
	s_xor_b64 s[0:1], exec, s[0:1]
; %bb.1:
	v_bfe_u32 v6, v5, 16, 1
	s_movk_i32 s4, 0x7fff
	v_add3_u32 v7, v5, v6, s4
                                        ; implicit-def: $vgpr5
; %bb.2:
	s_andn2_saveexec_b64 s[0:1], s[0:1]
; %bb.3:
	v_mov_b32_e32 v6, 0
	v_or_b32_e32 v7, 0x10000, v5
	v_cmp_eq_u32_sdwa vcc, v5, v6 src0_sel:WORD_0 src1_sel:DWORD
	v_cndmask_b32_e32 v7, v7, v5, vcc
; %bb.4:
	s_or_b64 exec, exec, s[0:1]
	v_and_b32_e32 v3, 0xffff0000, v3
	v_and_b32_e32 v5, 0xffff0000, v2
	v_add_f32_e32 v3, v5, v3
	s_mov_b32 s0, 0x7f800000
	v_and_b32_e32 v5, 0x7f800000, v3
	v_cmp_ne_u32_e32 vcc, s0, v5
                                        ; implicit-def: $vgpr8
	s_and_saveexec_b64 s[0:1], vcc
	s_xor_b64 s[0:1], exec, s[0:1]
; %bb.5:
	v_bfe_u32 v5, v3, 16, 1
	s_movk_i32 s4, 0x7fff
	v_add3_u32 v8, v3, v5, s4
                                        ; implicit-def: $vgpr3
; %bb.6:
	s_andn2_saveexec_b64 s[0:1], s[0:1]
; %bb.7:
	v_mov_b32_e32 v5, 0
	v_or_b32_e32 v6, 0x10000, v3
	v_cmp_eq_u32_sdwa vcc, v3, v5 src0_sel:WORD_0 src1_sel:DWORD
	v_cndmask_b32_e32 v8, v6, v3, vcc
; %bb.8:
	s_or_b64 exec, exec, s[0:1]
	v_mbcnt_lo_u32_b32 v3, -1, 0
	v_mbcnt_hi_u32_b32 v3, -1, v3
	v_and_b32_e32 v3, 7, v3
	v_cmp_ne_u32_e32 vcc, 0, v3
	v_mov_b32_e32 v5, v2
	v_mov_b32_e32 v6, v2
	s_and_saveexec_b64 s[0:1], vcc
; %bb.9:
	v_lshrrev_b32_e32 v2, 16, v7
	s_mov_b32 s4, 0xffff0000
	v_and_or_b32 v6, v8, s4, v2
	v_and_b32_e32 v4, 0xffff0000, v7
	v_mov_b32_e32 v5, v8
; %bb.10:
	s_or_b64 exec, exec, s[0:1]
	v_mov_b32_dpp v7, v6 row_shr:2 row_mask:0xf bank_mask:0xf
	v_lshlrev_b32_e32 v8, 16, v7
	v_add_f32_e32 v9, v4, v8
	s_mov_b32 s0, 0x7f800000
	v_and_b32_e32 v8, 0x7f800000, v9
	v_cmp_ne_u32_e32 vcc, s0, v8
                                        ; implicit-def: $vgpr8
	s_and_saveexec_b64 s[0:1], vcc
	s_xor_b64 s[0:1], exec, s[0:1]
; %bb.11:
	v_bfe_u32 v8, v9, 16, 1
	s_movk_i32 s4, 0x7fff
	v_add3_u32 v8, v9, v8, s4
                                        ; implicit-def: $vgpr9
; %bb.12:
	s_andn2_saveexec_b64 s[0:1], s[0:1]
; %bb.13:
	v_mov_b32_e32 v8, 0
	v_or_b32_e32 v10, 0x10000, v9
	v_cmp_eq_u32_sdwa vcc, v9, v8 src0_sel:WORD_0 src1_sel:DWORD
	v_cndmask_b32_e32 v8, v10, v9, vcc
; %bb.14:
	s_or_b64 exec, exec, s[0:1]
	v_and_b32_e32 v9, 0xffff0000, v7
	v_and_b32_e32 v7, 0xffff0000, v6
	v_add_f32_e32 v10, v7, v9
	s_mov_b32 s0, 0x7f800000
	v_and_b32_e32 v9, 0x7f800000, v10
	v_cmp_ne_u32_e32 vcc, s0, v9
                                        ; implicit-def: $vgpr9
	s_and_saveexec_b64 s[0:1], vcc
	s_xor_b64 s[0:1], exec, s[0:1]
	s_cbranch_execnz .LBB303_27
; %bb.15:
	s_andn2_saveexec_b64 s[0:1], s[0:1]
	s_cbranch_execnz .LBB303_28
.LBB303_16:
	s_or_b64 exec, exec, s[0:1]
	v_cmp_lt_u32_e32 vcc, 1, v3
	s_and_saveexec_b64 s[0:1], vcc
.LBB303_17:
	v_lshrrev_b32_e32 v2, 16, v8
	v_and_b32_e32 v7, 0xffff0000, v9
	v_or_b32_e32 v6, v7, v2
	v_and_b32_e32 v4, 0xffff0000, v8
	v_mov_b32_e32 v5, v9
.LBB303_18:
	s_or_b64 exec, exec, s[0:1]
	v_mov_b32_dpp v6, v6 row_shr:4 row_mask:0xf bank_mask:0xf
	v_lshlrev_b32_e32 v8, 16, v6
	v_add_f32_e32 v8, v4, v8
	s_mov_b32 s0, 0x7f800000
	v_and_b32_e32 v4, 0x7f800000, v8
	v_cmp_ne_u32_e32 vcc, s0, v4
                                        ; implicit-def: $vgpr4
	s_and_saveexec_b64 s[0:1], vcc
	s_xor_b64 s[0:1], exec, s[0:1]
; %bb.19:
	v_bfe_u32 v4, v8, 16, 1
	s_movk_i32 s4, 0x7fff
	v_add3_u32 v4, v8, v4, s4
                                        ; implicit-def: $vgpr8
; %bb.20:
	s_andn2_saveexec_b64 s[0:1], s[0:1]
; %bb.21:
	v_mov_b32_e32 v4, 0
	v_or_b32_e32 v9, 0x10000, v8
	v_cmp_eq_u32_sdwa vcc, v8, v4 src0_sel:WORD_0 src1_sel:DWORD
	v_cndmask_b32_e32 v4, v9, v8, vcc
; %bb.22:
	s_or_b64 exec, exec, s[0:1]
	v_and_b32_e32 v6, 0xffff0000, v6
	v_add_f32_e32 v6, v7, v6
	s_mov_b32 s0, 0x7f800000
	v_and_b32_e32 v7, 0x7f800000, v6
	v_cmp_ne_u32_e32 vcc, s0, v7
                                        ; implicit-def: $vgpr7
	s_and_saveexec_b64 s[0:1], vcc
	s_xor_b64 s[0:1], exec, s[0:1]
; %bb.23:
	v_bfe_u32 v7, v6, 16, 1
	s_movk_i32 s4, 0x7fff
	v_add3_u32 v7, v6, v7, s4
                                        ; implicit-def: $vgpr6
; %bb.24:
	s_andn2_saveexec_b64 s[0:1], s[0:1]
; %bb.25:
	v_mov_b32_e32 v7, 0
	v_or_b32_e32 v8, 0x10000, v6
	v_cmp_eq_u32_sdwa vcc, v6, v7 src0_sel:WORD_0 src1_sel:DWORD
	v_cndmask_b32_e32 v7, v8, v6, vcc
; %bb.26:
	s_or_b64 exec, exec, s[0:1]
	v_cmp_lt_u32_e32 vcc, 3, v3
	v_cndmask_b32_e32 v3, v5, v7, vcc
	v_cndmask_b32_sdwa v2, v2, v4, vcc dst_sel:DWORD dst_unused:UNUSED_PAD src0_sel:DWORD src1_sel:WORD_1
	v_mov_b32_e32 v4, s3
	v_add_co_u32_e32 v0, vcc, s2, v0
	s_mov_b32 s0, 0xffff
	v_addc_co_u32_e32 v1, vcc, v4, v1, vcc
	v_bfi_b32 v2, s0, v2, v3
	global_store_dword v[0:1], v2, off
	s_endpgm
.LBB303_27:
	v_bfe_u32 v9, v10, 16, 1
	s_movk_i32 s4, 0x7fff
	v_add3_u32 v9, v10, v9, s4
                                        ; implicit-def: $vgpr10
	s_andn2_saveexec_b64 s[0:1], s[0:1]
	s_cbranch_execz .LBB303_16
.LBB303_28:
	v_mov_b32_e32 v9, 0
	v_or_b32_e32 v11, 0x10000, v10
	v_cmp_eq_u32_sdwa vcc, v10, v9 src0_sel:WORD_0 src1_sel:DWORD
	v_cndmask_b32_e32 v9, v11, v10, vcc
	s_or_b64 exec, exec, s[0:1]
	v_cmp_lt_u32_e32 vcc, 1, v3
	s_and_saveexec_b64 s[0:1], vcc
	s_cbranch_execnz .LBB303_17
	s_branch .LBB303_18
	.section	.rodata,"a",@progbits
	.p2align	6, 0x0
	.amdhsa_kernel _Z26warp_inclusive_scan_kernelIN10test_utils16custom_test_typeI12hip_bfloat16EELj32ELj8EENSt9enable_ifIXsr10test_utilsE35device_test_enabled_for_warp_size_vIXT1_EEEvE4typeEPT_S8_
		.amdhsa_group_segment_fixed_size 0
		.amdhsa_private_segment_fixed_size 0
		.amdhsa_kernarg_size 272
		.amdhsa_user_sgpr_count 6
		.amdhsa_user_sgpr_private_segment_buffer 1
		.amdhsa_user_sgpr_dispatch_ptr 0
		.amdhsa_user_sgpr_queue_ptr 0
		.amdhsa_user_sgpr_kernarg_segment_ptr 1
		.amdhsa_user_sgpr_dispatch_id 0
		.amdhsa_user_sgpr_flat_scratch_init 0
		.amdhsa_user_sgpr_private_segment_size 0
		.amdhsa_uses_dynamic_stack 0
		.amdhsa_system_sgpr_private_segment_wavefront_offset 0
		.amdhsa_system_sgpr_workgroup_id_x 1
		.amdhsa_system_sgpr_workgroup_id_y 0
		.amdhsa_system_sgpr_workgroup_id_z 0
		.amdhsa_system_sgpr_workgroup_info 0
		.amdhsa_system_vgpr_workitem_id 0
		.amdhsa_next_free_vgpr 12
		.amdhsa_next_free_sgpr 8
		.amdhsa_reserve_vcc 1
		.amdhsa_reserve_flat_scratch 0
		.amdhsa_float_round_mode_32 0
		.amdhsa_float_round_mode_16_64 0
		.amdhsa_float_denorm_mode_32 3
		.amdhsa_float_denorm_mode_16_64 3
		.amdhsa_dx10_clamp 1
		.amdhsa_ieee_mode 1
		.amdhsa_fp16_overflow 0
		.amdhsa_exception_fp_ieee_invalid_op 0
		.amdhsa_exception_fp_denorm_src 0
		.amdhsa_exception_fp_ieee_div_zero 0
		.amdhsa_exception_fp_ieee_overflow 0
		.amdhsa_exception_fp_ieee_underflow 0
		.amdhsa_exception_fp_ieee_inexact 0
		.amdhsa_exception_int_div_zero 0
	.end_amdhsa_kernel
	.section	.text._Z26warp_inclusive_scan_kernelIN10test_utils16custom_test_typeI12hip_bfloat16EELj32ELj8EENSt9enable_ifIXsr10test_utilsE35device_test_enabled_for_warp_size_vIXT1_EEEvE4typeEPT_S8_,"axG",@progbits,_Z26warp_inclusive_scan_kernelIN10test_utils16custom_test_typeI12hip_bfloat16EELj32ELj8EENSt9enable_ifIXsr10test_utilsE35device_test_enabled_for_warp_size_vIXT1_EEEvE4typeEPT_S8_,comdat
.Lfunc_end303:
	.size	_Z26warp_inclusive_scan_kernelIN10test_utils16custom_test_typeI12hip_bfloat16EELj32ELj8EENSt9enable_ifIXsr10test_utilsE35device_test_enabled_for_warp_size_vIXT1_EEEvE4typeEPT_S8_, .Lfunc_end303-_Z26warp_inclusive_scan_kernelIN10test_utils16custom_test_typeI12hip_bfloat16EELj32ELj8EENSt9enable_ifIXsr10test_utilsE35device_test_enabled_for_warp_size_vIXT1_EEEvE4typeEPT_S8_
                                        ; -- End function
	.set _Z26warp_inclusive_scan_kernelIN10test_utils16custom_test_typeI12hip_bfloat16EELj32ELj8EENSt9enable_ifIXsr10test_utilsE35device_test_enabled_for_warp_size_vIXT1_EEEvE4typeEPT_S8_.num_vgpr, 12
	.set _Z26warp_inclusive_scan_kernelIN10test_utils16custom_test_typeI12hip_bfloat16EELj32ELj8EENSt9enable_ifIXsr10test_utilsE35device_test_enabled_for_warp_size_vIXT1_EEEvE4typeEPT_S8_.num_agpr, 0
	.set _Z26warp_inclusive_scan_kernelIN10test_utils16custom_test_typeI12hip_bfloat16EELj32ELj8EENSt9enable_ifIXsr10test_utilsE35device_test_enabled_for_warp_size_vIXT1_EEEvE4typeEPT_S8_.numbered_sgpr, 8
	.set _Z26warp_inclusive_scan_kernelIN10test_utils16custom_test_typeI12hip_bfloat16EELj32ELj8EENSt9enable_ifIXsr10test_utilsE35device_test_enabled_for_warp_size_vIXT1_EEEvE4typeEPT_S8_.num_named_barrier, 0
	.set _Z26warp_inclusive_scan_kernelIN10test_utils16custom_test_typeI12hip_bfloat16EELj32ELj8EENSt9enable_ifIXsr10test_utilsE35device_test_enabled_for_warp_size_vIXT1_EEEvE4typeEPT_S8_.private_seg_size, 0
	.set _Z26warp_inclusive_scan_kernelIN10test_utils16custom_test_typeI12hip_bfloat16EELj32ELj8EENSt9enable_ifIXsr10test_utilsE35device_test_enabled_for_warp_size_vIXT1_EEEvE4typeEPT_S8_.uses_vcc, 1
	.set _Z26warp_inclusive_scan_kernelIN10test_utils16custom_test_typeI12hip_bfloat16EELj32ELj8EENSt9enable_ifIXsr10test_utilsE35device_test_enabled_for_warp_size_vIXT1_EEEvE4typeEPT_S8_.uses_flat_scratch, 0
	.set _Z26warp_inclusive_scan_kernelIN10test_utils16custom_test_typeI12hip_bfloat16EELj32ELj8EENSt9enable_ifIXsr10test_utilsE35device_test_enabled_for_warp_size_vIXT1_EEEvE4typeEPT_S8_.has_dyn_sized_stack, 0
	.set _Z26warp_inclusive_scan_kernelIN10test_utils16custom_test_typeI12hip_bfloat16EELj32ELj8EENSt9enable_ifIXsr10test_utilsE35device_test_enabled_for_warp_size_vIXT1_EEEvE4typeEPT_S8_.has_recursion, 0
	.set _Z26warp_inclusive_scan_kernelIN10test_utils16custom_test_typeI12hip_bfloat16EELj32ELj8EENSt9enable_ifIXsr10test_utilsE35device_test_enabled_for_warp_size_vIXT1_EEEvE4typeEPT_S8_.has_indirect_call, 0
	.section	.AMDGPU.csdata,"",@progbits
; Kernel info:
; codeLenInByte = 860
; TotalNumSgprs: 12
; NumVgprs: 12
; ScratchSize: 0
; MemoryBound: 0
; FloatMode: 240
; IeeeMode: 1
; LDSByteSize: 0 bytes/workgroup (compile time only)
; SGPRBlocks: 1
; VGPRBlocks: 2
; NumSGPRsForWavesPerEU: 12
; NumVGPRsForWavesPerEU: 12
; Occupancy: 10
; WaveLimiterHint : 0
; COMPUTE_PGM_RSRC2:SCRATCH_EN: 0
; COMPUTE_PGM_RSRC2:USER_SGPR: 6
; COMPUTE_PGM_RSRC2:TRAP_HANDLER: 0
; COMPUTE_PGM_RSRC2:TGID_X_EN: 1
; COMPUTE_PGM_RSRC2:TGID_Y_EN: 0
; COMPUTE_PGM_RSRC2:TGID_Z_EN: 0
; COMPUTE_PGM_RSRC2:TIDIG_COMP_CNT: 0
	.section	.text._Z26warp_inclusive_scan_kernelIN10test_utils16custom_test_typeI12hip_bfloat16EELj64ELj8EENSt9enable_ifIXsr10test_utilsE35device_test_enabled_for_warp_size_vIXT1_EEEvE4typeEPT_S8_,"axG",@progbits,_Z26warp_inclusive_scan_kernelIN10test_utils16custom_test_typeI12hip_bfloat16EELj64ELj8EENSt9enable_ifIXsr10test_utilsE35device_test_enabled_for_warp_size_vIXT1_EEEvE4typeEPT_S8_,comdat
	.protected	_Z26warp_inclusive_scan_kernelIN10test_utils16custom_test_typeI12hip_bfloat16EELj64ELj8EENSt9enable_ifIXsr10test_utilsE35device_test_enabled_for_warp_size_vIXT1_EEEvE4typeEPT_S8_ ; -- Begin function _Z26warp_inclusive_scan_kernelIN10test_utils16custom_test_typeI12hip_bfloat16EELj64ELj8EENSt9enable_ifIXsr10test_utilsE35device_test_enabled_for_warp_size_vIXT1_EEEvE4typeEPT_S8_
	.globl	_Z26warp_inclusive_scan_kernelIN10test_utils16custom_test_typeI12hip_bfloat16EELj64ELj8EENSt9enable_ifIXsr10test_utilsE35device_test_enabled_for_warp_size_vIXT1_EEEvE4typeEPT_S8_
	.p2align	8
	.type	_Z26warp_inclusive_scan_kernelIN10test_utils16custom_test_typeI12hip_bfloat16EELj64ELj8EENSt9enable_ifIXsr10test_utilsE35device_test_enabled_for_warp_size_vIXT1_EEEvE4typeEPT_S8_,@function
_Z26warp_inclusive_scan_kernelIN10test_utils16custom_test_typeI12hip_bfloat16EELj64ELj8EENSt9enable_ifIXsr10test_utilsE35device_test_enabled_for_warp_size_vIXT1_EEEvE4typeEPT_S8_: ; @_Z26warp_inclusive_scan_kernelIN10test_utils16custom_test_typeI12hip_bfloat16EELj64ELj8EENSt9enable_ifIXsr10test_utilsE35device_test_enabled_for_warp_size_vIXT1_EEEvE4typeEPT_S8_
; %bb.0:
	s_load_dword s7, s[4:5], 0x1c
	s_load_dwordx4 s[0:3], s[4:5], 0x0
	v_mov_b32_e32 v1, 0
                                        ; implicit-def: $vgpr7
	s_waitcnt lgkmcnt(0)
	s_and_b32 s4, s7, 0xffff
	s_mul_i32 s6, s6, s4
	v_add_u32_e32 v0, s6, v0
	v_lshlrev_b64 v[0:1], 2, v[0:1]
	v_mov_b32_e32 v3, s1
	v_add_co_u32_e32 v2, vcc, s0, v0
	v_addc_co_u32_e32 v3, vcc, v3, v1, vcc
	global_load_dword v2, v[2:3], off
	s_mov_b32 s0, 0x7f800000
	s_waitcnt vmcnt(0)
	v_lshlrev_b32_e32 v4, 16, v2
	v_mov_b32_dpp v3, v2 row_shr:1 row_mask:0xf bank_mask:0xf
	v_lshlrev_b32_e32 v5, 16, v3
	v_add_f32_e32 v5, v4, v5
	v_and_b32_e32 v6, 0x7f800000, v5
	v_cmp_ne_u32_e32 vcc, s0, v6
	s_and_saveexec_b64 s[0:1], vcc
	s_xor_b64 s[0:1], exec, s[0:1]
; %bb.1:
	v_bfe_u32 v6, v5, 16, 1
	s_movk_i32 s4, 0x7fff
	v_add3_u32 v7, v5, v6, s4
                                        ; implicit-def: $vgpr5
; %bb.2:
	s_andn2_saveexec_b64 s[0:1], s[0:1]
; %bb.3:
	v_mov_b32_e32 v6, 0
	v_or_b32_e32 v7, 0x10000, v5
	v_cmp_eq_u32_sdwa vcc, v5, v6 src0_sel:WORD_0 src1_sel:DWORD
	v_cndmask_b32_e32 v7, v7, v5, vcc
; %bb.4:
	s_or_b64 exec, exec, s[0:1]
	v_and_b32_e32 v3, 0xffff0000, v3
	v_and_b32_e32 v5, 0xffff0000, v2
	v_add_f32_e32 v3, v5, v3
	s_mov_b32 s0, 0x7f800000
	v_and_b32_e32 v5, 0x7f800000, v3
	v_cmp_ne_u32_e32 vcc, s0, v5
                                        ; implicit-def: $vgpr8
	s_and_saveexec_b64 s[0:1], vcc
	s_xor_b64 s[0:1], exec, s[0:1]
; %bb.5:
	v_bfe_u32 v5, v3, 16, 1
	s_movk_i32 s4, 0x7fff
	v_add3_u32 v8, v3, v5, s4
                                        ; implicit-def: $vgpr3
; %bb.6:
	s_andn2_saveexec_b64 s[0:1], s[0:1]
; %bb.7:
	v_mov_b32_e32 v5, 0
	v_or_b32_e32 v6, 0x10000, v3
	v_cmp_eq_u32_sdwa vcc, v3, v5 src0_sel:WORD_0 src1_sel:DWORD
	v_cndmask_b32_e32 v8, v6, v3, vcc
; %bb.8:
	s_or_b64 exec, exec, s[0:1]
	v_mbcnt_lo_u32_b32 v3, -1, 0
	v_mbcnt_hi_u32_b32 v3, -1, v3
	v_and_b32_e32 v3, 7, v3
	v_cmp_ne_u32_e32 vcc, 0, v3
	v_mov_b32_e32 v5, v2
	v_mov_b32_e32 v6, v2
	s_and_saveexec_b64 s[0:1], vcc
; %bb.9:
	v_lshrrev_b32_e32 v2, 16, v7
	s_mov_b32 s4, 0xffff0000
	v_and_or_b32 v6, v8, s4, v2
	v_and_b32_e32 v4, 0xffff0000, v7
	v_mov_b32_e32 v5, v8
; %bb.10:
	s_or_b64 exec, exec, s[0:1]
	v_mov_b32_dpp v7, v6 row_shr:2 row_mask:0xf bank_mask:0xf
	v_lshlrev_b32_e32 v8, 16, v7
	v_add_f32_e32 v9, v4, v8
	s_mov_b32 s0, 0x7f800000
	v_and_b32_e32 v8, 0x7f800000, v9
	v_cmp_ne_u32_e32 vcc, s0, v8
                                        ; implicit-def: $vgpr8
	s_and_saveexec_b64 s[0:1], vcc
	s_xor_b64 s[0:1], exec, s[0:1]
; %bb.11:
	v_bfe_u32 v8, v9, 16, 1
	s_movk_i32 s4, 0x7fff
	v_add3_u32 v8, v9, v8, s4
                                        ; implicit-def: $vgpr9
; %bb.12:
	s_andn2_saveexec_b64 s[0:1], s[0:1]
; %bb.13:
	v_mov_b32_e32 v8, 0
	v_or_b32_e32 v10, 0x10000, v9
	v_cmp_eq_u32_sdwa vcc, v9, v8 src0_sel:WORD_0 src1_sel:DWORD
	v_cndmask_b32_e32 v8, v10, v9, vcc
; %bb.14:
	s_or_b64 exec, exec, s[0:1]
	v_and_b32_e32 v9, 0xffff0000, v7
	v_and_b32_e32 v7, 0xffff0000, v6
	v_add_f32_e32 v10, v7, v9
	s_mov_b32 s0, 0x7f800000
	v_and_b32_e32 v9, 0x7f800000, v10
	v_cmp_ne_u32_e32 vcc, s0, v9
                                        ; implicit-def: $vgpr9
	s_and_saveexec_b64 s[0:1], vcc
	s_xor_b64 s[0:1], exec, s[0:1]
	s_cbranch_execnz .LBB304_27
; %bb.15:
	s_andn2_saveexec_b64 s[0:1], s[0:1]
	s_cbranch_execnz .LBB304_28
.LBB304_16:
	s_or_b64 exec, exec, s[0:1]
	v_cmp_lt_u32_e32 vcc, 1, v3
	s_and_saveexec_b64 s[0:1], vcc
.LBB304_17:
	v_lshrrev_b32_e32 v2, 16, v8
	v_and_b32_e32 v7, 0xffff0000, v9
	v_or_b32_e32 v6, v7, v2
	v_and_b32_e32 v4, 0xffff0000, v8
	v_mov_b32_e32 v5, v9
.LBB304_18:
	s_or_b64 exec, exec, s[0:1]
	v_mov_b32_dpp v6, v6 row_shr:4 row_mask:0xf bank_mask:0xf
	v_lshlrev_b32_e32 v8, 16, v6
	v_add_f32_e32 v8, v4, v8
	s_mov_b32 s0, 0x7f800000
	v_and_b32_e32 v4, 0x7f800000, v8
	v_cmp_ne_u32_e32 vcc, s0, v4
                                        ; implicit-def: $vgpr4
	s_and_saveexec_b64 s[0:1], vcc
	s_xor_b64 s[0:1], exec, s[0:1]
; %bb.19:
	v_bfe_u32 v4, v8, 16, 1
	s_movk_i32 s4, 0x7fff
	v_add3_u32 v4, v8, v4, s4
                                        ; implicit-def: $vgpr8
; %bb.20:
	s_andn2_saveexec_b64 s[0:1], s[0:1]
; %bb.21:
	v_mov_b32_e32 v4, 0
	v_or_b32_e32 v9, 0x10000, v8
	v_cmp_eq_u32_sdwa vcc, v8, v4 src0_sel:WORD_0 src1_sel:DWORD
	v_cndmask_b32_e32 v4, v9, v8, vcc
; %bb.22:
	s_or_b64 exec, exec, s[0:1]
	v_and_b32_e32 v6, 0xffff0000, v6
	v_add_f32_e32 v6, v7, v6
	s_mov_b32 s0, 0x7f800000
	v_and_b32_e32 v7, 0x7f800000, v6
	v_cmp_ne_u32_e32 vcc, s0, v7
                                        ; implicit-def: $vgpr7
	s_and_saveexec_b64 s[0:1], vcc
	s_xor_b64 s[0:1], exec, s[0:1]
; %bb.23:
	v_bfe_u32 v7, v6, 16, 1
	s_movk_i32 s4, 0x7fff
	v_add3_u32 v7, v6, v7, s4
                                        ; implicit-def: $vgpr6
; %bb.24:
	s_andn2_saveexec_b64 s[0:1], s[0:1]
; %bb.25:
	v_mov_b32_e32 v7, 0
	v_or_b32_e32 v8, 0x10000, v6
	v_cmp_eq_u32_sdwa vcc, v6, v7 src0_sel:WORD_0 src1_sel:DWORD
	v_cndmask_b32_e32 v7, v8, v6, vcc
; %bb.26:
	s_or_b64 exec, exec, s[0:1]
	v_cmp_lt_u32_e32 vcc, 3, v3
	v_cndmask_b32_e32 v3, v5, v7, vcc
	v_cndmask_b32_sdwa v2, v2, v4, vcc dst_sel:DWORD dst_unused:UNUSED_PAD src0_sel:DWORD src1_sel:WORD_1
	v_mov_b32_e32 v4, s3
	v_add_co_u32_e32 v0, vcc, s2, v0
	s_mov_b32 s0, 0xffff
	v_addc_co_u32_e32 v1, vcc, v4, v1, vcc
	v_bfi_b32 v2, s0, v2, v3
	global_store_dword v[0:1], v2, off
	s_endpgm
.LBB304_27:
	v_bfe_u32 v9, v10, 16, 1
	s_movk_i32 s4, 0x7fff
	v_add3_u32 v9, v10, v9, s4
                                        ; implicit-def: $vgpr10
	s_andn2_saveexec_b64 s[0:1], s[0:1]
	s_cbranch_execz .LBB304_16
.LBB304_28:
	v_mov_b32_e32 v9, 0
	v_or_b32_e32 v11, 0x10000, v10
	v_cmp_eq_u32_sdwa vcc, v10, v9 src0_sel:WORD_0 src1_sel:DWORD
	v_cndmask_b32_e32 v9, v11, v10, vcc
	s_or_b64 exec, exec, s[0:1]
	v_cmp_lt_u32_e32 vcc, 1, v3
	s_and_saveexec_b64 s[0:1], vcc
	s_cbranch_execnz .LBB304_17
	s_branch .LBB304_18
	.section	.rodata,"a",@progbits
	.p2align	6, 0x0
	.amdhsa_kernel _Z26warp_inclusive_scan_kernelIN10test_utils16custom_test_typeI12hip_bfloat16EELj64ELj8EENSt9enable_ifIXsr10test_utilsE35device_test_enabled_for_warp_size_vIXT1_EEEvE4typeEPT_S8_
		.amdhsa_group_segment_fixed_size 0
		.amdhsa_private_segment_fixed_size 0
		.amdhsa_kernarg_size 272
		.amdhsa_user_sgpr_count 6
		.amdhsa_user_sgpr_private_segment_buffer 1
		.amdhsa_user_sgpr_dispatch_ptr 0
		.amdhsa_user_sgpr_queue_ptr 0
		.amdhsa_user_sgpr_kernarg_segment_ptr 1
		.amdhsa_user_sgpr_dispatch_id 0
		.amdhsa_user_sgpr_flat_scratch_init 0
		.amdhsa_user_sgpr_private_segment_size 0
		.amdhsa_uses_dynamic_stack 0
		.amdhsa_system_sgpr_private_segment_wavefront_offset 0
		.amdhsa_system_sgpr_workgroup_id_x 1
		.amdhsa_system_sgpr_workgroup_id_y 0
		.amdhsa_system_sgpr_workgroup_id_z 0
		.amdhsa_system_sgpr_workgroup_info 0
		.amdhsa_system_vgpr_workitem_id 0
		.amdhsa_next_free_vgpr 12
		.amdhsa_next_free_sgpr 8
		.amdhsa_reserve_vcc 1
		.amdhsa_reserve_flat_scratch 0
		.amdhsa_float_round_mode_32 0
		.amdhsa_float_round_mode_16_64 0
		.amdhsa_float_denorm_mode_32 3
		.amdhsa_float_denorm_mode_16_64 3
		.amdhsa_dx10_clamp 1
		.amdhsa_ieee_mode 1
		.amdhsa_fp16_overflow 0
		.amdhsa_exception_fp_ieee_invalid_op 0
		.amdhsa_exception_fp_denorm_src 0
		.amdhsa_exception_fp_ieee_div_zero 0
		.amdhsa_exception_fp_ieee_overflow 0
		.amdhsa_exception_fp_ieee_underflow 0
		.amdhsa_exception_fp_ieee_inexact 0
		.amdhsa_exception_int_div_zero 0
	.end_amdhsa_kernel
	.section	.text._Z26warp_inclusive_scan_kernelIN10test_utils16custom_test_typeI12hip_bfloat16EELj64ELj8EENSt9enable_ifIXsr10test_utilsE35device_test_enabled_for_warp_size_vIXT1_EEEvE4typeEPT_S8_,"axG",@progbits,_Z26warp_inclusive_scan_kernelIN10test_utils16custom_test_typeI12hip_bfloat16EELj64ELj8EENSt9enable_ifIXsr10test_utilsE35device_test_enabled_for_warp_size_vIXT1_EEEvE4typeEPT_S8_,comdat
.Lfunc_end304:
	.size	_Z26warp_inclusive_scan_kernelIN10test_utils16custom_test_typeI12hip_bfloat16EELj64ELj8EENSt9enable_ifIXsr10test_utilsE35device_test_enabled_for_warp_size_vIXT1_EEEvE4typeEPT_S8_, .Lfunc_end304-_Z26warp_inclusive_scan_kernelIN10test_utils16custom_test_typeI12hip_bfloat16EELj64ELj8EENSt9enable_ifIXsr10test_utilsE35device_test_enabled_for_warp_size_vIXT1_EEEvE4typeEPT_S8_
                                        ; -- End function
	.set _Z26warp_inclusive_scan_kernelIN10test_utils16custom_test_typeI12hip_bfloat16EELj64ELj8EENSt9enable_ifIXsr10test_utilsE35device_test_enabled_for_warp_size_vIXT1_EEEvE4typeEPT_S8_.num_vgpr, 12
	.set _Z26warp_inclusive_scan_kernelIN10test_utils16custom_test_typeI12hip_bfloat16EELj64ELj8EENSt9enable_ifIXsr10test_utilsE35device_test_enabled_for_warp_size_vIXT1_EEEvE4typeEPT_S8_.num_agpr, 0
	.set _Z26warp_inclusive_scan_kernelIN10test_utils16custom_test_typeI12hip_bfloat16EELj64ELj8EENSt9enable_ifIXsr10test_utilsE35device_test_enabled_for_warp_size_vIXT1_EEEvE4typeEPT_S8_.numbered_sgpr, 8
	.set _Z26warp_inclusive_scan_kernelIN10test_utils16custom_test_typeI12hip_bfloat16EELj64ELj8EENSt9enable_ifIXsr10test_utilsE35device_test_enabled_for_warp_size_vIXT1_EEEvE4typeEPT_S8_.num_named_barrier, 0
	.set _Z26warp_inclusive_scan_kernelIN10test_utils16custom_test_typeI12hip_bfloat16EELj64ELj8EENSt9enable_ifIXsr10test_utilsE35device_test_enabled_for_warp_size_vIXT1_EEEvE4typeEPT_S8_.private_seg_size, 0
	.set _Z26warp_inclusive_scan_kernelIN10test_utils16custom_test_typeI12hip_bfloat16EELj64ELj8EENSt9enable_ifIXsr10test_utilsE35device_test_enabled_for_warp_size_vIXT1_EEEvE4typeEPT_S8_.uses_vcc, 1
	.set _Z26warp_inclusive_scan_kernelIN10test_utils16custom_test_typeI12hip_bfloat16EELj64ELj8EENSt9enable_ifIXsr10test_utilsE35device_test_enabled_for_warp_size_vIXT1_EEEvE4typeEPT_S8_.uses_flat_scratch, 0
	.set _Z26warp_inclusive_scan_kernelIN10test_utils16custom_test_typeI12hip_bfloat16EELj64ELj8EENSt9enable_ifIXsr10test_utilsE35device_test_enabled_for_warp_size_vIXT1_EEEvE4typeEPT_S8_.has_dyn_sized_stack, 0
	.set _Z26warp_inclusive_scan_kernelIN10test_utils16custom_test_typeI12hip_bfloat16EELj64ELj8EENSt9enable_ifIXsr10test_utilsE35device_test_enabled_for_warp_size_vIXT1_EEEvE4typeEPT_S8_.has_recursion, 0
	.set _Z26warp_inclusive_scan_kernelIN10test_utils16custom_test_typeI12hip_bfloat16EELj64ELj8EENSt9enable_ifIXsr10test_utilsE35device_test_enabled_for_warp_size_vIXT1_EEEvE4typeEPT_S8_.has_indirect_call, 0
	.section	.AMDGPU.csdata,"",@progbits
; Kernel info:
; codeLenInByte = 860
; TotalNumSgprs: 12
; NumVgprs: 12
; ScratchSize: 0
; MemoryBound: 0
; FloatMode: 240
; IeeeMode: 1
; LDSByteSize: 0 bytes/workgroup (compile time only)
; SGPRBlocks: 1
; VGPRBlocks: 2
; NumSGPRsForWavesPerEU: 12
; NumVGPRsForWavesPerEU: 12
; Occupancy: 10
; WaveLimiterHint : 0
; COMPUTE_PGM_RSRC2:SCRATCH_EN: 0
; COMPUTE_PGM_RSRC2:USER_SGPR: 6
; COMPUTE_PGM_RSRC2:TRAP_HANDLER: 0
; COMPUTE_PGM_RSRC2:TGID_X_EN: 1
; COMPUTE_PGM_RSRC2:TGID_Y_EN: 0
; COMPUTE_PGM_RSRC2:TGID_Z_EN: 0
; COMPUTE_PGM_RSRC2:TIDIG_COMP_CNT: 0
	.section	.text._Z26warp_inclusive_scan_kernelIN10test_utils16custom_test_typeI12hip_bfloat16EELj32ELj4EENSt9enable_ifIXsr10test_utilsE35device_test_enabled_for_warp_size_vIXT1_EEEvE4typeEPT_S8_,"axG",@progbits,_Z26warp_inclusive_scan_kernelIN10test_utils16custom_test_typeI12hip_bfloat16EELj32ELj4EENSt9enable_ifIXsr10test_utilsE35device_test_enabled_for_warp_size_vIXT1_EEEvE4typeEPT_S8_,comdat
	.protected	_Z26warp_inclusive_scan_kernelIN10test_utils16custom_test_typeI12hip_bfloat16EELj32ELj4EENSt9enable_ifIXsr10test_utilsE35device_test_enabled_for_warp_size_vIXT1_EEEvE4typeEPT_S8_ ; -- Begin function _Z26warp_inclusive_scan_kernelIN10test_utils16custom_test_typeI12hip_bfloat16EELj32ELj4EENSt9enable_ifIXsr10test_utilsE35device_test_enabled_for_warp_size_vIXT1_EEEvE4typeEPT_S8_
	.globl	_Z26warp_inclusive_scan_kernelIN10test_utils16custom_test_typeI12hip_bfloat16EELj32ELj4EENSt9enable_ifIXsr10test_utilsE35device_test_enabled_for_warp_size_vIXT1_EEEvE4typeEPT_S8_
	.p2align	8
	.type	_Z26warp_inclusive_scan_kernelIN10test_utils16custom_test_typeI12hip_bfloat16EELj32ELj4EENSt9enable_ifIXsr10test_utilsE35device_test_enabled_for_warp_size_vIXT1_EEEvE4typeEPT_S8_,@function
_Z26warp_inclusive_scan_kernelIN10test_utils16custom_test_typeI12hip_bfloat16EELj32ELj4EENSt9enable_ifIXsr10test_utilsE35device_test_enabled_for_warp_size_vIXT1_EEEvE4typeEPT_S8_: ; @_Z26warp_inclusive_scan_kernelIN10test_utils16custom_test_typeI12hip_bfloat16EELj32ELj4EENSt9enable_ifIXsr10test_utilsE35device_test_enabled_for_warp_size_vIXT1_EEEvE4typeEPT_S8_
; %bb.0:
	s_load_dword s7, s[4:5], 0x1c
	s_load_dwordx4 s[0:3], s[4:5], 0x0
	v_mov_b32_e32 v1, 0
                                        ; implicit-def: $vgpr7
	s_waitcnt lgkmcnt(0)
	s_and_b32 s4, s7, 0xffff
	s_mul_i32 s6, s6, s4
	v_add_u32_e32 v0, s6, v0
	v_lshlrev_b64 v[0:1], 2, v[0:1]
	v_mov_b32_e32 v3, s1
	v_add_co_u32_e32 v2, vcc, s0, v0
	v_addc_co_u32_e32 v3, vcc, v3, v1, vcc
	global_load_dword v2, v[2:3], off
	s_mov_b32 s0, 0x7f800000
	s_waitcnt vmcnt(0)
	v_lshlrev_b32_e32 v4, 16, v2
	v_mov_b32_dpp v3, v2 row_shr:1 row_mask:0xf bank_mask:0xf
	v_lshlrev_b32_e32 v5, 16, v3
	v_add_f32_e32 v5, v4, v5
	v_and_b32_e32 v6, 0x7f800000, v5
	v_cmp_ne_u32_e32 vcc, s0, v6
	s_and_saveexec_b64 s[0:1], vcc
	s_xor_b64 s[0:1], exec, s[0:1]
; %bb.1:
	v_bfe_u32 v6, v5, 16, 1
	s_movk_i32 s4, 0x7fff
	v_add3_u32 v7, v5, v6, s4
                                        ; implicit-def: $vgpr5
; %bb.2:
	s_andn2_saveexec_b64 s[0:1], s[0:1]
; %bb.3:
	v_mov_b32_e32 v6, 0
	v_or_b32_e32 v7, 0x10000, v5
	v_cmp_eq_u32_sdwa vcc, v5, v6 src0_sel:WORD_0 src1_sel:DWORD
	v_cndmask_b32_e32 v7, v7, v5, vcc
; %bb.4:
	s_or_b64 exec, exec, s[0:1]
	v_and_b32_e32 v5, 0xffff0000, v3
	v_and_b32_e32 v3, 0xffff0000, v2
	v_add_f32_e32 v5, v3, v5
	s_mov_b32 s0, 0x7f800000
	v_and_b32_e32 v6, 0x7f800000, v5
	v_cmp_ne_u32_e32 vcc, s0, v6
                                        ; implicit-def: $vgpr8
	s_and_saveexec_b64 s[0:1], vcc
	s_xor_b64 s[0:1], exec, s[0:1]
; %bb.5:
	v_bfe_u32 v6, v5, 16, 1
	s_movk_i32 s4, 0x7fff
	v_add3_u32 v8, v5, v6, s4
                                        ; implicit-def: $vgpr5
; %bb.6:
	s_andn2_saveexec_b64 s[0:1], s[0:1]
; %bb.7:
	v_mov_b32_e32 v6, 0
	v_or_b32_e32 v8, 0x10000, v5
	v_cmp_eq_u32_sdwa vcc, v5, v6 src0_sel:WORD_0 src1_sel:DWORD
	v_cndmask_b32_e32 v8, v8, v5, vcc
; %bb.8:
	s_or_b64 exec, exec, s[0:1]
	v_mbcnt_lo_u32_b32 v5, -1, 0
	v_mbcnt_hi_u32_b32 v5, -1, v5
	v_and_b32_e32 v5, 3, v5
	v_cmp_ne_u32_e32 vcc, 0, v5
	v_mov_b32_e32 v6, v2
	v_mov_b32_e32 v9, v2
	s_and_saveexec_b64 s[0:1], vcc
; %bb.9:
	v_lshrrev_b32_e32 v2, 16, v7
	v_and_b32_e32 v3, 0xffff0000, v8
	v_or_b32_e32 v9, v3, v2
	v_and_b32_e32 v4, 0xffff0000, v7
	v_mov_b32_e32 v6, v8
; %bb.10:
	s_or_b64 exec, exec, s[0:1]
	v_mov_b32_dpp v7, v9 row_shr:2 row_mask:0xf bank_mask:0xf
	v_lshlrev_b32_e32 v8, 16, v7
	v_add_f32_e32 v8, v4, v8
	s_mov_b32 s0, 0x7f800000
	v_and_b32_e32 v4, 0x7f800000, v8
	v_cmp_ne_u32_e32 vcc, s0, v4
                                        ; implicit-def: $vgpr4
	s_and_saveexec_b64 s[0:1], vcc
	s_xor_b64 s[0:1], exec, s[0:1]
; %bb.11:
	v_bfe_u32 v4, v8, 16, 1
	s_movk_i32 s4, 0x7fff
	v_add3_u32 v4, v8, v4, s4
                                        ; implicit-def: $vgpr8
; %bb.12:
	s_andn2_saveexec_b64 s[0:1], s[0:1]
; %bb.13:
	v_mov_b32_e32 v4, 0
	v_or_b32_e32 v9, 0x10000, v8
	v_cmp_eq_u32_sdwa vcc, v8, v4 src0_sel:WORD_0 src1_sel:DWORD
	v_cndmask_b32_e32 v4, v9, v8, vcc
; %bb.14:
	s_or_b64 exec, exec, s[0:1]
	v_and_b32_e32 v7, 0xffff0000, v7
	v_add_f32_e32 v3, v3, v7
	s_mov_b32 s0, 0x7f800000
	v_and_b32_e32 v7, 0x7f800000, v3
	v_cmp_ne_u32_e32 vcc, s0, v7
                                        ; implicit-def: $vgpr7
	s_and_saveexec_b64 s[0:1], vcc
	s_xor_b64 s[0:1], exec, s[0:1]
; %bb.15:
	v_bfe_u32 v7, v3, 16, 1
	s_movk_i32 s4, 0x7fff
	v_add3_u32 v7, v3, v7, s4
                                        ; implicit-def: $vgpr3
; %bb.16:
	s_andn2_saveexec_b64 s[0:1], s[0:1]
; %bb.17:
	v_mov_b32_e32 v7, 0
	v_or_b32_e32 v8, 0x10000, v3
	v_cmp_eq_u32_sdwa vcc, v3, v7 src0_sel:WORD_0 src1_sel:DWORD
	v_cndmask_b32_e32 v7, v8, v3, vcc
; %bb.18:
	s_or_b64 exec, exec, s[0:1]
	v_cmp_lt_u32_e32 vcc, 1, v5
	v_cndmask_b32_e32 v3, v6, v7, vcc
	v_cndmask_b32_sdwa v2, v2, v4, vcc dst_sel:DWORD dst_unused:UNUSED_PAD src0_sel:DWORD src1_sel:WORD_1
	v_mov_b32_e32 v4, s3
	v_add_co_u32_e32 v0, vcc, s2, v0
	s_mov_b32 s0, 0xffff
	v_addc_co_u32_e32 v1, vcc, v4, v1, vcc
	v_bfi_b32 v2, s0, v2, v3
	global_store_dword v[0:1], v2, off
	s_endpgm
	.section	.rodata,"a",@progbits
	.p2align	6, 0x0
	.amdhsa_kernel _Z26warp_inclusive_scan_kernelIN10test_utils16custom_test_typeI12hip_bfloat16EELj32ELj4EENSt9enable_ifIXsr10test_utilsE35device_test_enabled_for_warp_size_vIXT1_EEEvE4typeEPT_S8_
		.amdhsa_group_segment_fixed_size 0
		.amdhsa_private_segment_fixed_size 0
		.amdhsa_kernarg_size 272
		.amdhsa_user_sgpr_count 6
		.amdhsa_user_sgpr_private_segment_buffer 1
		.amdhsa_user_sgpr_dispatch_ptr 0
		.amdhsa_user_sgpr_queue_ptr 0
		.amdhsa_user_sgpr_kernarg_segment_ptr 1
		.amdhsa_user_sgpr_dispatch_id 0
		.amdhsa_user_sgpr_flat_scratch_init 0
		.amdhsa_user_sgpr_private_segment_size 0
		.amdhsa_uses_dynamic_stack 0
		.amdhsa_system_sgpr_private_segment_wavefront_offset 0
		.amdhsa_system_sgpr_workgroup_id_x 1
		.amdhsa_system_sgpr_workgroup_id_y 0
		.amdhsa_system_sgpr_workgroup_id_z 0
		.amdhsa_system_sgpr_workgroup_info 0
		.amdhsa_system_vgpr_workitem_id 0
		.amdhsa_next_free_vgpr 10
		.amdhsa_next_free_sgpr 8
		.amdhsa_reserve_vcc 1
		.amdhsa_reserve_flat_scratch 0
		.amdhsa_float_round_mode_32 0
		.amdhsa_float_round_mode_16_64 0
		.amdhsa_float_denorm_mode_32 3
		.amdhsa_float_denorm_mode_16_64 3
		.amdhsa_dx10_clamp 1
		.amdhsa_ieee_mode 1
		.amdhsa_fp16_overflow 0
		.amdhsa_exception_fp_ieee_invalid_op 0
		.amdhsa_exception_fp_denorm_src 0
		.amdhsa_exception_fp_ieee_div_zero 0
		.amdhsa_exception_fp_ieee_overflow 0
		.amdhsa_exception_fp_ieee_underflow 0
		.amdhsa_exception_fp_ieee_inexact 0
		.amdhsa_exception_int_div_zero 0
	.end_amdhsa_kernel
	.section	.text._Z26warp_inclusive_scan_kernelIN10test_utils16custom_test_typeI12hip_bfloat16EELj32ELj4EENSt9enable_ifIXsr10test_utilsE35device_test_enabled_for_warp_size_vIXT1_EEEvE4typeEPT_S8_,"axG",@progbits,_Z26warp_inclusive_scan_kernelIN10test_utils16custom_test_typeI12hip_bfloat16EELj32ELj4EENSt9enable_ifIXsr10test_utilsE35device_test_enabled_for_warp_size_vIXT1_EEEvE4typeEPT_S8_,comdat
.Lfunc_end305:
	.size	_Z26warp_inclusive_scan_kernelIN10test_utils16custom_test_typeI12hip_bfloat16EELj32ELj4EENSt9enable_ifIXsr10test_utilsE35device_test_enabled_for_warp_size_vIXT1_EEEvE4typeEPT_S8_, .Lfunc_end305-_Z26warp_inclusive_scan_kernelIN10test_utils16custom_test_typeI12hip_bfloat16EELj32ELj4EENSt9enable_ifIXsr10test_utilsE35device_test_enabled_for_warp_size_vIXT1_EEEvE4typeEPT_S8_
                                        ; -- End function
	.set _Z26warp_inclusive_scan_kernelIN10test_utils16custom_test_typeI12hip_bfloat16EELj32ELj4EENSt9enable_ifIXsr10test_utilsE35device_test_enabled_for_warp_size_vIXT1_EEEvE4typeEPT_S8_.num_vgpr, 10
	.set _Z26warp_inclusive_scan_kernelIN10test_utils16custom_test_typeI12hip_bfloat16EELj32ELj4EENSt9enable_ifIXsr10test_utilsE35device_test_enabled_for_warp_size_vIXT1_EEEvE4typeEPT_S8_.num_agpr, 0
	.set _Z26warp_inclusive_scan_kernelIN10test_utils16custom_test_typeI12hip_bfloat16EELj32ELj4EENSt9enable_ifIXsr10test_utilsE35device_test_enabled_for_warp_size_vIXT1_EEEvE4typeEPT_S8_.numbered_sgpr, 8
	.set _Z26warp_inclusive_scan_kernelIN10test_utils16custom_test_typeI12hip_bfloat16EELj32ELj4EENSt9enable_ifIXsr10test_utilsE35device_test_enabled_for_warp_size_vIXT1_EEEvE4typeEPT_S8_.num_named_barrier, 0
	.set _Z26warp_inclusive_scan_kernelIN10test_utils16custom_test_typeI12hip_bfloat16EELj32ELj4EENSt9enable_ifIXsr10test_utilsE35device_test_enabled_for_warp_size_vIXT1_EEEvE4typeEPT_S8_.private_seg_size, 0
	.set _Z26warp_inclusive_scan_kernelIN10test_utils16custom_test_typeI12hip_bfloat16EELj32ELj4EENSt9enable_ifIXsr10test_utilsE35device_test_enabled_for_warp_size_vIXT1_EEEvE4typeEPT_S8_.uses_vcc, 1
	.set _Z26warp_inclusive_scan_kernelIN10test_utils16custom_test_typeI12hip_bfloat16EELj32ELj4EENSt9enable_ifIXsr10test_utilsE35device_test_enabled_for_warp_size_vIXT1_EEEvE4typeEPT_S8_.uses_flat_scratch, 0
	.set _Z26warp_inclusive_scan_kernelIN10test_utils16custom_test_typeI12hip_bfloat16EELj32ELj4EENSt9enable_ifIXsr10test_utilsE35device_test_enabled_for_warp_size_vIXT1_EEEvE4typeEPT_S8_.has_dyn_sized_stack, 0
	.set _Z26warp_inclusive_scan_kernelIN10test_utils16custom_test_typeI12hip_bfloat16EELj32ELj4EENSt9enable_ifIXsr10test_utilsE35device_test_enabled_for_warp_size_vIXT1_EEEvE4typeEPT_S8_.has_recursion, 0
	.set _Z26warp_inclusive_scan_kernelIN10test_utils16custom_test_typeI12hip_bfloat16EELj32ELj4EENSt9enable_ifIXsr10test_utilsE35device_test_enabled_for_warp_size_vIXT1_EEEvE4typeEPT_S8_.has_indirect_call, 0
	.section	.AMDGPU.csdata,"",@progbits
; Kernel info:
; codeLenInByte = 584
; TotalNumSgprs: 12
; NumVgprs: 10
; ScratchSize: 0
; MemoryBound: 0
; FloatMode: 240
; IeeeMode: 1
; LDSByteSize: 0 bytes/workgroup (compile time only)
; SGPRBlocks: 1
; VGPRBlocks: 2
; NumSGPRsForWavesPerEU: 12
; NumVGPRsForWavesPerEU: 10
; Occupancy: 10
; WaveLimiterHint : 0
; COMPUTE_PGM_RSRC2:SCRATCH_EN: 0
; COMPUTE_PGM_RSRC2:USER_SGPR: 6
; COMPUTE_PGM_RSRC2:TRAP_HANDLER: 0
; COMPUTE_PGM_RSRC2:TGID_X_EN: 1
; COMPUTE_PGM_RSRC2:TGID_Y_EN: 0
; COMPUTE_PGM_RSRC2:TGID_Z_EN: 0
; COMPUTE_PGM_RSRC2:TIDIG_COMP_CNT: 0
	.section	.text._Z26warp_inclusive_scan_kernelIN10test_utils16custom_test_typeI12hip_bfloat16EELj64ELj4EENSt9enable_ifIXsr10test_utilsE35device_test_enabled_for_warp_size_vIXT1_EEEvE4typeEPT_S8_,"axG",@progbits,_Z26warp_inclusive_scan_kernelIN10test_utils16custom_test_typeI12hip_bfloat16EELj64ELj4EENSt9enable_ifIXsr10test_utilsE35device_test_enabled_for_warp_size_vIXT1_EEEvE4typeEPT_S8_,comdat
	.protected	_Z26warp_inclusive_scan_kernelIN10test_utils16custom_test_typeI12hip_bfloat16EELj64ELj4EENSt9enable_ifIXsr10test_utilsE35device_test_enabled_for_warp_size_vIXT1_EEEvE4typeEPT_S8_ ; -- Begin function _Z26warp_inclusive_scan_kernelIN10test_utils16custom_test_typeI12hip_bfloat16EELj64ELj4EENSt9enable_ifIXsr10test_utilsE35device_test_enabled_for_warp_size_vIXT1_EEEvE4typeEPT_S8_
	.globl	_Z26warp_inclusive_scan_kernelIN10test_utils16custom_test_typeI12hip_bfloat16EELj64ELj4EENSt9enable_ifIXsr10test_utilsE35device_test_enabled_for_warp_size_vIXT1_EEEvE4typeEPT_S8_
	.p2align	8
	.type	_Z26warp_inclusive_scan_kernelIN10test_utils16custom_test_typeI12hip_bfloat16EELj64ELj4EENSt9enable_ifIXsr10test_utilsE35device_test_enabled_for_warp_size_vIXT1_EEEvE4typeEPT_S8_,@function
_Z26warp_inclusive_scan_kernelIN10test_utils16custom_test_typeI12hip_bfloat16EELj64ELj4EENSt9enable_ifIXsr10test_utilsE35device_test_enabled_for_warp_size_vIXT1_EEEvE4typeEPT_S8_: ; @_Z26warp_inclusive_scan_kernelIN10test_utils16custom_test_typeI12hip_bfloat16EELj64ELj4EENSt9enable_ifIXsr10test_utilsE35device_test_enabled_for_warp_size_vIXT1_EEEvE4typeEPT_S8_
; %bb.0:
	s_load_dword s7, s[4:5], 0x1c
	s_load_dwordx4 s[0:3], s[4:5], 0x0
	v_mov_b32_e32 v1, 0
                                        ; implicit-def: $vgpr7
	s_waitcnt lgkmcnt(0)
	s_and_b32 s4, s7, 0xffff
	s_mul_i32 s6, s6, s4
	v_add_u32_e32 v0, s6, v0
	v_lshlrev_b64 v[0:1], 2, v[0:1]
	v_mov_b32_e32 v3, s1
	v_add_co_u32_e32 v2, vcc, s0, v0
	v_addc_co_u32_e32 v3, vcc, v3, v1, vcc
	global_load_dword v2, v[2:3], off
	s_mov_b32 s0, 0x7f800000
	s_waitcnt vmcnt(0)
	v_lshlrev_b32_e32 v4, 16, v2
	v_mov_b32_dpp v3, v2 row_shr:1 row_mask:0xf bank_mask:0xf
	v_lshlrev_b32_e32 v5, 16, v3
	v_add_f32_e32 v5, v4, v5
	v_and_b32_e32 v6, 0x7f800000, v5
	v_cmp_ne_u32_e32 vcc, s0, v6
	s_and_saveexec_b64 s[0:1], vcc
	s_xor_b64 s[0:1], exec, s[0:1]
; %bb.1:
	v_bfe_u32 v6, v5, 16, 1
	s_movk_i32 s4, 0x7fff
	v_add3_u32 v7, v5, v6, s4
                                        ; implicit-def: $vgpr5
; %bb.2:
	s_andn2_saveexec_b64 s[0:1], s[0:1]
; %bb.3:
	v_mov_b32_e32 v6, 0
	v_or_b32_e32 v7, 0x10000, v5
	v_cmp_eq_u32_sdwa vcc, v5, v6 src0_sel:WORD_0 src1_sel:DWORD
	v_cndmask_b32_e32 v7, v7, v5, vcc
; %bb.4:
	s_or_b64 exec, exec, s[0:1]
	v_and_b32_e32 v5, 0xffff0000, v3
	v_and_b32_e32 v3, 0xffff0000, v2
	v_add_f32_e32 v5, v3, v5
	s_mov_b32 s0, 0x7f800000
	v_and_b32_e32 v6, 0x7f800000, v5
	v_cmp_ne_u32_e32 vcc, s0, v6
                                        ; implicit-def: $vgpr8
	s_and_saveexec_b64 s[0:1], vcc
	s_xor_b64 s[0:1], exec, s[0:1]
; %bb.5:
	v_bfe_u32 v6, v5, 16, 1
	s_movk_i32 s4, 0x7fff
	v_add3_u32 v8, v5, v6, s4
                                        ; implicit-def: $vgpr5
; %bb.6:
	s_andn2_saveexec_b64 s[0:1], s[0:1]
; %bb.7:
	v_mov_b32_e32 v6, 0
	v_or_b32_e32 v8, 0x10000, v5
	v_cmp_eq_u32_sdwa vcc, v5, v6 src0_sel:WORD_0 src1_sel:DWORD
	v_cndmask_b32_e32 v8, v8, v5, vcc
; %bb.8:
	s_or_b64 exec, exec, s[0:1]
	v_mbcnt_lo_u32_b32 v5, -1, 0
	v_mbcnt_hi_u32_b32 v5, -1, v5
	v_and_b32_e32 v5, 3, v5
	v_cmp_ne_u32_e32 vcc, 0, v5
	v_mov_b32_e32 v6, v2
	v_mov_b32_e32 v9, v2
	s_and_saveexec_b64 s[0:1], vcc
; %bb.9:
	v_lshrrev_b32_e32 v2, 16, v7
	v_and_b32_e32 v3, 0xffff0000, v8
	v_or_b32_e32 v9, v3, v2
	v_and_b32_e32 v4, 0xffff0000, v7
	v_mov_b32_e32 v6, v8
; %bb.10:
	s_or_b64 exec, exec, s[0:1]
	v_mov_b32_dpp v7, v9 row_shr:2 row_mask:0xf bank_mask:0xf
	v_lshlrev_b32_e32 v8, 16, v7
	v_add_f32_e32 v8, v4, v8
	s_mov_b32 s0, 0x7f800000
	v_and_b32_e32 v4, 0x7f800000, v8
	v_cmp_ne_u32_e32 vcc, s0, v4
                                        ; implicit-def: $vgpr4
	s_and_saveexec_b64 s[0:1], vcc
	s_xor_b64 s[0:1], exec, s[0:1]
; %bb.11:
	v_bfe_u32 v4, v8, 16, 1
	s_movk_i32 s4, 0x7fff
	v_add3_u32 v4, v8, v4, s4
                                        ; implicit-def: $vgpr8
; %bb.12:
	s_andn2_saveexec_b64 s[0:1], s[0:1]
; %bb.13:
	v_mov_b32_e32 v4, 0
	v_or_b32_e32 v9, 0x10000, v8
	v_cmp_eq_u32_sdwa vcc, v8, v4 src0_sel:WORD_0 src1_sel:DWORD
	v_cndmask_b32_e32 v4, v9, v8, vcc
; %bb.14:
	s_or_b64 exec, exec, s[0:1]
	v_and_b32_e32 v7, 0xffff0000, v7
	v_add_f32_e32 v3, v3, v7
	s_mov_b32 s0, 0x7f800000
	v_and_b32_e32 v7, 0x7f800000, v3
	v_cmp_ne_u32_e32 vcc, s0, v7
                                        ; implicit-def: $vgpr7
	s_and_saveexec_b64 s[0:1], vcc
	s_xor_b64 s[0:1], exec, s[0:1]
; %bb.15:
	v_bfe_u32 v7, v3, 16, 1
	s_movk_i32 s4, 0x7fff
	v_add3_u32 v7, v3, v7, s4
                                        ; implicit-def: $vgpr3
; %bb.16:
	s_andn2_saveexec_b64 s[0:1], s[0:1]
; %bb.17:
	v_mov_b32_e32 v7, 0
	v_or_b32_e32 v8, 0x10000, v3
	v_cmp_eq_u32_sdwa vcc, v3, v7 src0_sel:WORD_0 src1_sel:DWORD
	v_cndmask_b32_e32 v7, v8, v3, vcc
; %bb.18:
	s_or_b64 exec, exec, s[0:1]
	v_cmp_lt_u32_e32 vcc, 1, v5
	v_cndmask_b32_e32 v3, v6, v7, vcc
	v_cndmask_b32_sdwa v2, v2, v4, vcc dst_sel:DWORD dst_unused:UNUSED_PAD src0_sel:DWORD src1_sel:WORD_1
	v_mov_b32_e32 v4, s3
	v_add_co_u32_e32 v0, vcc, s2, v0
	s_mov_b32 s0, 0xffff
	v_addc_co_u32_e32 v1, vcc, v4, v1, vcc
	v_bfi_b32 v2, s0, v2, v3
	global_store_dword v[0:1], v2, off
	s_endpgm
	.section	.rodata,"a",@progbits
	.p2align	6, 0x0
	.amdhsa_kernel _Z26warp_inclusive_scan_kernelIN10test_utils16custom_test_typeI12hip_bfloat16EELj64ELj4EENSt9enable_ifIXsr10test_utilsE35device_test_enabled_for_warp_size_vIXT1_EEEvE4typeEPT_S8_
		.amdhsa_group_segment_fixed_size 0
		.amdhsa_private_segment_fixed_size 0
		.amdhsa_kernarg_size 272
		.amdhsa_user_sgpr_count 6
		.amdhsa_user_sgpr_private_segment_buffer 1
		.amdhsa_user_sgpr_dispatch_ptr 0
		.amdhsa_user_sgpr_queue_ptr 0
		.amdhsa_user_sgpr_kernarg_segment_ptr 1
		.amdhsa_user_sgpr_dispatch_id 0
		.amdhsa_user_sgpr_flat_scratch_init 0
		.amdhsa_user_sgpr_private_segment_size 0
		.amdhsa_uses_dynamic_stack 0
		.amdhsa_system_sgpr_private_segment_wavefront_offset 0
		.amdhsa_system_sgpr_workgroup_id_x 1
		.amdhsa_system_sgpr_workgroup_id_y 0
		.amdhsa_system_sgpr_workgroup_id_z 0
		.amdhsa_system_sgpr_workgroup_info 0
		.amdhsa_system_vgpr_workitem_id 0
		.amdhsa_next_free_vgpr 10
		.amdhsa_next_free_sgpr 8
		.amdhsa_reserve_vcc 1
		.amdhsa_reserve_flat_scratch 0
		.amdhsa_float_round_mode_32 0
		.amdhsa_float_round_mode_16_64 0
		.amdhsa_float_denorm_mode_32 3
		.amdhsa_float_denorm_mode_16_64 3
		.amdhsa_dx10_clamp 1
		.amdhsa_ieee_mode 1
		.amdhsa_fp16_overflow 0
		.amdhsa_exception_fp_ieee_invalid_op 0
		.amdhsa_exception_fp_denorm_src 0
		.amdhsa_exception_fp_ieee_div_zero 0
		.amdhsa_exception_fp_ieee_overflow 0
		.amdhsa_exception_fp_ieee_underflow 0
		.amdhsa_exception_fp_ieee_inexact 0
		.amdhsa_exception_int_div_zero 0
	.end_amdhsa_kernel
	.section	.text._Z26warp_inclusive_scan_kernelIN10test_utils16custom_test_typeI12hip_bfloat16EELj64ELj4EENSt9enable_ifIXsr10test_utilsE35device_test_enabled_for_warp_size_vIXT1_EEEvE4typeEPT_S8_,"axG",@progbits,_Z26warp_inclusive_scan_kernelIN10test_utils16custom_test_typeI12hip_bfloat16EELj64ELj4EENSt9enable_ifIXsr10test_utilsE35device_test_enabled_for_warp_size_vIXT1_EEEvE4typeEPT_S8_,comdat
.Lfunc_end306:
	.size	_Z26warp_inclusive_scan_kernelIN10test_utils16custom_test_typeI12hip_bfloat16EELj64ELj4EENSt9enable_ifIXsr10test_utilsE35device_test_enabled_for_warp_size_vIXT1_EEEvE4typeEPT_S8_, .Lfunc_end306-_Z26warp_inclusive_scan_kernelIN10test_utils16custom_test_typeI12hip_bfloat16EELj64ELj4EENSt9enable_ifIXsr10test_utilsE35device_test_enabled_for_warp_size_vIXT1_EEEvE4typeEPT_S8_
                                        ; -- End function
	.set _Z26warp_inclusive_scan_kernelIN10test_utils16custom_test_typeI12hip_bfloat16EELj64ELj4EENSt9enable_ifIXsr10test_utilsE35device_test_enabled_for_warp_size_vIXT1_EEEvE4typeEPT_S8_.num_vgpr, 10
	.set _Z26warp_inclusive_scan_kernelIN10test_utils16custom_test_typeI12hip_bfloat16EELj64ELj4EENSt9enable_ifIXsr10test_utilsE35device_test_enabled_for_warp_size_vIXT1_EEEvE4typeEPT_S8_.num_agpr, 0
	.set _Z26warp_inclusive_scan_kernelIN10test_utils16custom_test_typeI12hip_bfloat16EELj64ELj4EENSt9enable_ifIXsr10test_utilsE35device_test_enabled_for_warp_size_vIXT1_EEEvE4typeEPT_S8_.numbered_sgpr, 8
	.set _Z26warp_inclusive_scan_kernelIN10test_utils16custom_test_typeI12hip_bfloat16EELj64ELj4EENSt9enable_ifIXsr10test_utilsE35device_test_enabled_for_warp_size_vIXT1_EEEvE4typeEPT_S8_.num_named_barrier, 0
	.set _Z26warp_inclusive_scan_kernelIN10test_utils16custom_test_typeI12hip_bfloat16EELj64ELj4EENSt9enable_ifIXsr10test_utilsE35device_test_enabled_for_warp_size_vIXT1_EEEvE4typeEPT_S8_.private_seg_size, 0
	.set _Z26warp_inclusive_scan_kernelIN10test_utils16custom_test_typeI12hip_bfloat16EELj64ELj4EENSt9enable_ifIXsr10test_utilsE35device_test_enabled_for_warp_size_vIXT1_EEEvE4typeEPT_S8_.uses_vcc, 1
	.set _Z26warp_inclusive_scan_kernelIN10test_utils16custom_test_typeI12hip_bfloat16EELj64ELj4EENSt9enable_ifIXsr10test_utilsE35device_test_enabled_for_warp_size_vIXT1_EEEvE4typeEPT_S8_.uses_flat_scratch, 0
	.set _Z26warp_inclusive_scan_kernelIN10test_utils16custom_test_typeI12hip_bfloat16EELj64ELj4EENSt9enable_ifIXsr10test_utilsE35device_test_enabled_for_warp_size_vIXT1_EEEvE4typeEPT_S8_.has_dyn_sized_stack, 0
	.set _Z26warp_inclusive_scan_kernelIN10test_utils16custom_test_typeI12hip_bfloat16EELj64ELj4EENSt9enable_ifIXsr10test_utilsE35device_test_enabled_for_warp_size_vIXT1_EEEvE4typeEPT_S8_.has_recursion, 0
	.set _Z26warp_inclusive_scan_kernelIN10test_utils16custom_test_typeI12hip_bfloat16EELj64ELj4EENSt9enable_ifIXsr10test_utilsE35device_test_enabled_for_warp_size_vIXT1_EEEvE4typeEPT_S8_.has_indirect_call, 0
	.section	.AMDGPU.csdata,"",@progbits
; Kernel info:
; codeLenInByte = 584
; TotalNumSgprs: 12
; NumVgprs: 10
; ScratchSize: 0
; MemoryBound: 0
; FloatMode: 240
; IeeeMode: 1
; LDSByteSize: 0 bytes/workgroup (compile time only)
; SGPRBlocks: 1
; VGPRBlocks: 2
; NumSGPRsForWavesPerEU: 12
; NumVGPRsForWavesPerEU: 10
; Occupancy: 10
; WaveLimiterHint : 0
; COMPUTE_PGM_RSRC2:SCRATCH_EN: 0
; COMPUTE_PGM_RSRC2:USER_SGPR: 6
; COMPUTE_PGM_RSRC2:TRAP_HANDLER: 0
; COMPUTE_PGM_RSRC2:TGID_X_EN: 1
; COMPUTE_PGM_RSRC2:TGID_Y_EN: 0
; COMPUTE_PGM_RSRC2:TGID_Z_EN: 0
; COMPUTE_PGM_RSRC2:TIDIG_COMP_CNT: 0
	.section	.text._Z26warp_inclusive_scan_kernelIN10test_utils16custom_test_typeI12hip_bfloat16EELj32ELj2EENSt9enable_ifIXsr10test_utilsE35device_test_enabled_for_warp_size_vIXT1_EEEvE4typeEPT_S8_,"axG",@progbits,_Z26warp_inclusive_scan_kernelIN10test_utils16custom_test_typeI12hip_bfloat16EELj32ELj2EENSt9enable_ifIXsr10test_utilsE35device_test_enabled_for_warp_size_vIXT1_EEEvE4typeEPT_S8_,comdat
	.protected	_Z26warp_inclusive_scan_kernelIN10test_utils16custom_test_typeI12hip_bfloat16EELj32ELj2EENSt9enable_ifIXsr10test_utilsE35device_test_enabled_for_warp_size_vIXT1_EEEvE4typeEPT_S8_ ; -- Begin function _Z26warp_inclusive_scan_kernelIN10test_utils16custom_test_typeI12hip_bfloat16EELj32ELj2EENSt9enable_ifIXsr10test_utilsE35device_test_enabled_for_warp_size_vIXT1_EEEvE4typeEPT_S8_
	.globl	_Z26warp_inclusive_scan_kernelIN10test_utils16custom_test_typeI12hip_bfloat16EELj32ELj2EENSt9enable_ifIXsr10test_utilsE35device_test_enabled_for_warp_size_vIXT1_EEEvE4typeEPT_S8_
	.p2align	8
	.type	_Z26warp_inclusive_scan_kernelIN10test_utils16custom_test_typeI12hip_bfloat16EELj32ELj2EENSt9enable_ifIXsr10test_utilsE35device_test_enabled_for_warp_size_vIXT1_EEEvE4typeEPT_S8_,@function
_Z26warp_inclusive_scan_kernelIN10test_utils16custom_test_typeI12hip_bfloat16EELj32ELj2EENSt9enable_ifIXsr10test_utilsE35device_test_enabled_for_warp_size_vIXT1_EEEvE4typeEPT_S8_: ; @_Z26warp_inclusive_scan_kernelIN10test_utils16custom_test_typeI12hip_bfloat16EELj32ELj2EENSt9enable_ifIXsr10test_utilsE35device_test_enabled_for_warp_size_vIXT1_EEEvE4typeEPT_S8_
; %bb.0:
	s_load_dword s7, s[4:5], 0x1c
	s_load_dwordx4 s[0:3], s[4:5], 0x0
	v_mov_b32_e32 v1, 0
	s_waitcnt lgkmcnt(0)
	s_and_b32 s4, s7, 0xffff
	s_mul_i32 s6, s6, s4
	v_add_u32_e32 v0, s6, v0
	v_lshlrev_b64 v[0:1], 2, v[0:1]
	v_mov_b32_e32 v3, s1
	v_add_co_u32_e32 v2, vcc, s0, v0
	v_addc_co_u32_e32 v3, vcc, v3, v1, vcc
	global_load_dword v2, v[2:3], off
	s_mov_b32 s0, 0x7f800000
	s_waitcnt vmcnt(0)
	v_lshlrev_b32_e32 v3, 16, v2
	v_mov_b32_dpp v4, v2 row_shr:1 row_mask:0xf bank_mask:0xf
	v_lshlrev_b32_e32 v5, 16, v4
	v_add_f32_e32 v5, v3, v5
	v_and_b32_e32 v3, 0x7f800000, v5
	v_cmp_ne_u32_e32 vcc, s0, v3
                                        ; implicit-def: $vgpr3
	s_and_saveexec_b64 s[0:1], vcc
	s_xor_b64 s[0:1], exec, s[0:1]
; %bb.1:
	v_bfe_u32 v3, v5, 16, 1
	s_movk_i32 s4, 0x7fff
	v_add3_u32 v3, v5, v3, s4
                                        ; implicit-def: $vgpr5
; %bb.2:
	s_andn2_saveexec_b64 s[0:1], s[0:1]
; %bb.3:
	v_mov_b32_e32 v3, 0
	v_or_b32_e32 v6, 0x10000, v5
	v_cmp_eq_u32_sdwa vcc, v5, v3 src0_sel:WORD_0 src1_sel:DWORD
	v_cndmask_b32_e32 v3, v6, v5, vcc
; %bb.4:
	s_or_b64 exec, exec, s[0:1]
	v_and_b32_e32 v4, 0xffff0000, v4
	v_and_b32_e32 v5, 0xffff0000, v2
	v_add_f32_e32 v5, v5, v4
	s_mov_b32 s0, 0x7f800000
	v_and_b32_e32 v4, 0x7f800000, v5
	v_cmp_ne_u32_e32 vcc, s0, v4
                                        ; implicit-def: $vgpr4
	s_and_saveexec_b64 s[0:1], vcc
	s_xor_b64 s[0:1], exec, s[0:1]
; %bb.5:
	v_bfe_u32 v4, v5, 16, 1
	s_movk_i32 s4, 0x7fff
	v_add3_u32 v4, v5, v4, s4
                                        ; implicit-def: $vgpr5
; %bb.6:
	s_andn2_saveexec_b64 s[0:1], s[0:1]
; %bb.7:
	v_mov_b32_e32 v4, 0
	v_or_b32_e32 v6, 0x10000, v5
	v_cmp_eq_u32_sdwa vcc, v5, v4 src0_sel:WORD_0 src1_sel:DWORD
	v_cndmask_b32_e32 v4, v6, v5, vcc
; %bb.8:
	s_or_b64 exec, exec, s[0:1]
	v_mbcnt_lo_u32_b32 v5, -1, 0
	v_mbcnt_hi_u32_b32 v5, -1, v5
	v_and_b32_e32 v5, 1, v5
	v_cmp_eq_u32_e32 vcc, 0, v5
	v_cndmask_b32_e32 v4, v4, v2, vcc
	v_cndmask_b32_sdwa v2, v3, v2, vcc dst_sel:DWORD dst_unused:UNUSED_PAD src0_sel:WORD_1 src1_sel:DWORD
	v_mov_b32_e32 v3, s3
	v_add_co_u32_e32 v0, vcc, s2, v0
	s_mov_b32 s0, 0xffff
	v_addc_co_u32_e32 v1, vcc, v3, v1, vcc
	v_bfi_b32 v2, s0, v2, v4
	global_store_dword v[0:1], v2, off
	s_endpgm
	.section	.rodata,"a",@progbits
	.p2align	6, 0x0
	.amdhsa_kernel _Z26warp_inclusive_scan_kernelIN10test_utils16custom_test_typeI12hip_bfloat16EELj32ELj2EENSt9enable_ifIXsr10test_utilsE35device_test_enabled_for_warp_size_vIXT1_EEEvE4typeEPT_S8_
		.amdhsa_group_segment_fixed_size 0
		.amdhsa_private_segment_fixed_size 0
		.amdhsa_kernarg_size 272
		.amdhsa_user_sgpr_count 6
		.amdhsa_user_sgpr_private_segment_buffer 1
		.amdhsa_user_sgpr_dispatch_ptr 0
		.amdhsa_user_sgpr_queue_ptr 0
		.amdhsa_user_sgpr_kernarg_segment_ptr 1
		.amdhsa_user_sgpr_dispatch_id 0
		.amdhsa_user_sgpr_flat_scratch_init 0
		.amdhsa_user_sgpr_private_segment_size 0
		.amdhsa_uses_dynamic_stack 0
		.amdhsa_system_sgpr_private_segment_wavefront_offset 0
		.amdhsa_system_sgpr_workgroup_id_x 1
		.amdhsa_system_sgpr_workgroup_id_y 0
		.amdhsa_system_sgpr_workgroup_id_z 0
		.amdhsa_system_sgpr_workgroup_info 0
		.amdhsa_system_vgpr_workitem_id 0
		.amdhsa_next_free_vgpr 7
		.amdhsa_next_free_sgpr 8
		.amdhsa_reserve_vcc 1
		.amdhsa_reserve_flat_scratch 0
		.amdhsa_float_round_mode_32 0
		.amdhsa_float_round_mode_16_64 0
		.amdhsa_float_denorm_mode_32 3
		.amdhsa_float_denorm_mode_16_64 3
		.amdhsa_dx10_clamp 1
		.amdhsa_ieee_mode 1
		.amdhsa_fp16_overflow 0
		.amdhsa_exception_fp_ieee_invalid_op 0
		.amdhsa_exception_fp_denorm_src 0
		.amdhsa_exception_fp_ieee_div_zero 0
		.amdhsa_exception_fp_ieee_overflow 0
		.amdhsa_exception_fp_ieee_underflow 0
		.amdhsa_exception_fp_ieee_inexact 0
		.amdhsa_exception_int_div_zero 0
	.end_amdhsa_kernel
	.section	.text._Z26warp_inclusive_scan_kernelIN10test_utils16custom_test_typeI12hip_bfloat16EELj32ELj2EENSt9enable_ifIXsr10test_utilsE35device_test_enabled_for_warp_size_vIXT1_EEEvE4typeEPT_S8_,"axG",@progbits,_Z26warp_inclusive_scan_kernelIN10test_utils16custom_test_typeI12hip_bfloat16EELj32ELj2EENSt9enable_ifIXsr10test_utilsE35device_test_enabled_for_warp_size_vIXT1_EEEvE4typeEPT_S8_,comdat
.Lfunc_end307:
	.size	_Z26warp_inclusive_scan_kernelIN10test_utils16custom_test_typeI12hip_bfloat16EELj32ELj2EENSt9enable_ifIXsr10test_utilsE35device_test_enabled_for_warp_size_vIXT1_EEEvE4typeEPT_S8_, .Lfunc_end307-_Z26warp_inclusive_scan_kernelIN10test_utils16custom_test_typeI12hip_bfloat16EELj32ELj2EENSt9enable_ifIXsr10test_utilsE35device_test_enabled_for_warp_size_vIXT1_EEEvE4typeEPT_S8_
                                        ; -- End function
	.set _Z26warp_inclusive_scan_kernelIN10test_utils16custom_test_typeI12hip_bfloat16EELj32ELj2EENSt9enable_ifIXsr10test_utilsE35device_test_enabled_for_warp_size_vIXT1_EEEvE4typeEPT_S8_.num_vgpr, 7
	.set _Z26warp_inclusive_scan_kernelIN10test_utils16custom_test_typeI12hip_bfloat16EELj32ELj2EENSt9enable_ifIXsr10test_utilsE35device_test_enabled_for_warp_size_vIXT1_EEEvE4typeEPT_S8_.num_agpr, 0
	.set _Z26warp_inclusive_scan_kernelIN10test_utils16custom_test_typeI12hip_bfloat16EELj32ELj2EENSt9enable_ifIXsr10test_utilsE35device_test_enabled_for_warp_size_vIXT1_EEEvE4typeEPT_S8_.numbered_sgpr, 8
	.set _Z26warp_inclusive_scan_kernelIN10test_utils16custom_test_typeI12hip_bfloat16EELj32ELj2EENSt9enable_ifIXsr10test_utilsE35device_test_enabled_for_warp_size_vIXT1_EEEvE4typeEPT_S8_.num_named_barrier, 0
	.set _Z26warp_inclusive_scan_kernelIN10test_utils16custom_test_typeI12hip_bfloat16EELj32ELj2EENSt9enable_ifIXsr10test_utilsE35device_test_enabled_for_warp_size_vIXT1_EEEvE4typeEPT_S8_.private_seg_size, 0
	.set _Z26warp_inclusive_scan_kernelIN10test_utils16custom_test_typeI12hip_bfloat16EELj32ELj2EENSt9enable_ifIXsr10test_utilsE35device_test_enabled_for_warp_size_vIXT1_EEEvE4typeEPT_S8_.uses_vcc, 1
	.set _Z26warp_inclusive_scan_kernelIN10test_utils16custom_test_typeI12hip_bfloat16EELj32ELj2EENSt9enable_ifIXsr10test_utilsE35device_test_enabled_for_warp_size_vIXT1_EEEvE4typeEPT_S8_.uses_flat_scratch, 0
	.set _Z26warp_inclusive_scan_kernelIN10test_utils16custom_test_typeI12hip_bfloat16EELj32ELj2EENSt9enable_ifIXsr10test_utilsE35device_test_enabled_for_warp_size_vIXT1_EEEvE4typeEPT_S8_.has_dyn_sized_stack, 0
	.set _Z26warp_inclusive_scan_kernelIN10test_utils16custom_test_typeI12hip_bfloat16EELj32ELj2EENSt9enable_ifIXsr10test_utilsE35device_test_enabled_for_warp_size_vIXT1_EEEvE4typeEPT_S8_.has_recursion, 0
	.set _Z26warp_inclusive_scan_kernelIN10test_utils16custom_test_typeI12hip_bfloat16EELj32ELj2EENSt9enable_ifIXsr10test_utilsE35device_test_enabled_for_warp_size_vIXT1_EEEvE4typeEPT_S8_.has_indirect_call, 0
	.section	.AMDGPU.csdata,"",@progbits
; Kernel info:
; codeLenInByte = 348
; TotalNumSgprs: 12
; NumVgprs: 7
; ScratchSize: 0
; MemoryBound: 0
; FloatMode: 240
; IeeeMode: 1
; LDSByteSize: 0 bytes/workgroup (compile time only)
; SGPRBlocks: 1
; VGPRBlocks: 1
; NumSGPRsForWavesPerEU: 12
; NumVGPRsForWavesPerEU: 7
; Occupancy: 10
; WaveLimiterHint : 0
; COMPUTE_PGM_RSRC2:SCRATCH_EN: 0
; COMPUTE_PGM_RSRC2:USER_SGPR: 6
; COMPUTE_PGM_RSRC2:TRAP_HANDLER: 0
; COMPUTE_PGM_RSRC2:TGID_X_EN: 1
; COMPUTE_PGM_RSRC2:TGID_Y_EN: 0
; COMPUTE_PGM_RSRC2:TGID_Z_EN: 0
; COMPUTE_PGM_RSRC2:TIDIG_COMP_CNT: 0
	.section	.text._Z26warp_inclusive_scan_kernelIN10test_utils16custom_test_typeI12hip_bfloat16EELj64ELj2EENSt9enable_ifIXsr10test_utilsE35device_test_enabled_for_warp_size_vIXT1_EEEvE4typeEPT_S8_,"axG",@progbits,_Z26warp_inclusive_scan_kernelIN10test_utils16custom_test_typeI12hip_bfloat16EELj64ELj2EENSt9enable_ifIXsr10test_utilsE35device_test_enabled_for_warp_size_vIXT1_EEEvE4typeEPT_S8_,comdat
	.protected	_Z26warp_inclusive_scan_kernelIN10test_utils16custom_test_typeI12hip_bfloat16EELj64ELj2EENSt9enable_ifIXsr10test_utilsE35device_test_enabled_for_warp_size_vIXT1_EEEvE4typeEPT_S8_ ; -- Begin function _Z26warp_inclusive_scan_kernelIN10test_utils16custom_test_typeI12hip_bfloat16EELj64ELj2EENSt9enable_ifIXsr10test_utilsE35device_test_enabled_for_warp_size_vIXT1_EEEvE4typeEPT_S8_
	.globl	_Z26warp_inclusive_scan_kernelIN10test_utils16custom_test_typeI12hip_bfloat16EELj64ELj2EENSt9enable_ifIXsr10test_utilsE35device_test_enabled_for_warp_size_vIXT1_EEEvE4typeEPT_S8_
	.p2align	8
	.type	_Z26warp_inclusive_scan_kernelIN10test_utils16custom_test_typeI12hip_bfloat16EELj64ELj2EENSt9enable_ifIXsr10test_utilsE35device_test_enabled_for_warp_size_vIXT1_EEEvE4typeEPT_S8_,@function
_Z26warp_inclusive_scan_kernelIN10test_utils16custom_test_typeI12hip_bfloat16EELj64ELj2EENSt9enable_ifIXsr10test_utilsE35device_test_enabled_for_warp_size_vIXT1_EEEvE4typeEPT_S8_: ; @_Z26warp_inclusive_scan_kernelIN10test_utils16custom_test_typeI12hip_bfloat16EELj64ELj2EENSt9enable_ifIXsr10test_utilsE35device_test_enabled_for_warp_size_vIXT1_EEEvE4typeEPT_S8_
; %bb.0:
	s_load_dword s7, s[4:5], 0x1c
	s_load_dwordx4 s[0:3], s[4:5], 0x0
	v_mov_b32_e32 v1, 0
	s_waitcnt lgkmcnt(0)
	s_and_b32 s4, s7, 0xffff
	s_mul_i32 s6, s6, s4
	v_add_u32_e32 v0, s6, v0
	v_lshlrev_b64 v[0:1], 2, v[0:1]
	v_mov_b32_e32 v3, s1
	v_add_co_u32_e32 v2, vcc, s0, v0
	v_addc_co_u32_e32 v3, vcc, v3, v1, vcc
	global_load_dword v2, v[2:3], off
	s_mov_b32 s0, 0x7f800000
	s_waitcnt vmcnt(0)
	v_lshlrev_b32_e32 v3, 16, v2
	v_mov_b32_dpp v4, v2 row_shr:1 row_mask:0xf bank_mask:0xf
	v_lshlrev_b32_e32 v5, 16, v4
	v_add_f32_e32 v5, v3, v5
	v_and_b32_e32 v3, 0x7f800000, v5
	v_cmp_ne_u32_e32 vcc, s0, v3
                                        ; implicit-def: $vgpr3
	s_and_saveexec_b64 s[0:1], vcc
	s_xor_b64 s[0:1], exec, s[0:1]
; %bb.1:
	v_bfe_u32 v3, v5, 16, 1
	s_movk_i32 s4, 0x7fff
	v_add3_u32 v3, v5, v3, s4
                                        ; implicit-def: $vgpr5
; %bb.2:
	s_andn2_saveexec_b64 s[0:1], s[0:1]
; %bb.3:
	v_mov_b32_e32 v3, 0
	v_or_b32_e32 v6, 0x10000, v5
	v_cmp_eq_u32_sdwa vcc, v5, v3 src0_sel:WORD_0 src1_sel:DWORD
	v_cndmask_b32_e32 v3, v6, v5, vcc
; %bb.4:
	s_or_b64 exec, exec, s[0:1]
	v_and_b32_e32 v4, 0xffff0000, v4
	v_and_b32_e32 v5, 0xffff0000, v2
	v_add_f32_e32 v5, v5, v4
	s_mov_b32 s0, 0x7f800000
	v_and_b32_e32 v4, 0x7f800000, v5
	v_cmp_ne_u32_e32 vcc, s0, v4
                                        ; implicit-def: $vgpr4
	s_and_saveexec_b64 s[0:1], vcc
	s_xor_b64 s[0:1], exec, s[0:1]
; %bb.5:
	v_bfe_u32 v4, v5, 16, 1
	s_movk_i32 s4, 0x7fff
	v_add3_u32 v4, v5, v4, s4
                                        ; implicit-def: $vgpr5
; %bb.6:
	s_andn2_saveexec_b64 s[0:1], s[0:1]
; %bb.7:
	v_mov_b32_e32 v4, 0
	v_or_b32_e32 v6, 0x10000, v5
	v_cmp_eq_u32_sdwa vcc, v5, v4 src0_sel:WORD_0 src1_sel:DWORD
	v_cndmask_b32_e32 v4, v6, v5, vcc
; %bb.8:
	s_or_b64 exec, exec, s[0:1]
	v_mbcnt_lo_u32_b32 v5, -1, 0
	v_mbcnt_hi_u32_b32 v5, -1, v5
	v_and_b32_e32 v5, 1, v5
	v_cmp_eq_u32_e32 vcc, 0, v5
	v_cndmask_b32_e32 v4, v4, v2, vcc
	v_cndmask_b32_sdwa v2, v3, v2, vcc dst_sel:DWORD dst_unused:UNUSED_PAD src0_sel:WORD_1 src1_sel:DWORD
	v_mov_b32_e32 v3, s3
	v_add_co_u32_e32 v0, vcc, s2, v0
	s_mov_b32 s0, 0xffff
	v_addc_co_u32_e32 v1, vcc, v3, v1, vcc
	v_bfi_b32 v2, s0, v2, v4
	global_store_dword v[0:1], v2, off
	s_endpgm
	.section	.rodata,"a",@progbits
	.p2align	6, 0x0
	.amdhsa_kernel _Z26warp_inclusive_scan_kernelIN10test_utils16custom_test_typeI12hip_bfloat16EELj64ELj2EENSt9enable_ifIXsr10test_utilsE35device_test_enabled_for_warp_size_vIXT1_EEEvE4typeEPT_S8_
		.amdhsa_group_segment_fixed_size 0
		.amdhsa_private_segment_fixed_size 0
		.amdhsa_kernarg_size 272
		.amdhsa_user_sgpr_count 6
		.amdhsa_user_sgpr_private_segment_buffer 1
		.amdhsa_user_sgpr_dispatch_ptr 0
		.amdhsa_user_sgpr_queue_ptr 0
		.amdhsa_user_sgpr_kernarg_segment_ptr 1
		.amdhsa_user_sgpr_dispatch_id 0
		.amdhsa_user_sgpr_flat_scratch_init 0
		.amdhsa_user_sgpr_private_segment_size 0
		.amdhsa_uses_dynamic_stack 0
		.amdhsa_system_sgpr_private_segment_wavefront_offset 0
		.amdhsa_system_sgpr_workgroup_id_x 1
		.amdhsa_system_sgpr_workgroup_id_y 0
		.amdhsa_system_sgpr_workgroup_id_z 0
		.amdhsa_system_sgpr_workgroup_info 0
		.amdhsa_system_vgpr_workitem_id 0
		.amdhsa_next_free_vgpr 7
		.amdhsa_next_free_sgpr 8
		.amdhsa_reserve_vcc 1
		.amdhsa_reserve_flat_scratch 0
		.amdhsa_float_round_mode_32 0
		.amdhsa_float_round_mode_16_64 0
		.amdhsa_float_denorm_mode_32 3
		.amdhsa_float_denorm_mode_16_64 3
		.amdhsa_dx10_clamp 1
		.amdhsa_ieee_mode 1
		.amdhsa_fp16_overflow 0
		.amdhsa_exception_fp_ieee_invalid_op 0
		.amdhsa_exception_fp_denorm_src 0
		.amdhsa_exception_fp_ieee_div_zero 0
		.amdhsa_exception_fp_ieee_overflow 0
		.amdhsa_exception_fp_ieee_underflow 0
		.amdhsa_exception_fp_ieee_inexact 0
		.amdhsa_exception_int_div_zero 0
	.end_amdhsa_kernel
	.section	.text._Z26warp_inclusive_scan_kernelIN10test_utils16custom_test_typeI12hip_bfloat16EELj64ELj2EENSt9enable_ifIXsr10test_utilsE35device_test_enabled_for_warp_size_vIXT1_EEEvE4typeEPT_S8_,"axG",@progbits,_Z26warp_inclusive_scan_kernelIN10test_utils16custom_test_typeI12hip_bfloat16EELj64ELj2EENSt9enable_ifIXsr10test_utilsE35device_test_enabled_for_warp_size_vIXT1_EEEvE4typeEPT_S8_,comdat
.Lfunc_end308:
	.size	_Z26warp_inclusive_scan_kernelIN10test_utils16custom_test_typeI12hip_bfloat16EELj64ELj2EENSt9enable_ifIXsr10test_utilsE35device_test_enabled_for_warp_size_vIXT1_EEEvE4typeEPT_S8_, .Lfunc_end308-_Z26warp_inclusive_scan_kernelIN10test_utils16custom_test_typeI12hip_bfloat16EELj64ELj2EENSt9enable_ifIXsr10test_utilsE35device_test_enabled_for_warp_size_vIXT1_EEEvE4typeEPT_S8_
                                        ; -- End function
	.set _Z26warp_inclusive_scan_kernelIN10test_utils16custom_test_typeI12hip_bfloat16EELj64ELj2EENSt9enable_ifIXsr10test_utilsE35device_test_enabled_for_warp_size_vIXT1_EEEvE4typeEPT_S8_.num_vgpr, 7
	.set _Z26warp_inclusive_scan_kernelIN10test_utils16custom_test_typeI12hip_bfloat16EELj64ELj2EENSt9enable_ifIXsr10test_utilsE35device_test_enabled_for_warp_size_vIXT1_EEEvE4typeEPT_S8_.num_agpr, 0
	.set _Z26warp_inclusive_scan_kernelIN10test_utils16custom_test_typeI12hip_bfloat16EELj64ELj2EENSt9enable_ifIXsr10test_utilsE35device_test_enabled_for_warp_size_vIXT1_EEEvE4typeEPT_S8_.numbered_sgpr, 8
	.set _Z26warp_inclusive_scan_kernelIN10test_utils16custom_test_typeI12hip_bfloat16EELj64ELj2EENSt9enable_ifIXsr10test_utilsE35device_test_enabled_for_warp_size_vIXT1_EEEvE4typeEPT_S8_.num_named_barrier, 0
	.set _Z26warp_inclusive_scan_kernelIN10test_utils16custom_test_typeI12hip_bfloat16EELj64ELj2EENSt9enable_ifIXsr10test_utilsE35device_test_enabled_for_warp_size_vIXT1_EEEvE4typeEPT_S8_.private_seg_size, 0
	.set _Z26warp_inclusive_scan_kernelIN10test_utils16custom_test_typeI12hip_bfloat16EELj64ELj2EENSt9enable_ifIXsr10test_utilsE35device_test_enabled_for_warp_size_vIXT1_EEEvE4typeEPT_S8_.uses_vcc, 1
	.set _Z26warp_inclusive_scan_kernelIN10test_utils16custom_test_typeI12hip_bfloat16EELj64ELj2EENSt9enable_ifIXsr10test_utilsE35device_test_enabled_for_warp_size_vIXT1_EEEvE4typeEPT_S8_.uses_flat_scratch, 0
	.set _Z26warp_inclusive_scan_kernelIN10test_utils16custom_test_typeI12hip_bfloat16EELj64ELj2EENSt9enable_ifIXsr10test_utilsE35device_test_enabled_for_warp_size_vIXT1_EEEvE4typeEPT_S8_.has_dyn_sized_stack, 0
	.set _Z26warp_inclusive_scan_kernelIN10test_utils16custom_test_typeI12hip_bfloat16EELj64ELj2EENSt9enable_ifIXsr10test_utilsE35device_test_enabled_for_warp_size_vIXT1_EEEvE4typeEPT_S8_.has_recursion, 0
	.set _Z26warp_inclusive_scan_kernelIN10test_utils16custom_test_typeI12hip_bfloat16EELj64ELj2EENSt9enable_ifIXsr10test_utilsE35device_test_enabled_for_warp_size_vIXT1_EEEvE4typeEPT_S8_.has_indirect_call, 0
	.section	.AMDGPU.csdata,"",@progbits
; Kernel info:
; codeLenInByte = 348
; TotalNumSgprs: 12
; NumVgprs: 7
; ScratchSize: 0
; MemoryBound: 0
; FloatMode: 240
; IeeeMode: 1
; LDSByteSize: 0 bytes/workgroup (compile time only)
; SGPRBlocks: 1
; VGPRBlocks: 1
; NumSGPRsForWavesPerEU: 12
; NumVGPRsForWavesPerEU: 7
; Occupancy: 10
; WaveLimiterHint : 0
; COMPUTE_PGM_RSRC2:SCRATCH_EN: 0
; COMPUTE_PGM_RSRC2:USER_SGPR: 6
; COMPUTE_PGM_RSRC2:TRAP_HANDLER: 0
; COMPUTE_PGM_RSRC2:TGID_X_EN: 1
; COMPUTE_PGM_RSRC2:TGID_Y_EN: 0
; COMPUTE_PGM_RSRC2:TGID_Z_EN: 0
; COMPUTE_PGM_RSRC2:TIDIG_COMP_CNT: 0
	.section	.text._Z26warp_inclusive_scan_kernelIN10test_utils16custom_test_typeI6__halfEELj256ELj64EENSt9enable_ifIXsr10test_utilsE35device_test_enabled_for_warp_size_vIXT1_EEEvE4typeEPT_S8_,"axG",@progbits,_Z26warp_inclusive_scan_kernelIN10test_utils16custom_test_typeI6__halfEELj256ELj64EENSt9enable_ifIXsr10test_utilsE35device_test_enabled_for_warp_size_vIXT1_EEEvE4typeEPT_S8_,comdat
	.protected	_Z26warp_inclusive_scan_kernelIN10test_utils16custom_test_typeI6__halfEELj256ELj64EENSt9enable_ifIXsr10test_utilsE35device_test_enabled_for_warp_size_vIXT1_EEEvE4typeEPT_S8_ ; -- Begin function _Z26warp_inclusive_scan_kernelIN10test_utils16custom_test_typeI6__halfEELj256ELj64EENSt9enable_ifIXsr10test_utilsE35device_test_enabled_for_warp_size_vIXT1_EEEvE4typeEPT_S8_
	.globl	_Z26warp_inclusive_scan_kernelIN10test_utils16custom_test_typeI6__halfEELj256ELj64EENSt9enable_ifIXsr10test_utilsE35device_test_enabled_for_warp_size_vIXT1_EEEvE4typeEPT_S8_
	.p2align	8
	.type	_Z26warp_inclusive_scan_kernelIN10test_utils16custom_test_typeI6__halfEELj256ELj64EENSt9enable_ifIXsr10test_utilsE35device_test_enabled_for_warp_size_vIXT1_EEEvE4typeEPT_S8_,@function
_Z26warp_inclusive_scan_kernelIN10test_utils16custom_test_typeI6__halfEELj256ELj64EENSt9enable_ifIXsr10test_utilsE35device_test_enabled_for_warp_size_vIXT1_EEEvE4typeEPT_S8_: ; @_Z26warp_inclusive_scan_kernelIN10test_utils16custom_test_typeI6__halfEELj256ELj64EENSt9enable_ifIXsr10test_utilsE35device_test_enabled_for_warp_size_vIXT1_EEEvE4typeEPT_S8_
; %bb.0:
	s_load_dword s7, s[4:5], 0x1c
	s_load_dwordx4 s[0:3], s[4:5], 0x0
	v_mov_b32_e32 v1, 0
	s_waitcnt lgkmcnt(0)
	s_and_b32 s4, s7, 0xffff
	s_mul_i32 s6, s6, s4
	v_add_u32_e32 v0, s6, v0
	v_lshlrev_b64 v[0:1], 2, v[0:1]
	v_mov_b32_e32 v3, s1
	v_add_co_u32_e32 v2, vcc, s0, v0
	v_addc_co_u32_e32 v3, vcc, v3, v1, vcc
	global_load_dword v4, v[2:3], off
	v_mbcnt_lo_u32_b32 v2, -1, 0
	v_mbcnt_hi_u32_b32 v2, -1, v2
	v_and_b32_e32 v6, 15, v2
	v_cmp_ne_u32_e32 vcc, 0, v6
	s_waitcnt vmcnt(0)
	v_alignbit_b32 v3, v4, v4, 16
	v_mov_b32_dpp v5, v4 row_shr:1 row_mask:0xf bank_mask:0xf
	s_and_saveexec_b64 s[0:1], vcc
; %bb.1:
	v_pk_add_f16 v3, v3, v5 op_sel:[0,1] op_sel_hi:[1,0]
	s_mov_b32 s4, 0x5040706
	v_perm_b32 v4, v3, v3, s4
; %bb.2:
	s_or_b64 exec, exec, s[0:1]
	s_mov_b32 s0, 0x7060302
	v_mov_b32_dpp v7, v4 row_shr:2 row_mask:0xf bank_mask:0xf
	v_cmp_lt_u32_e32 vcc, 1, v6
	v_perm_b32 v5, v3, v4, s0
	s_and_saveexec_b64 s[0:1], vcc
; %bb.3:
	v_pk_add_f16 v5, v5, v7 op_sel:[0,1] op_sel_hi:[1,0]
	s_mov_b32 s4, 0x5040706
	v_perm_b32 v4, v5, v5, s4
	v_mov_b32_e32 v3, v5
; %bb.4:
	s_or_b64 exec, exec, s[0:1]
	v_mov_b32_dpp v7, v4 row_shr:4 row_mask:0xf bank_mask:0xf
	v_cmp_lt_u32_e32 vcc, 3, v6
	s_and_saveexec_b64 s[0:1], vcc
; %bb.5:
	v_pk_add_f16 v5, v5, v7 op_sel:[0,1] op_sel_hi:[1,0]
	s_mov_b32 s4, 0x5040706
	v_perm_b32 v4, v5, v5, s4
	v_mov_b32_e32 v3, v5
; %bb.6:
	s_or_b64 exec, exec, s[0:1]
	v_mov_b32_dpp v7, v4 row_shr:8 row_mask:0xf bank_mask:0xf
	v_cmp_lt_u32_e32 vcc, 7, v6
	s_and_saveexec_b64 s[0:1], vcc
; %bb.7:
	v_pk_add_f16 v5, v5, v7 op_sel:[0,1] op_sel_hi:[1,0]
	s_mov_b32 s4, 0x5040706
	v_perm_b32 v4, v5, v5, s4
	v_mov_b32_e32 v3, v5
; %bb.8:
	s_or_b64 exec, exec, s[0:1]
	v_and_b32_e32 v7, 16, v2
	v_mov_b32_dpp v6, v4 row_bcast:15 row_mask:0xf bank_mask:0xf
	v_cmp_ne_u32_e32 vcc, 0, v7
	s_and_saveexec_b64 s[0:1], vcc
; %bb.9:
	v_pk_add_f16 v5, v5, v6 op_sel:[0,1] op_sel_hi:[1,0]
	s_mov_b32 s4, 0x5040706
	v_perm_b32 v4, v5, v5, s4
	v_mov_b32_e32 v3, v5
; %bb.10:
	s_or_b64 exec, exec, s[0:1]
	v_mov_b32_e32 v6, s3
	v_add_co_u32_e32 v0, vcc, s2, v0
	v_mov_b32_dpp v4, v4 row_bcast:31 row_mask:0xf bank_mask:0xf
	v_addc_co_u32_e32 v1, vcc, v6, v1, vcc
	v_pk_add_f16 v4, v5, v4 op_sel:[0,1] op_sel_hi:[1,0]
	v_cmp_lt_u32_e32 vcc, 31, v2
	v_cndmask_b32_e32 v2, v3, v4, vcc
	v_cndmask_b32_sdwa v3, v3, v4, vcc dst_sel:DWORD dst_unused:UNUSED_PAD src0_sel:WORD_1 src1_sel:WORD_1
	s_mov_b32 s0, 0x5040100
	v_perm_b32 v2, v2, v3, s0
	global_store_dword v[0:1], v2, off
	s_endpgm
	.section	.rodata,"a",@progbits
	.p2align	6, 0x0
	.amdhsa_kernel _Z26warp_inclusive_scan_kernelIN10test_utils16custom_test_typeI6__halfEELj256ELj64EENSt9enable_ifIXsr10test_utilsE35device_test_enabled_for_warp_size_vIXT1_EEEvE4typeEPT_S8_
		.amdhsa_group_segment_fixed_size 0
		.amdhsa_private_segment_fixed_size 0
		.amdhsa_kernarg_size 272
		.amdhsa_user_sgpr_count 6
		.amdhsa_user_sgpr_private_segment_buffer 1
		.amdhsa_user_sgpr_dispatch_ptr 0
		.amdhsa_user_sgpr_queue_ptr 0
		.amdhsa_user_sgpr_kernarg_segment_ptr 1
		.amdhsa_user_sgpr_dispatch_id 0
		.amdhsa_user_sgpr_flat_scratch_init 0
		.amdhsa_user_sgpr_private_segment_size 0
		.amdhsa_uses_dynamic_stack 0
		.amdhsa_system_sgpr_private_segment_wavefront_offset 0
		.amdhsa_system_sgpr_workgroup_id_x 1
		.amdhsa_system_sgpr_workgroup_id_y 0
		.amdhsa_system_sgpr_workgroup_id_z 0
		.amdhsa_system_sgpr_workgroup_info 0
		.amdhsa_system_vgpr_workitem_id 0
		.amdhsa_next_free_vgpr 8
		.amdhsa_next_free_sgpr 8
		.amdhsa_reserve_vcc 1
		.amdhsa_reserve_flat_scratch 0
		.amdhsa_float_round_mode_32 0
		.amdhsa_float_round_mode_16_64 0
		.amdhsa_float_denorm_mode_32 3
		.amdhsa_float_denorm_mode_16_64 3
		.amdhsa_dx10_clamp 1
		.amdhsa_ieee_mode 1
		.amdhsa_fp16_overflow 0
		.amdhsa_exception_fp_ieee_invalid_op 0
		.amdhsa_exception_fp_denorm_src 0
		.amdhsa_exception_fp_ieee_div_zero 0
		.amdhsa_exception_fp_ieee_overflow 0
		.amdhsa_exception_fp_ieee_underflow 0
		.amdhsa_exception_fp_ieee_inexact 0
		.amdhsa_exception_int_div_zero 0
	.end_amdhsa_kernel
	.section	.text._Z26warp_inclusive_scan_kernelIN10test_utils16custom_test_typeI6__halfEELj256ELj64EENSt9enable_ifIXsr10test_utilsE35device_test_enabled_for_warp_size_vIXT1_EEEvE4typeEPT_S8_,"axG",@progbits,_Z26warp_inclusive_scan_kernelIN10test_utils16custom_test_typeI6__halfEELj256ELj64EENSt9enable_ifIXsr10test_utilsE35device_test_enabled_for_warp_size_vIXT1_EEEvE4typeEPT_S8_,comdat
.Lfunc_end309:
	.size	_Z26warp_inclusive_scan_kernelIN10test_utils16custom_test_typeI6__halfEELj256ELj64EENSt9enable_ifIXsr10test_utilsE35device_test_enabled_for_warp_size_vIXT1_EEEvE4typeEPT_S8_, .Lfunc_end309-_Z26warp_inclusive_scan_kernelIN10test_utils16custom_test_typeI6__halfEELj256ELj64EENSt9enable_ifIXsr10test_utilsE35device_test_enabled_for_warp_size_vIXT1_EEEvE4typeEPT_S8_
                                        ; -- End function
	.set _Z26warp_inclusive_scan_kernelIN10test_utils16custom_test_typeI6__halfEELj256ELj64EENSt9enable_ifIXsr10test_utilsE35device_test_enabled_for_warp_size_vIXT1_EEEvE4typeEPT_S8_.num_vgpr, 8
	.set _Z26warp_inclusive_scan_kernelIN10test_utils16custom_test_typeI6__halfEELj256ELj64EENSt9enable_ifIXsr10test_utilsE35device_test_enabled_for_warp_size_vIXT1_EEEvE4typeEPT_S8_.num_agpr, 0
	.set _Z26warp_inclusive_scan_kernelIN10test_utils16custom_test_typeI6__halfEELj256ELj64EENSt9enable_ifIXsr10test_utilsE35device_test_enabled_for_warp_size_vIXT1_EEEvE4typeEPT_S8_.numbered_sgpr, 8
	.set _Z26warp_inclusive_scan_kernelIN10test_utils16custom_test_typeI6__halfEELj256ELj64EENSt9enable_ifIXsr10test_utilsE35device_test_enabled_for_warp_size_vIXT1_EEEvE4typeEPT_S8_.num_named_barrier, 0
	.set _Z26warp_inclusive_scan_kernelIN10test_utils16custom_test_typeI6__halfEELj256ELj64EENSt9enable_ifIXsr10test_utilsE35device_test_enabled_for_warp_size_vIXT1_EEEvE4typeEPT_S8_.private_seg_size, 0
	.set _Z26warp_inclusive_scan_kernelIN10test_utils16custom_test_typeI6__halfEELj256ELj64EENSt9enable_ifIXsr10test_utilsE35device_test_enabled_for_warp_size_vIXT1_EEEvE4typeEPT_S8_.uses_vcc, 1
	.set _Z26warp_inclusive_scan_kernelIN10test_utils16custom_test_typeI6__halfEELj256ELj64EENSt9enable_ifIXsr10test_utilsE35device_test_enabled_for_warp_size_vIXT1_EEEvE4typeEPT_S8_.uses_flat_scratch, 0
	.set _Z26warp_inclusive_scan_kernelIN10test_utils16custom_test_typeI6__halfEELj256ELj64EENSt9enable_ifIXsr10test_utilsE35device_test_enabled_for_warp_size_vIXT1_EEEvE4typeEPT_S8_.has_dyn_sized_stack, 0
	.set _Z26warp_inclusive_scan_kernelIN10test_utils16custom_test_typeI6__halfEELj256ELj64EENSt9enable_ifIXsr10test_utilsE35device_test_enabled_for_warp_size_vIXT1_EEEvE4typeEPT_S8_.has_recursion, 0
	.set _Z26warp_inclusive_scan_kernelIN10test_utils16custom_test_typeI6__halfEELj256ELj64EENSt9enable_ifIXsr10test_utilsE35device_test_enabled_for_warp_size_vIXT1_EEEvE4typeEPT_S8_.has_indirect_call, 0
	.section	.AMDGPU.csdata,"",@progbits
; Kernel info:
; codeLenInByte = 428
; TotalNumSgprs: 12
; NumVgprs: 8
; ScratchSize: 0
; MemoryBound: 0
; FloatMode: 240
; IeeeMode: 1
; LDSByteSize: 0 bytes/workgroup (compile time only)
; SGPRBlocks: 1
; VGPRBlocks: 1
; NumSGPRsForWavesPerEU: 12
; NumVGPRsForWavesPerEU: 8
; Occupancy: 10
; WaveLimiterHint : 0
; COMPUTE_PGM_RSRC2:SCRATCH_EN: 0
; COMPUTE_PGM_RSRC2:USER_SGPR: 6
; COMPUTE_PGM_RSRC2:TRAP_HANDLER: 0
; COMPUTE_PGM_RSRC2:TGID_X_EN: 1
; COMPUTE_PGM_RSRC2:TGID_Y_EN: 0
; COMPUTE_PGM_RSRC2:TGID_Z_EN: 0
; COMPUTE_PGM_RSRC2:TIDIG_COMP_CNT: 0
	.section	.text._Z26warp_inclusive_scan_kernelIN10test_utils16custom_test_typeI6__halfEELj128ELj32EENSt9enable_ifIXsr10test_utilsE35device_test_enabled_for_warp_size_vIXT1_EEEvE4typeEPT_S8_,"axG",@progbits,_Z26warp_inclusive_scan_kernelIN10test_utils16custom_test_typeI6__halfEELj128ELj32EENSt9enable_ifIXsr10test_utilsE35device_test_enabled_for_warp_size_vIXT1_EEEvE4typeEPT_S8_,comdat
	.protected	_Z26warp_inclusive_scan_kernelIN10test_utils16custom_test_typeI6__halfEELj128ELj32EENSt9enable_ifIXsr10test_utilsE35device_test_enabled_for_warp_size_vIXT1_EEEvE4typeEPT_S8_ ; -- Begin function _Z26warp_inclusive_scan_kernelIN10test_utils16custom_test_typeI6__halfEELj128ELj32EENSt9enable_ifIXsr10test_utilsE35device_test_enabled_for_warp_size_vIXT1_EEEvE4typeEPT_S8_
	.globl	_Z26warp_inclusive_scan_kernelIN10test_utils16custom_test_typeI6__halfEELj128ELj32EENSt9enable_ifIXsr10test_utilsE35device_test_enabled_for_warp_size_vIXT1_EEEvE4typeEPT_S8_
	.p2align	8
	.type	_Z26warp_inclusive_scan_kernelIN10test_utils16custom_test_typeI6__halfEELj128ELj32EENSt9enable_ifIXsr10test_utilsE35device_test_enabled_for_warp_size_vIXT1_EEEvE4typeEPT_S8_,@function
_Z26warp_inclusive_scan_kernelIN10test_utils16custom_test_typeI6__halfEELj128ELj32EENSt9enable_ifIXsr10test_utilsE35device_test_enabled_for_warp_size_vIXT1_EEEvE4typeEPT_S8_: ; @_Z26warp_inclusive_scan_kernelIN10test_utils16custom_test_typeI6__halfEELj128ELj32EENSt9enable_ifIXsr10test_utilsE35device_test_enabled_for_warp_size_vIXT1_EEEvE4typeEPT_S8_
; %bb.0:
	s_load_dword s7, s[4:5], 0x1c
	s_load_dwordx4 s[0:3], s[4:5], 0x0
	v_mov_b32_e32 v1, 0
	s_waitcnt lgkmcnt(0)
	s_and_b32 s4, s7, 0xffff
	s_mul_i32 s6, s6, s4
	v_add_u32_e32 v0, s6, v0
	v_lshlrev_b64 v[0:1], 2, v[0:1]
	v_mov_b32_e32 v3, s1
	v_add_co_u32_e32 v2, vcc, s0, v0
	v_addc_co_u32_e32 v3, vcc, v3, v1, vcc
	global_load_dword v4, v[2:3], off
	v_mbcnt_lo_u32_b32 v2, -1, 0
	v_mbcnt_hi_u32_b32 v2, -1, v2
	v_and_b32_e32 v6, 15, v2
	v_cmp_ne_u32_e32 vcc, 0, v6
	s_waitcnt vmcnt(0)
	v_alignbit_b32 v3, v4, v4, 16
	v_mov_b32_dpp v5, v4 row_shr:1 row_mask:0xf bank_mask:0xf
	s_and_saveexec_b64 s[0:1], vcc
; %bb.1:
	v_pk_add_f16 v3, v3, v5 op_sel:[0,1] op_sel_hi:[1,0]
	s_mov_b32 s4, 0x5040706
	v_perm_b32 v4, v3, v3, s4
; %bb.2:
	s_or_b64 exec, exec, s[0:1]
	s_mov_b32 s0, 0x7060302
	v_mov_b32_dpp v7, v4 row_shr:2 row_mask:0xf bank_mask:0xf
	v_cmp_lt_u32_e32 vcc, 1, v6
	v_perm_b32 v5, v3, v4, s0
	s_and_saveexec_b64 s[0:1], vcc
; %bb.3:
	v_pk_add_f16 v5, v5, v7 op_sel:[0,1] op_sel_hi:[1,0]
	s_mov_b32 s4, 0x5040706
	v_perm_b32 v4, v5, v5, s4
	v_mov_b32_e32 v3, v5
; %bb.4:
	s_or_b64 exec, exec, s[0:1]
	v_mov_b32_dpp v7, v4 row_shr:4 row_mask:0xf bank_mask:0xf
	v_cmp_lt_u32_e32 vcc, 3, v6
	s_and_saveexec_b64 s[0:1], vcc
; %bb.5:
	v_pk_add_f16 v5, v5, v7 op_sel:[0,1] op_sel_hi:[1,0]
	s_mov_b32 s4, 0x5040706
	v_perm_b32 v4, v5, v5, s4
	v_mov_b32_e32 v3, v5
; %bb.6:
	s_or_b64 exec, exec, s[0:1]
	v_mov_b32_dpp v7, v4 row_shr:8 row_mask:0xf bank_mask:0xf
	v_cmp_lt_u32_e32 vcc, 7, v6
	s_and_saveexec_b64 s[0:1], vcc
; %bb.7:
	v_pk_add_f16 v3, v5, v7 op_sel:[0,1] op_sel_hi:[1,0]
	s_mov_b32 s4, 0x5040706
	v_perm_b32 v4, v3, v3, s4
	v_mov_b32_e32 v5, v3
; %bb.8:
	s_or_b64 exec, exec, s[0:1]
	v_mov_b32_e32 v6, s3
	v_add_co_u32_e32 v0, vcc, s2, v0
	v_mov_b32_dpp v4, v4 row_bcast:15 row_mask:0xf bank_mask:0xf
	v_and_b32_e32 v2, 16, v2
	v_addc_co_u32_e32 v1, vcc, v6, v1, vcc
	v_pk_add_f16 v4, v5, v4 op_sel:[0,1] op_sel_hi:[1,0]
	v_cmp_eq_u32_e32 vcc, 0, v2
	v_cndmask_b32_e32 v2, v4, v3, vcc
	v_cndmask_b32_sdwa v3, v4, v3, vcc dst_sel:DWORD dst_unused:UNUSED_PAD src0_sel:WORD_1 src1_sel:WORD_1
	s_mov_b32 s0, 0x5040100
	v_perm_b32 v2, v2, v3, s0
	global_store_dword v[0:1], v2, off
	s_endpgm
	.section	.rodata,"a",@progbits
	.p2align	6, 0x0
	.amdhsa_kernel _Z26warp_inclusive_scan_kernelIN10test_utils16custom_test_typeI6__halfEELj128ELj32EENSt9enable_ifIXsr10test_utilsE35device_test_enabled_for_warp_size_vIXT1_EEEvE4typeEPT_S8_
		.amdhsa_group_segment_fixed_size 0
		.amdhsa_private_segment_fixed_size 0
		.amdhsa_kernarg_size 272
		.amdhsa_user_sgpr_count 6
		.amdhsa_user_sgpr_private_segment_buffer 1
		.amdhsa_user_sgpr_dispatch_ptr 0
		.amdhsa_user_sgpr_queue_ptr 0
		.amdhsa_user_sgpr_kernarg_segment_ptr 1
		.amdhsa_user_sgpr_dispatch_id 0
		.amdhsa_user_sgpr_flat_scratch_init 0
		.amdhsa_user_sgpr_private_segment_size 0
		.amdhsa_uses_dynamic_stack 0
		.amdhsa_system_sgpr_private_segment_wavefront_offset 0
		.amdhsa_system_sgpr_workgroup_id_x 1
		.amdhsa_system_sgpr_workgroup_id_y 0
		.amdhsa_system_sgpr_workgroup_id_z 0
		.amdhsa_system_sgpr_workgroup_info 0
		.amdhsa_system_vgpr_workitem_id 0
		.amdhsa_next_free_vgpr 8
		.amdhsa_next_free_sgpr 8
		.amdhsa_reserve_vcc 1
		.amdhsa_reserve_flat_scratch 0
		.amdhsa_float_round_mode_32 0
		.amdhsa_float_round_mode_16_64 0
		.amdhsa_float_denorm_mode_32 3
		.amdhsa_float_denorm_mode_16_64 3
		.amdhsa_dx10_clamp 1
		.amdhsa_ieee_mode 1
		.amdhsa_fp16_overflow 0
		.amdhsa_exception_fp_ieee_invalid_op 0
		.amdhsa_exception_fp_denorm_src 0
		.amdhsa_exception_fp_ieee_div_zero 0
		.amdhsa_exception_fp_ieee_overflow 0
		.amdhsa_exception_fp_ieee_underflow 0
		.amdhsa_exception_fp_ieee_inexact 0
		.amdhsa_exception_int_div_zero 0
	.end_amdhsa_kernel
	.section	.text._Z26warp_inclusive_scan_kernelIN10test_utils16custom_test_typeI6__halfEELj128ELj32EENSt9enable_ifIXsr10test_utilsE35device_test_enabled_for_warp_size_vIXT1_EEEvE4typeEPT_S8_,"axG",@progbits,_Z26warp_inclusive_scan_kernelIN10test_utils16custom_test_typeI6__halfEELj128ELj32EENSt9enable_ifIXsr10test_utilsE35device_test_enabled_for_warp_size_vIXT1_EEEvE4typeEPT_S8_,comdat
.Lfunc_end310:
	.size	_Z26warp_inclusive_scan_kernelIN10test_utils16custom_test_typeI6__halfEELj128ELj32EENSt9enable_ifIXsr10test_utilsE35device_test_enabled_for_warp_size_vIXT1_EEEvE4typeEPT_S8_, .Lfunc_end310-_Z26warp_inclusive_scan_kernelIN10test_utils16custom_test_typeI6__halfEELj128ELj32EENSt9enable_ifIXsr10test_utilsE35device_test_enabled_for_warp_size_vIXT1_EEEvE4typeEPT_S8_
                                        ; -- End function
	.set _Z26warp_inclusive_scan_kernelIN10test_utils16custom_test_typeI6__halfEELj128ELj32EENSt9enable_ifIXsr10test_utilsE35device_test_enabled_for_warp_size_vIXT1_EEEvE4typeEPT_S8_.num_vgpr, 8
	.set _Z26warp_inclusive_scan_kernelIN10test_utils16custom_test_typeI6__halfEELj128ELj32EENSt9enable_ifIXsr10test_utilsE35device_test_enabled_for_warp_size_vIXT1_EEEvE4typeEPT_S8_.num_agpr, 0
	.set _Z26warp_inclusive_scan_kernelIN10test_utils16custom_test_typeI6__halfEELj128ELj32EENSt9enable_ifIXsr10test_utilsE35device_test_enabled_for_warp_size_vIXT1_EEEvE4typeEPT_S8_.numbered_sgpr, 8
	.set _Z26warp_inclusive_scan_kernelIN10test_utils16custom_test_typeI6__halfEELj128ELj32EENSt9enable_ifIXsr10test_utilsE35device_test_enabled_for_warp_size_vIXT1_EEEvE4typeEPT_S8_.num_named_barrier, 0
	.set _Z26warp_inclusive_scan_kernelIN10test_utils16custom_test_typeI6__halfEELj128ELj32EENSt9enable_ifIXsr10test_utilsE35device_test_enabled_for_warp_size_vIXT1_EEEvE4typeEPT_S8_.private_seg_size, 0
	.set _Z26warp_inclusive_scan_kernelIN10test_utils16custom_test_typeI6__halfEELj128ELj32EENSt9enable_ifIXsr10test_utilsE35device_test_enabled_for_warp_size_vIXT1_EEEvE4typeEPT_S8_.uses_vcc, 1
	.set _Z26warp_inclusive_scan_kernelIN10test_utils16custom_test_typeI6__halfEELj128ELj32EENSt9enable_ifIXsr10test_utilsE35device_test_enabled_for_warp_size_vIXT1_EEEvE4typeEPT_S8_.uses_flat_scratch, 0
	.set _Z26warp_inclusive_scan_kernelIN10test_utils16custom_test_typeI6__halfEELj128ELj32EENSt9enable_ifIXsr10test_utilsE35device_test_enabled_for_warp_size_vIXT1_EEEvE4typeEPT_S8_.has_dyn_sized_stack, 0
	.set _Z26warp_inclusive_scan_kernelIN10test_utils16custom_test_typeI6__halfEELj128ELj32EENSt9enable_ifIXsr10test_utilsE35device_test_enabled_for_warp_size_vIXT1_EEEvE4typeEPT_S8_.has_recursion, 0
	.set _Z26warp_inclusive_scan_kernelIN10test_utils16custom_test_typeI6__halfEELj128ELj32EENSt9enable_ifIXsr10test_utilsE35device_test_enabled_for_warp_size_vIXT1_EEEvE4typeEPT_S8_.has_indirect_call, 0
	.section	.AMDGPU.csdata,"",@progbits
; Kernel info:
; codeLenInByte = 380
; TotalNumSgprs: 12
; NumVgprs: 8
; ScratchSize: 0
; MemoryBound: 0
; FloatMode: 240
; IeeeMode: 1
; LDSByteSize: 0 bytes/workgroup (compile time only)
; SGPRBlocks: 1
; VGPRBlocks: 1
; NumSGPRsForWavesPerEU: 12
; NumVGPRsForWavesPerEU: 8
; Occupancy: 10
; WaveLimiterHint : 0
; COMPUTE_PGM_RSRC2:SCRATCH_EN: 0
; COMPUTE_PGM_RSRC2:USER_SGPR: 6
; COMPUTE_PGM_RSRC2:TRAP_HANDLER: 0
; COMPUTE_PGM_RSRC2:TGID_X_EN: 1
; COMPUTE_PGM_RSRC2:TGID_Y_EN: 0
; COMPUTE_PGM_RSRC2:TGID_Z_EN: 0
; COMPUTE_PGM_RSRC2:TIDIG_COMP_CNT: 0
	.section	.text._Z26warp_inclusive_scan_kernelIN10test_utils16custom_test_typeI6__halfEELj64ELj16EENSt9enable_ifIXsr10test_utilsE35device_test_enabled_for_warp_size_vIXT1_EEEvE4typeEPT_S8_,"axG",@progbits,_Z26warp_inclusive_scan_kernelIN10test_utils16custom_test_typeI6__halfEELj64ELj16EENSt9enable_ifIXsr10test_utilsE35device_test_enabled_for_warp_size_vIXT1_EEEvE4typeEPT_S8_,comdat
	.protected	_Z26warp_inclusive_scan_kernelIN10test_utils16custom_test_typeI6__halfEELj64ELj16EENSt9enable_ifIXsr10test_utilsE35device_test_enabled_for_warp_size_vIXT1_EEEvE4typeEPT_S8_ ; -- Begin function _Z26warp_inclusive_scan_kernelIN10test_utils16custom_test_typeI6__halfEELj64ELj16EENSt9enable_ifIXsr10test_utilsE35device_test_enabled_for_warp_size_vIXT1_EEEvE4typeEPT_S8_
	.globl	_Z26warp_inclusive_scan_kernelIN10test_utils16custom_test_typeI6__halfEELj64ELj16EENSt9enable_ifIXsr10test_utilsE35device_test_enabled_for_warp_size_vIXT1_EEEvE4typeEPT_S8_
	.p2align	8
	.type	_Z26warp_inclusive_scan_kernelIN10test_utils16custom_test_typeI6__halfEELj64ELj16EENSt9enable_ifIXsr10test_utilsE35device_test_enabled_for_warp_size_vIXT1_EEEvE4typeEPT_S8_,@function
_Z26warp_inclusive_scan_kernelIN10test_utils16custom_test_typeI6__halfEELj64ELj16EENSt9enable_ifIXsr10test_utilsE35device_test_enabled_for_warp_size_vIXT1_EEEvE4typeEPT_S8_: ; @_Z26warp_inclusive_scan_kernelIN10test_utils16custom_test_typeI6__halfEELj64ELj16EENSt9enable_ifIXsr10test_utilsE35device_test_enabled_for_warp_size_vIXT1_EEEvE4typeEPT_S8_
; %bb.0:
	s_load_dword s7, s[4:5], 0x1c
	s_load_dwordx4 s[0:3], s[4:5], 0x0
	v_mov_b32_e32 v1, 0
	s_waitcnt lgkmcnt(0)
	s_and_b32 s4, s7, 0xffff
	s_mul_i32 s6, s6, s4
	v_add_u32_e32 v0, s6, v0
	v_lshlrev_b64 v[0:1], 2, v[0:1]
	v_mov_b32_e32 v3, s1
	v_add_co_u32_e32 v2, vcc, s0, v0
	v_addc_co_u32_e32 v3, vcc, v3, v1, vcc
	global_load_dword v4, v[2:3], off
	v_mbcnt_lo_u32_b32 v2, -1, 0
	v_mbcnt_hi_u32_b32 v2, -1, v2
	v_and_b32_e32 v2, 15, v2
	v_cmp_ne_u32_e32 vcc, 0, v2
	s_waitcnt vmcnt(0)
	v_alignbit_b32 v3, v4, v4, 16
	v_mov_b32_dpp v5, v4 row_shr:1 row_mask:0xf bank_mask:0xf
	s_and_saveexec_b64 s[0:1], vcc
; %bb.1:
	v_pk_add_f16 v3, v3, v5 op_sel:[0,1] op_sel_hi:[1,0]
	s_mov_b32 s4, 0x5040706
	v_perm_b32 v4, v3, v3, s4
; %bb.2:
	s_or_b64 exec, exec, s[0:1]
	s_mov_b32 s0, 0x7060302
	v_mov_b32_dpp v6, v4 row_shr:2 row_mask:0xf bank_mask:0xf
	v_cmp_lt_u32_e32 vcc, 1, v2
	v_perm_b32 v5, v3, v4, s0
	s_and_saveexec_b64 s[0:1], vcc
; %bb.3:
	v_pk_add_f16 v5, v5, v6 op_sel:[0,1] op_sel_hi:[1,0]
	s_mov_b32 s4, 0x5040706
	v_perm_b32 v4, v5, v5, s4
	v_mov_b32_e32 v3, v5
; %bb.4:
	s_or_b64 exec, exec, s[0:1]
	v_mov_b32_dpp v6, v4 row_shr:4 row_mask:0xf bank_mask:0xf
	v_cmp_lt_u32_e32 vcc, 3, v2
	s_and_saveexec_b64 s[0:1], vcc
; %bb.5:
	v_pk_add_f16 v5, v5, v6 op_sel:[0,1] op_sel_hi:[1,0]
	s_mov_b32 s4, 0x5040706
	v_perm_b32 v4, v5, v5, s4
	v_mov_b32_e32 v3, v5
; %bb.6:
	s_or_b64 exec, exec, s[0:1]
	v_mov_b32_e32 v6, s3
	v_add_co_u32_e32 v0, vcc, s2, v0
	v_mov_b32_dpp v4, v4 row_shr:8 row_mask:0xf bank_mask:0xf
	v_addc_co_u32_e32 v1, vcc, v6, v1, vcc
	v_pk_add_f16 v4, v5, v4 op_sel:[0,1] op_sel_hi:[1,0]
	v_cmp_lt_u32_e32 vcc, 7, v2
	v_cndmask_b32_e32 v2, v3, v4, vcc
	v_cndmask_b32_sdwa v3, v3, v4, vcc dst_sel:DWORD dst_unused:UNUSED_PAD src0_sel:WORD_1 src1_sel:WORD_1
	s_mov_b32 s0, 0x5040100
	v_perm_b32 v2, v2, v3, s0
	global_store_dword v[0:1], v2, off
	s_endpgm
	.section	.rodata,"a",@progbits
	.p2align	6, 0x0
	.amdhsa_kernel _Z26warp_inclusive_scan_kernelIN10test_utils16custom_test_typeI6__halfEELj64ELj16EENSt9enable_ifIXsr10test_utilsE35device_test_enabled_for_warp_size_vIXT1_EEEvE4typeEPT_S8_
		.amdhsa_group_segment_fixed_size 0
		.amdhsa_private_segment_fixed_size 0
		.amdhsa_kernarg_size 272
		.amdhsa_user_sgpr_count 6
		.amdhsa_user_sgpr_private_segment_buffer 1
		.amdhsa_user_sgpr_dispatch_ptr 0
		.amdhsa_user_sgpr_queue_ptr 0
		.amdhsa_user_sgpr_kernarg_segment_ptr 1
		.amdhsa_user_sgpr_dispatch_id 0
		.amdhsa_user_sgpr_flat_scratch_init 0
		.amdhsa_user_sgpr_private_segment_size 0
		.amdhsa_uses_dynamic_stack 0
		.amdhsa_system_sgpr_private_segment_wavefront_offset 0
		.amdhsa_system_sgpr_workgroup_id_x 1
		.amdhsa_system_sgpr_workgroup_id_y 0
		.amdhsa_system_sgpr_workgroup_id_z 0
		.amdhsa_system_sgpr_workgroup_info 0
		.amdhsa_system_vgpr_workitem_id 0
		.amdhsa_next_free_vgpr 7
		.amdhsa_next_free_sgpr 8
		.amdhsa_reserve_vcc 1
		.amdhsa_reserve_flat_scratch 0
		.amdhsa_float_round_mode_32 0
		.amdhsa_float_round_mode_16_64 0
		.amdhsa_float_denorm_mode_32 3
		.amdhsa_float_denorm_mode_16_64 3
		.amdhsa_dx10_clamp 1
		.amdhsa_ieee_mode 1
		.amdhsa_fp16_overflow 0
		.amdhsa_exception_fp_ieee_invalid_op 0
		.amdhsa_exception_fp_denorm_src 0
		.amdhsa_exception_fp_ieee_div_zero 0
		.amdhsa_exception_fp_ieee_overflow 0
		.amdhsa_exception_fp_ieee_underflow 0
		.amdhsa_exception_fp_ieee_inexact 0
		.amdhsa_exception_int_div_zero 0
	.end_amdhsa_kernel
	.section	.text._Z26warp_inclusive_scan_kernelIN10test_utils16custom_test_typeI6__halfEELj64ELj16EENSt9enable_ifIXsr10test_utilsE35device_test_enabled_for_warp_size_vIXT1_EEEvE4typeEPT_S8_,"axG",@progbits,_Z26warp_inclusive_scan_kernelIN10test_utils16custom_test_typeI6__halfEELj64ELj16EENSt9enable_ifIXsr10test_utilsE35device_test_enabled_for_warp_size_vIXT1_EEEvE4typeEPT_S8_,comdat
.Lfunc_end311:
	.size	_Z26warp_inclusive_scan_kernelIN10test_utils16custom_test_typeI6__halfEELj64ELj16EENSt9enable_ifIXsr10test_utilsE35device_test_enabled_for_warp_size_vIXT1_EEEvE4typeEPT_S8_, .Lfunc_end311-_Z26warp_inclusive_scan_kernelIN10test_utils16custom_test_typeI6__halfEELj64ELj16EENSt9enable_ifIXsr10test_utilsE35device_test_enabled_for_warp_size_vIXT1_EEEvE4typeEPT_S8_
                                        ; -- End function
	.set _Z26warp_inclusive_scan_kernelIN10test_utils16custom_test_typeI6__halfEELj64ELj16EENSt9enable_ifIXsr10test_utilsE35device_test_enabled_for_warp_size_vIXT1_EEEvE4typeEPT_S8_.num_vgpr, 7
	.set _Z26warp_inclusive_scan_kernelIN10test_utils16custom_test_typeI6__halfEELj64ELj16EENSt9enable_ifIXsr10test_utilsE35device_test_enabled_for_warp_size_vIXT1_EEEvE4typeEPT_S8_.num_agpr, 0
	.set _Z26warp_inclusive_scan_kernelIN10test_utils16custom_test_typeI6__halfEELj64ELj16EENSt9enable_ifIXsr10test_utilsE35device_test_enabled_for_warp_size_vIXT1_EEEvE4typeEPT_S8_.numbered_sgpr, 8
	.set _Z26warp_inclusive_scan_kernelIN10test_utils16custom_test_typeI6__halfEELj64ELj16EENSt9enable_ifIXsr10test_utilsE35device_test_enabled_for_warp_size_vIXT1_EEEvE4typeEPT_S8_.num_named_barrier, 0
	.set _Z26warp_inclusive_scan_kernelIN10test_utils16custom_test_typeI6__halfEELj64ELj16EENSt9enable_ifIXsr10test_utilsE35device_test_enabled_for_warp_size_vIXT1_EEEvE4typeEPT_S8_.private_seg_size, 0
	.set _Z26warp_inclusive_scan_kernelIN10test_utils16custom_test_typeI6__halfEELj64ELj16EENSt9enable_ifIXsr10test_utilsE35device_test_enabled_for_warp_size_vIXT1_EEEvE4typeEPT_S8_.uses_vcc, 1
	.set _Z26warp_inclusive_scan_kernelIN10test_utils16custom_test_typeI6__halfEELj64ELj16EENSt9enable_ifIXsr10test_utilsE35device_test_enabled_for_warp_size_vIXT1_EEEvE4typeEPT_S8_.uses_flat_scratch, 0
	.set _Z26warp_inclusive_scan_kernelIN10test_utils16custom_test_typeI6__halfEELj64ELj16EENSt9enable_ifIXsr10test_utilsE35device_test_enabled_for_warp_size_vIXT1_EEEvE4typeEPT_S8_.has_dyn_sized_stack, 0
	.set _Z26warp_inclusive_scan_kernelIN10test_utils16custom_test_typeI6__halfEELj64ELj16EENSt9enable_ifIXsr10test_utilsE35device_test_enabled_for_warp_size_vIXT1_EEEvE4typeEPT_S8_.has_recursion, 0
	.set _Z26warp_inclusive_scan_kernelIN10test_utils16custom_test_typeI6__halfEELj64ELj16EENSt9enable_ifIXsr10test_utilsE35device_test_enabled_for_warp_size_vIXT1_EEEvE4typeEPT_S8_.has_indirect_call, 0
	.section	.AMDGPU.csdata,"",@progbits
; Kernel info:
; codeLenInByte = 328
; TotalNumSgprs: 12
; NumVgprs: 7
; ScratchSize: 0
; MemoryBound: 0
; FloatMode: 240
; IeeeMode: 1
; LDSByteSize: 0 bytes/workgroup (compile time only)
; SGPRBlocks: 1
; VGPRBlocks: 1
; NumSGPRsForWavesPerEU: 12
; NumVGPRsForWavesPerEU: 7
; Occupancy: 10
; WaveLimiterHint : 0
; COMPUTE_PGM_RSRC2:SCRATCH_EN: 0
; COMPUTE_PGM_RSRC2:USER_SGPR: 6
; COMPUTE_PGM_RSRC2:TRAP_HANDLER: 0
; COMPUTE_PGM_RSRC2:TGID_X_EN: 1
; COMPUTE_PGM_RSRC2:TGID_Y_EN: 0
; COMPUTE_PGM_RSRC2:TGID_Z_EN: 0
; COMPUTE_PGM_RSRC2:TIDIG_COMP_CNT: 0
	.section	.text._Z26warp_inclusive_scan_kernelIN10test_utils16custom_test_typeI6__halfEELj32ELj8EENSt9enable_ifIXsr10test_utilsE35device_test_enabled_for_warp_size_vIXT1_EEEvE4typeEPT_S8_,"axG",@progbits,_Z26warp_inclusive_scan_kernelIN10test_utils16custom_test_typeI6__halfEELj32ELj8EENSt9enable_ifIXsr10test_utilsE35device_test_enabled_for_warp_size_vIXT1_EEEvE4typeEPT_S8_,comdat
	.protected	_Z26warp_inclusive_scan_kernelIN10test_utils16custom_test_typeI6__halfEELj32ELj8EENSt9enable_ifIXsr10test_utilsE35device_test_enabled_for_warp_size_vIXT1_EEEvE4typeEPT_S8_ ; -- Begin function _Z26warp_inclusive_scan_kernelIN10test_utils16custom_test_typeI6__halfEELj32ELj8EENSt9enable_ifIXsr10test_utilsE35device_test_enabled_for_warp_size_vIXT1_EEEvE4typeEPT_S8_
	.globl	_Z26warp_inclusive_scan_kernelIN10test_utils16custom_test_typeI6__halfEELj32ELj8EENSt9enable_ifIXsr10test_utilsE35device_test_enabled_for_warp_size_vIXT1_EEEvE4typeEPT_S8_
	.p2align	8
	.type	_Z26warp_inclusive_scan_kernelIN10test_utils16custom_test_typeI6__halfEELj32ELj8EENSt9enable_ifIXsr10test_utilsE35device_test_enabled_for_warp_size_vIXT1_EEEvE4typeEPT_S8_,@function
_Z26warp_inclusive_scan_kernelIN10test_utils16custom_test_typeI6__halfEELj32ELj8EENSt9enable_ifIXsr10test_utilsE35device_test_enabled_for_warp_size_vIXT1_EEEvE4typeEPT_S8_: ; @_Z26warp_inclusive_scan_kernelIN10test_utils16custom_test_typeI6__halfEELj32ELj8EENSt9enable_ifIXsr10test_utilsE35device_test_enabled_for_warp_size_vIXT1_EEEvE4typeEPT_S8_
; %bb.0:
	s_load_dword s7, s[4:5], 0x1c
	s_load_dwordx4 s[0:3], s[4:5], 0x0
	v_mov_b32_e32 v1, 0
	s_waitcnt lgkmcnt(0)
	s_and_b32 s4, s7, 0xffff
	s_mul_i32 s6, s6, s4
	v_add_u32_e32 v0, s6, v0
	v_lshlrev_b64 v[0:1], 2, v[0:1]
	v_mov_b32_e32 v3, s1
	v_add_co_u32_e32 v2, vcc, s0, v0
	v_addc_co_u32_e32 v3, vcc, v3, v1, vcc
	global_load_dword v4, v[2:3], off
	v_mbcnt_lo_u32_b32 v2, -1, 0
	v_mbcnt_hi_u32_b32 v2, -1, v2
	v_and_b32_e32 v2, 7, v2
	v_cmp_ne_u32_e32 vcc, 0, v2
	s_waitcnt vmcnt(0)
	v_alignbit_b32 v3, v4, v4, 16
	v_mov_b32_dpp v5, v4 row_shr:1 row_mask:0xf bank_mask:0xf
	s_and_saveexec_b64 s[0:1], vcc
; %bb.1:
	v_pk_add_f16 v3, v3, v5 op_sel:[0,1] op_sel_hi:[1,0]
	s_mov_b32 s4, 0x5040706
	v_perm_b32 v4, v3, v3, s4
; %bb.2:
	s_or_b64 exec, exec, s[0:1]
	s_mov_b32 s0, 0x7060302
	v_mov_b32_dpp v6, v4 row_shr:2 row_mask:0xf bank_mask:0xf
	v_cmp_lt_u32_e32 vcc, 1, v2
	v_perm_b32 v5, v3, v4, s0
	s_and_saveexec_b64 s[0:1], vcc
; %bb.3:
	v_pk_add_f16 v5, v5, v6 op_sel:[0,1] op_sel_hi:[1,0]
	s_mov_b32 s4, 0x5040706
	v_perm_b32 v4, v5, v5, s4
	v_mov_b32_e32 v3, v5
; %bb.4:
	s_or_b64 exec, exec, s[0:1]
	v_mov_b32_e32 v6, s3
	v_add_co_u32_e32 v0, vcc, s2, v0
	v_mov_b32_dpp v4, v4 row_shr:4 row_mask:0xf bank_mask:0xf
	v_addc_co_u32_e32 v1, vcc, v6, v1, vcc
	v_pk_add_f16 v4, v5, v4 op_sel:[0,1] op_sel_hi:[1,0]
	v_cmp_lt_u32_e32 vcc, 3, v2
	v_cndmask_b32_e32 v2, v3, v4, vcc
	v_cndmask_b32_sdwa v3, v3, v4, vcc dst_sel:DWORD dst_unused:UNUSED_PAD src0_sel:WORD_1 src1_sel:WORD_1
	s_mov_b32 s0, 0x5040100
	v_perm_b32 v2, v2, v3, s0
	global_store_dword v[0:1], v2, off
	s_endpgm
	.section	.rodata,"a",@progbits
	.p2align	6, 0x0
	.amdhsa_kernel _Z26warp_inclusive_scan_kernelIN10test_utils16custom_test_typeI6__halfEELj32ELj8EENSt9enable_ifIXsr10test_utilsE35device_test_enabled_for_warp_size_vIXT1_EEEvE4typeEPT_S8_
		.amdhsa_group_segment_fixed_size 0
		.amdhsa_private_segment_fixed_size 0
		.amdhsa_kernarg_size 272
		.amdhsa_user_sgpr_count 6
		.amdhsa_user_sgpr_private_segment_buffer 1
		.amdhsa_user_sgpr_dispatch_ptr 0
		.amdhsa_user_sgpr_queue_ptr 0
		.amdhsa_user_sgpr_kernarg_segment_ptr 1
		.amdhsa_user_sgpr_dispatch_id 0
		.amdhsa_user_sgpr_flat_scratch_init 0
		.amdhsa_user_sgpr_private_segment_size 0
		.amdhsa_uses_dynamic_stack 0
		.amdhsa_system_sgpr_private_segment_wavefront_offset 0
		.amdhsa_system_sgpr_workgroup_id_x 1
		.amdhsa_system_sgpr_workgroup_id_y 0
		.amdhsa_system_sgpr_workgroup_id_z 0
		.amdhsa_system_sgpr_workgroup_info 0
		.amdhsa_system_vgpr_workitem_id 0
		.amdhsa_next_free_vgpr 7
		.amdhsa_next_free_sgpr 8
		.amdhsa_reserve_vcc 1
		.amdhsa_reserve_flat_scratch 0
		.amdhsa_float_round_mode_32 0
		.amdhsa_float_round_mode_16_64 0
		.amdhsa_float_denorm_mode_32 3
		.amdhsa_float_denorm_mode_16_64 3
		.amdhsa_dx10_clamp 1
		.amdhsa_ieee_mode 1
		.amdhsa_fp16_overflow 0
		.amdhsa_exception_fp_ieee_invalid_op 0
		.amdhsa_exception_fp_denorm_src 0
		.amdhsa_exception_fp_ieee_div_zero 0
		.amdhsa_exception_fp_ieee_overflow 0
		.amdhsa_exception_fp_ieee_underflow 0
		.amdhsa_exception_fp_ieee_inexact 0
		.amdhsa_exception_int_div_zero 0
	.end_amdhsa_kernel
	.section	.text._Z26warp_inclusive_scan_kernelIN10test_utils16custom_test_typeI6__halfEELj32ELj8EENSt9enable_ifIXsr10test_utilsE35device_test_enabled_for_warp_size_vIXT1_EEEvE4typeEPT_S8_,"axG",@progbits,_Z26warp_inclusive_scan_kernelIN10test_utils16custom_test_typeI6__halfEELj32ELj8EENSt9enable_ifIXsr10test_utilsE35device_test_enabled_for_warp_size_vIXT1_EEEvE4typeEPT_S8_,comdat
.Lfunc_end312:
	.size	_Z26warp_inclusive_scan_kernelIN10test_utils16custom_test_typeI6__halfEELj32ELj8EENSt9enable_ifIXsr10test_utilsE35device_test_enabled_for_warp_size_vIXT1_EEEvE4typeEPT_S8_, .Lfunc_end312-_Z26warp_inclusive_scan_kernelIN10test_utils16custom_test_typeI6__halfEELj32ELj8EENSt9enable_ifIXsr10test_utilsE35device_test_enabled_for_warp_size_vIXT1_EEEvE4typeEPT_S8_
                                        ; -- End function
	.set _Z26warp_inclusive_scan_kernelIN10test_utils16custom_test_typeI6__halfEELj32ELj8EENSt9enable_ifIXsr10test_utilsE35device_test_enabled_for_warp_size_vIXT1_EEEvE4typeEPT_S8_.num_vgpr, 7
	.set _Z26warp_inclusive_scan_kernelIN10test_utils16custom_test_typeI6__halfEELj32ELj8EENSt9enable_ifIXsr10test_utilsE35device_test_enabled_for_warp_size_vIXT1_EEEvE4typeEPT_S8_.num_agpr, 0
	.set _Z26warp_inclusive_scan_kernelIN10test_utils16custom_test_typeI6__halfEELj32ELj8EENSt9enable_ifIXsr10test_utilsE35device_test_enabled_for_warp_size_vIXT1_EEEvE4typeEPT_S8_.numbered_sgpr, 8
	.set _Z26warp_inclusive_scan_kernelIN10test_utils16custom_test_typeI6__halfEELj32ELj8EENSt9enable_ifIXsr10test_utilsE35device_test_enabled_for_warp_size_vIXT1_EEEvE4typeEPT_S8_.num_named_barrier, 0
	.set _Z26warp_inclusive_scan_kernelIN10test_utils16custom_test_typeI6__halfEELj32ELj8EENSt9enable_ifIXsr10test_utilsE35device_test_enabled_for_warp_size_vIXT1_EEEvE4typeEPT_S8_.private_seg_size, 0
	.set _Z26warp_inclusive_scan_kernelIN10test_utils16custom_test_typeI6__halfEELj32ELj8EENSt9enable_ifIXsr10test_utilsE35device_test_enabled_for_warp_size_vIXT1_EEEvE4typeEPT_S8_.uses_vcc, 1
	.set _Z26warp_inclusive_scan_kernelIN10test_utils16custom_test_typeI6__halfEELj32ELj8EENSt9enable_ifIXsr10test_utilsE35device_test_enabled_for_warp_size_vIXT1_EEEvE4typeEPT_S8_.uses_flat_scratch, 0
	.set _Z26warp_inclusive_scan_kernelIN10test_utils16custom_test_typeI6__halfEELj32ELj8EENSt9enable_ifIXsr10test_utilsE35device_test_enabled_for_warp_size_vIXT1_EEEvE4typeEPT_S8_.has_dyn_sized_stack, 0
	.set _Z26warp_inclusive_scan_kernelIN10test_utils16custom_test_typeI6__halfEELj32ELj8EENSt9enable_ifIXsr10test_utilsE35device_test_enabled_for_warp_size_vIXT1_EEEvE4typeEPT_S8_.has_recursion, 0
	.set _Z26warp_inclusive_scan_kernelIN10test_utils16custom_test_typeI6__halfEELj32ELj8EENSt9enable_ifIXsr10test_utilsE35device_test_enabled_for_warp_size_vIXT1_EEEvE4typeEPT_S8_.has_indirect_call, 0
	.section	.AMDGPU.csdata,"",@progbits
; Kernel info:
; codeLenInByte = 280
; TotalNumSgprs: 12
; NumVgprs: 7
; ScratchSize: 0
; MemoryBound: 0
; FloatMode: 240
; IeeeMode: 1
; LDSByteSize: 0 bytes/workgroup (compile time only)
; SGPRBlocks: 1
; VGPRBlocks: 1
; NumSGPRsForWavesPerEU: 12
; NumVGPRsForWavesPerEU: 7
; Occupancy: 10
; WaveLimiterHint : 0
; COMPUTE_PGM_RSRC2:SCRATCH_EN: 0
; COMPUTE_PGM_RSRC2:USER_SGPR: 6
; COMPUTE_PGM_RSRC2:TRAP_HANDLER: 0
; COMPUTE_PGM_RSRC2:TGID_X_EN: 1
; COMPUTE_PGM_RSRC2:TGID_Y_EN: 0
; COMPUTE_PGM_RSRC2:TGID_Z_EN: 0
; COMPUTE_PGM_RSRC2:TIDIG_COMP_CNT: 0
	.section	.text._Z26warp_inclusive_scan_kernelIN10test_utils16custom_test_typeI6__halfEELj64ELj8EENSt9enable_ifIXsr10test_utilsE35device_test_enabled_for_warp_size_vIXT1_EEEvE4typeEPT_S8_,"axG",@progbits,_Z26warp_inclusive_scan_kernelIN10test_utils16custom_test_typeI6__halfEELj64ELj8EENSt9enable_ifIXsr10test_utilsE35device_test_enabled_for_warp_size_vIXT1_EEEvE4typeEPT_S8_,comdat
	.protected	_Z26warp_inclusive_scan_kernelIN10test_utils16custom_test_typeI6__halfEELj64ELj8EENSt9enable_ifIXsr10test_utilsE35device_test_enabled_for_warp_size_vIXT1_EEEvE4typeEPT_S8_ ; -- Begin function _Z26warp_inclusive_scan_kernelIN10test_utils16custom_test_typeI6__halfEELj64ELj8EENSt9enable_ifIXsr10test_utilsE35device_test_enabled_for_warp_size_vIXT1_EEEvE4typeEPT_S8_
	.globl	_Z26warp_inclusive_scan_kernelIN10test_utils16custom_test_typeI6__halfEELj64ELj8EENSt9enable_ifIXsr10test_utilsE35device_test_enabled_for_warp_size_vIXT1_EEEvE4typeEPT_S8_
	.p2align	8
	.type	_Z26warp_inclusive_scan_kernelIN10test_utils16custom_test_typeI6__halfEELj64ELj8EENSt9enable_ifIXsr10test_utilsE35device_test_enabled_for_warp_size_vIXT1_EEEvE4typeEPT_S8_,@function
_Z26warp_inclusive_scan_kernelIN10test_utils16custom_test_typeI6__halfEELj64ELj8EENSt9enable_ifIXsr10test_utilsE35device_test_enabled_for_warp_size_vIXT1_EEEvE4typeEPT_S8_: ; @_Z26warp_inclusive_scan_kernelIN10test_utils16custom_test_typeI6__halfEELj64ELj8EENSt9enable_ifIXsr10test_utilsE35device_test_enabled_for_warp_size_vIXT1_EEEvE4typeEPT_S8_
; %bb.0:
	s_load_dword s7, s[4:5], 0x1c
	s_load_dwordx4 s[0:3], s[4:5], 0x0
	v_mov_b32_e32 v1, 0
	s_waitcnt lgkmcnt(0)
	s_and_b32 s4, s7, 0xffff
	s_mul_i32 s6, s6, s4
	v_add_u32_e32 v0, s6, v0
	v_lshlrev_b64 v[0:1], 2, v[0:1]
	v_mov_b32_e32 v3, s1
	v_add_co_u32_e32 v2, vcc, s0, v0
	v_addc_co_u32_e32 v3, vcc, v3, v1, vcc
	global_load_dword v4, v[2:3], off
	v_mbcnt_lo_u32_b32 v2, -1, 0
	v_mbcnt_hi_u32_b32 v2, -1, v2
	v_and_b32_e32 v2, 7, v2
	v_cmp_ne_u32_e32 vcc, 0, v2
	s_waitcnt vmcnt(0)
	v_alignbit_b32 v3, v4, v4, 16
	v_mov_b32_dpp v5, v4 row_shr:1 row_mask:0xf bank_mask:0xf
	s_and_saveexec_b64 s[0:1], vcc
; %bb.1:
	v_pk_add_f16 v3, v3, v5 op_sel:[0,1] op_sel_hi:[1,0]
	s_mov_b32 s4, 0x5040706
	v_perm_b32 v4, v3, v3, s4
; %bb.2:
	s_or_b64 exec, exec, s[0:1]
	s_mov_b32 s0, 0x7060302
	v_mov_b32_dpp v6, v4 row_shr:2 row_mask:0xf bank_mask:0xf
	v_cmp_lt_u32_e32 vcc, 1, v2
	v_perm_b32 v5, v3, v4, s0
	s_and_saveexec_b64 s[0:1], vcc
; %bb.3:
	v_pk_add_f16 v5, v5, v6 op_sel:[0,1] op_sel_hi:[1,0]
	s_mov_b32 s4, 0x5040706
	v_perm_b32 v4, v5, v5, s4
	v_mov_b32_e32 v3, v5
; %bb.4:
	s_or_b64 exec, exec, s[0:1]
	v_mov_b32_e32 v6, s3
	v_add_co_u32_e32 v0, vcc, s2, v0
	v_mov_b32_dpp v4, v4 row_shr:4 row_mask:0xf bank_mask:0xf
	v_addc_co_u32_e32 v1, vcc, v6, v1, vcc
	v_pk_add_f16 v4, v5, v4 op_sel:[0,1] op_sel_hi:[1,0]
	v_cmp_lt_u32_e32 vcc, 3, v2
	v_cndmask_b32_e32 v2, v3, v4, vcc
	v_cndmask_b32_sdwa v3, v3, v4, vcc dst_sel:DWORD dst_unused:UNUSED_PAD src0_sel:WORD_1 src1_sel:WORD_1
	s_mov_b32 s0, 0x5040100
	v_perm_b32 v2, v2, v3, s0
	global_store_dword v[0:1], v2, off
	s_endpgm
	.section	.rodata,"a",@progbits
	.p2align	6, 0x0
	.amdhsa_kernel _Z26warp_inclusive_scan_kernelIN10test_utils16custom_test_typeI6__halfEELj64ELj8EENSt9enable_ifIXsr10test_utilsE35device_test_enabled_for_warp_size_vIXT1_EEEvE4typeEPT_S8_
		.amdhsa_group_segment_fixed_size 0
		.amdhsa_private_segment_fixed_size 0
		.amdhsa_kernarg_size 272
		.amdhsa_user_sgpr_count 6
		.amdhsa_user_sgpr_private_segment_buffer 1
		.amdhsa_user_sgpr_dispatch_ptr 0
		.amdhsa_user_sgpr_queue_ptr 0
		.amdhsa_user_sgpr_kernarg_segment_ptr 1
		.amdhsa_user_sgpr_dispatch_id 0
		.amdhsa_user_sgpr_flat_scratch_init 0
		.amdhsa_user_sgpr_private_segment_size 0
		.amdhsa_uses_dynamic_stack 0
		.amdhsa_system_sgpr_private_segment_wavefront_offset 0
		.amdhsa_system_sgpr_workgroup_id_x 1
		.amdhsa_system_sgpr_workgroup_id_y 0
		.amdhsa_system_sgpr_workgroup_id_z 0
		.amdhsa_system_sgpr_workgroup_info 0
		.amdhsa_system_vgpr_workitem_id 0
		.amdhsa_next_free_vgpr 7
		.amdhsa_next_free_sgpr 8
		.amdhsa_reserve_vcc 1
		.amdhsa_reserve_flat_scratch 0
		.amdhsa_float_round_mode_32 0
		.amdhsa_float_round_mode_16_64 0
		.amdhsa_float_denorm_mode_32 3
		.amdhsa_float_denorm_mode_16_64 3
		.amdhsa_dx10_clamp 1
		.amdhsa_ieee_mode 1
		.amdhsa_fp16_overflow 0
		.amdhsa_exception_fp_ieee_invalid_op 0
		.amdhsa_exception_fp_denorm_src 0
		.amdhsa_exception_fp_ieee_div_zero 0
		.amdhsa_exception_fp_ieee_overflow 0
		.amdhsa_exception_fp_ieee_underflow 0
		.amdhsa_exception_fp_ieee_inexact 0
		.amdhsa_exception_int_div_zero 0
	.end_amdhsa_kernel
	.section	.text._Z26warp_inclusive_scan_kernelIN10test_utils16custom_test_typeI6__halfEELj64ELj8EENSt9enable_ifIXsr10test_utilsE35device_test_enabled_for_warp_size_vIXT1_EEEvE4typeEPT_S8_,"axG",@progbits,_Z26warp_inclusive_scan_kernelIN10test_utils16custom_test_typeI6__halfEELj64ELj8EENSt9enable_ifIXsr10test_utilsE35device_test_enabled_for_warp_size_vIXT1_EEEvE4typeEPT_S8_,comdat
.Lfunc_end313:
	.size	_Z26warp_inclusive_scan_kernelIN10test_utils16custom_test_typeI6__halfEELj64ELj8EENSt9enable_ifIXsr10test_utilsE35device_test_enabled_for_warp_size_vIXT1_EEEvE4typeEPT_S8_, .Lfunc_end313-_Z26warp_inclusive_scan_kernelIN10test_utils16custom_test_typeI6__halfEELj64ELj8EENSt9enable_ifIXsr10test_utilsE35device_test_enabled_for_warp_size_vIXT1_EEEvE4typeEPT_S8_
                                        ; -- End function
	.set _Z26warp_inclusive_scan_kernelIN10test_utils16custom_test_typeI6__halfEELj64ELj8EENSt9enable_ifIXsr10test_utilsE35device_test_enabled_for_warp_size_vIXT1_EEEvE4typeEPT_S8_.num_vgpr, 7
	.set _Z26warp_inclusive_scan_kernelIN10test_utils16custom_test_typeI6__halfEELj64ELj8EENSt9enable_ifIXsr10test_utilsE35device_test_enabled_for_warp_size_vIXT1_EEEvE4typeEPT_S8_.num_agpr, 0
	.set _Z26warp_inclusive_scan_kernelIN10test_utils16custom_test_typeI6__halfEELj64ELj8EENSt9enable_ifIXsr10test_utilsE35device_test_enabled_for_warp_size_vIXT1_EEEvE4typeEPT_S8_.numbered_sgpr, 8
	.set _Z26warp_inclusive_scan_kernelIN10test_utils16custom_test_typeI6__halfEELj64ELj8EENSt9enable_ifIXsr10test_utilsE35device_test_enabled_for_warp_size_vIXT1_EEEvE4typeEPT_S8_.num_named_barrier, 0
	.set _Z26warp_inclusive_scan_kernelIN10test_utils16custom_test_typeI6__halfEELj64ELj8EENSt9enable_ifIXsr10test_utilsE35device_test_enabled_for_warp_size_vIXT1_EEEvE4typeEPT_S8_.private_seg_size, 0
	.set _Z26warp_inclusive_scan_kernelIN10test_utils16custom_test_typeI6__halfEELj64ELj8EENSt9enable_ifIXsr10test_utilsE35device_test_enabled_for_warp_size_vIXT1_EEEvE4typeEPT_S8_.uses_vcc, 1
	.set _Z26warp_inclusive_scan_kernelIN10test_utils16custom_test_typeI6__halfEELj64ELj8EENSt9enable_ifIXsr10test_utilsE35device_test_enabled_for_warp_size_vIXT1_EEEvE4typeEPT_S8_.uses_flat_scratch, 0
	.set _Z26warp_inclusive_scan_kernelIN10test_utils16custom_test_typeI6__halfEELj64ELj8EENSt9enable_ifIXsr10test_utilsE35device_test_enabled_for_warp_size_vIXT1_EEEvE4typeEPT_S8_.has_dyn_sized_stack, 0
	.set _Z26warp_inclusive_scan_kernelIN10test_utils16custom_test_typeI6__halfEELj64ELj8EENSt9enable_ifIXsr10test_utilsE35device_test_enabled_for_warp_size_vIXT1_EEEvE4typeEPT_S8_.has_recursion, 0
	.set _Z26warp_inclusive_scan_kernelIN10test_utils16custom_test_typeI6__halfEELj64ELj8EENSt9enable_ifIXsr10test_utilsE35device_test_enabled_for_warp_size_vIXT1_EEEvE4typeEPT_S8_.has_indirect_call, 0
	.section	.AMDGPU.csdata,"",@progbits
; Kernel info:
; codeLenInByte = 280
; TotalNumSgprs: 12
; NumVgprs: 7
; ScratchSize: 0
; MemoryBound: 0
; FloatMode: 240
; IeeeMode: 1
; LDSByteSize: 0 bytes/workgroup (compile time only)
; SGPRBlocks: 1
; VGPRBlocks: 1
; NumSGPRsForWavesPerEU: 12
; NumVGPRsForWavesPerEU: 7
; Occupancy: 10
; WaveLimiterHint : 0
; COMPUTE_PGM_RSRC2:SCRATCH_EN: 0
; COMPUTE_PGM_RSRC2:USER_SGPR: 6
; COMPUTE_PGM_RSRC2:TRAP_HANDLER: 0
; COMPUTE_PGM_RSRC2:TGID_X_EN: 1
; COMPUTE_PGM_RSRC2:TGID_Y_EN: 0
; COMPUTE_PGM_RSRC2:TGID_Z_EN: 0
; COMPUTE_PGM_RSRC2:TIDIG_COMP_CNT: 0
	.section	.text._Z26warp_inclusive_scan_kernelIN10test_utils16custom_test_typeI6__halfEELj32ELj4EENSt9enable_ifIXsr10test_utilsE35device_test_enabled_for_warp_size_vIXT1_EEEvE4typeEPT_S8_,"axG",@progbits,_Z26warp_inclusive_scan_kernelIN10test_utils16custom_test_typeI6__halfEELj32ELj4EENSt9enable_ifIXsr10test_utilsE35device_test_enabled_for_warp_size_vIXT1_EEEvE4typeEPT_S8_,comdat
	.protected	_Z26warp_inclusive_scan_kernelIN10test_utils16custom_test_typeI6__halfEELj32ELj4EENSt9enable_ifIXsr10test_utilsE35device_test_enabled_for_warp_size_vIXT1_EEEvE4typeEPT_S8_ ; -- Begin function _Z26warp_inclusive_scan_kernelIN10test_utils16custom_test_typeI6__halfEELj32ELj4EENSt9enable_ifIXsr10test_utilsE35device_test_enabled_for_warp_size_vIXT1_EEEvE4typeEPT_S8_
	.globl	_Z26warp_inclusive_scan_kernelIN10test_utils16custom_test_typeI6__halfEELj32ELj4EENSt9enable_ifIXsr10test_utilsE35device_test_enabled_for_warp_size_vIXT1_EEEvE4typeEPT_S8_
	.p2align	8
	.type	_Z26warp_inclusive_scan_kernelIN10test_utils16custom_test_typeI6__halfEELj32ELj4EENSt9enable_ifIXsr10test_utilsE35device_test_enabled_for_warp_size_vIXT1_EEEvE4typeEPT_S8_,@function
_Z26warp_inclusive_scan_kernelIN10test_utils16custom_test_typeI6__halfEELj32ELj4EENSt9enable_ifIXsr10test_utilsE35device_test_enabled_for_warp_size_vIXT1_EEEvE4typeEPT_S8_: ; @_Z26warp_inclusive_scan_kernelIN10test_utils16custom_test_typeI6__halfEELj32ELj4EENSt9enable_ifIXsr10test_utilsE35device_test_enabled_for_warp_size_vIXT1_EEEvE4typeEPT_S8_
; %bb.0:
	s_load_dword s7, s[4:5], 0x1c
	s_load_dwordx4 s[0:3], s[4:5], 0x0
	v_mov_b32_e32 v1, 0
	s_waitcnt lgkmcnt(0)
	s_and_b32 s4, s7, 0xffff
	s_mul_i32 s6, s6, s4
	v_add_u32_e32 v0, s6, v0
	v_lshlrev_b64 v[0:1], 2, v[0:1]
	v_mov_b32_e32 v3, s1
	v_add_co_u32_e32 v2, vcc, s0, v0
	v_addc_co_u32_e32 v3, vcc, v3, v1, vcc
	global_load_dword v2, v[2:3], off
	v_mbcnt_lo_u32_b32 v3, -1, 0
	v_mbcnt_hi_u32_b32 v3, -1, v3
	v_and_b32_e32 v3, 3, v3
	v_cmp_ne_u32_e32 vcc, 0, v3
	s_waitcnt vmcnt(0)
	v_mov_b32_dpp v4, v2 row_shr:1 row_mask:0xf bank_mask:0xf
	s_and_saveexec_b64 s[0:1], vcc
; %bb.1:
	v_pk_add_f16 v2, v2, v4
; %bb.2:
	s_or_b64 exec, exec, s[0:1]
	s_nop 0
	v_mov_b32_dpp v4, v2 row_shr:2 row_mask:0xf bank_mask:0xf
	v_cmp_lt_u32_e32 vcc, 1, v3
	s_and_saveexec_b64 s[0:1], vcc
; %bb.3:
	s_mov_b32 s4, 0xffff
	v_bfi_b32 v2, s4, v2, v2
	v_pk_add_f16 v2, v2, v4
; %bb.4:
	s_or_b64 exec, exec, s[0:1]
	v_mov_b32_e32 v3, s3
	v_add_co_u32_e32 v0, vcc, s2, v0
	v_addc_co_u32_e32 v1, vcc, v3, v1, vcc
	global_store_dword v[0:1], v2, off
	s_endpgm
	.section	.rodata,"a",@progbits
	.p2align	6, 0x0
	.amdhsa_kernel _Z26warp_inclusive_scan_kernelIN10test_utils16custom_test_typeI6__halfEELj32ELj4EENSt9enable_ifIXsr10test_utilsE35device_test_enabled_for_warp_size_vIXT1_EEEvE4typeEPT_S8_
		.amdhsa_group_segment_fixed_size 0
		.amdhsa_private_segment_fixed_size 0
		.amdhsa_kernarg_size 272
		.amdhsa_user_sgpr_count 6
		.amdhsa_user_sgpr_private_segment_buffer 1
		.amdhsa_user_sgpr_dispatch_ptr 0
		.amdhsa_user_sgpr_queue_ptr 0
		.amdhsa_user_sgpr_kernarg_segment_ptr 1
		.amdhsa_user_sgpr_dispatch_id 0
		.amdhsa_user_sgpr_flat_scratch_init 0
		.amdhsa_user_sgpr_private_segment_size 0
		.amdhsa_uses_dynamic_stack 0
		.amdhsa_system_sgpr_private_segment_wavefront_offset 0
		.amdhsa_system_sgpr_workgroup_id_x 1
		.amdhsa_system_sgpr_workgroup_id_y 0
		.amdhsa_system_sgpr_workgroup_id_z 0
		.amdhsa_system_sgpr_workgroup_info 0
		.amdhsa_system_vgpr_workitem_id 0
		.amdhsa_next_free_vgpr 5
		.amdhsa_next_free_sgpr 8
		.amdhsa_reserve_vcc 1
		.amdhsa_reserve_flat_scratch 0
		.amdhsa_float_round_mode_32 0
		.amdhsa_float_round_mode_16_64 0
		.amdhsa_float_denorm_mode_32 3
		.amdhsa_float_denorm_mode_16_64 3
		.amdhsa_dx10_clamp 1
		.amdhsa_ieee_mode 1
		.amdhsa_fp16_overflow 0
		.amdhsa_exception_fp_ieee_invalid_op 0
		.amdhsa_exception_fp_denorm_src 0
		.amdhsa_exception_fp_ieee_div_zero 0
		.amdhsa_exception_fp_ieee_overflow 0
		.amdhsa_exception_fp_ieee_underflow 0
		.amdhsa_exception_fp_ieee_inexact 0
		.amdhsa_exception_int_div_zero 0
	.end_amdhsa_kernel
	.section	.text._Z26warp_inclusive_scan_kernelIN10test_utils16custom_test_typeI6__halfEELj32ELj4EENSt9enable_ifIXsr10test_utilsE35device_test_enabled_for_warp_size_vIXT1_EEEvE4typeEPT_S8_,"axG",@progbits,_Z26warp_inclusive_scan_kernelIN10test_utils16custom_test_typeI6__halfEELj32ELj4EENSt9enable_ifIXsr10test_utilsE35device_test_enabled_for_warp_size_vIXT1_EEEvE4typeEPT_S8_,comdat
.Lfunc_end314:
	.size	_Z26warp_inclusive_scan_kernelIN10test_utils16custom_test_typeI6__halfEELj32ELj4EENSt9enable_ifIXsr10test_utilsE35device_test_enabled_for_warp_size_vIXT1_EEEvE4typeEPT_S8_, .Lfunc_end314-_Z26warp_inclusive_scan_kernelIN10test_utils16custom_test_typeI6__halfEELj32ELj4EENSt9enable_ifIXsr10test_utilsE35device_test_enabled_for_warp_size_vIXT1_EEEvE4typeEPT_S8_
                                        ; -- End function
	.set _Z26warp_inclusive_scan_kernelIN10test_utils16custom_test_typeI6__halfEELj32ELj4EENSt9enable_ifIXsr10test_utilsE35device_test_enabled_for_warp_size_vIXT1_EEEvE4typeEPT_S8_.num_vgpr, 5
	.set _Z26warp_inclusive_scan_kernelIN10test_utils16custom_test_typeI6__halfEELj32ELj4EENSt9enable_ifIXsr10test_utilsE35device_test_enabled_for_warp_size_vIXT1_EEEvE4typeEPT_S8_.num_agpr, 0
	.set _Z26warp_inclusive_scan_kernelIN10test_utils16custom_test_typeI6__halfEELj32ELj4EENSt9enable_ifIXsr10test_utilsE35device_test_enabled_for_warp_size_vIXT1_EEEvE4typeEPT_S8_.numbered_sgpr, 8
	.set _Z26warp_inclusive_scan_kernelIN10test_utils16custom_test_typeI6__halfEELj32ELj4EENSt9enable_ifIXsr10test_utilsE35device_test_enabled_for_warp_size_vIXT1_EEEvE4typeEPT_S8_.num_named_barrier, 0
	.set _Z26warp_inclusive_scan_kernelIN10test_utils16custom_test_typeI6__halfEELj32ELj4EENSt9enable_ifIXsr10test_utilsE35device_test_enabled_for_warp_size_vIXT1_EEEvE4typeEPT_S8_.private_seg_size, 0
	.set _Z26warp_inclusive_scan_kernelIN10test_utils16custom_test_typeI6__halfEELj32ELj4EENSt9enable_ifIXsr10test_utilsE35device_test_enabled_for_warp_size_vIXT1_EEEvE4typeEPT_S8_.uses_vcc, 1
	.set _Z26warp_inclusive_scan_kernelIN10test_utils16custom_test_typeI6__halfEELj32ELj4EENSt9enable_ifIXsr10test_utilsE35device_test_enabled_for_warp_size_vIXT1_EEEvE4typeEPT_S8_.uses_flat_scratch, 0
	.set _Z26warp_inclusive_scan_kernelIN10test_utils16custom_test_typeI6__halfEELj32ELj4EENSt9enable_ifIXsr10test_utilsE35device_test_enabled_for_warp_size_vIXT1_EEEvE4typeEPT_S8_.has_dyn_sized_stack, 0
	.set _Z26warp_inclusive_scan_kernelIN10test_utils16custom_test_typeI6__halfEELj32ELj4EENSt9enable_ifIXsr10test_utilsE35device_test_enabled_for_warp_size_vIXT1_EEEvE4typeEPT_S8_.has_recursion, 0
	.set _Z26warp_inclusive_scan_kernelIN10test_utils16custom_test_typeI6__halfEELj32ELj4EENSt9enable_ifIXsr10test_utilsE35device_test_enabled_for_warp_size_vIXT1_EEEvE4typeEPT_S8_.has_indirect_call, 0
	.section	.AMDGPU.csdata,"",@progbits
; Kernel info:
; codeLenInByte = 192
; TotalNumSgprs: 12
; NumVgprs: 5
; ScratchSize: 0
; MemoryBound: 0
; FloatMode: 240
; IeeeMode: 1
; LDSByteSize: 0 bytes/workgroup (compile time only)
; SGPRBlocks: 1
; VGPRBlocks: 1
; NumSGPRsForWavesPerEU: 12
; NumVGPRsForWavesPerEU: 5
; Occupancy: 10
; WaveLimiterHint : 0
; COMPUTE_PGM_RSRC2:SCRATCH_EN: 0
; COMPUTE_PGM_RSRC2:USER_SGPR: 6
; COMPUTE_PGM_RSRC2:TRAP_HANDLER: 0
; COMPUTE_PGM_RSRC2:TGID_X_EN: 1
; COMPUTE_PGM_RSRC2:TGID_Y_EN: 0
; COMPUTE_PGM_RSRC2:TGID_Z_EN: 0
; COMPUTE_PGM_RSRC2:TIDIG_COMP_CNT: 0
	.section	.text._Z26warp_inclusive_scan_kernelIN10test_utils16custom_test_typeI6__halfEELj64ELj4EENSt9enable_ifIXsr10test_utilsE35device_test_enabled_for_warp_size_vIXT1_EEEvE4typeEPT_S8_,"axG",@progbits,_Z26warp_inclusive_scan_kernelIN10test_utils16custom_test_typeI6__halfEELj64ELj4EENSt9enable_ifIXsr10test_utilsE35device_test_enabled_for_warp_size_vIXT1_EEEvE4typeEPT_S8_,comdat
	.protected	_Z26warp_inclusive_scan_kernelIN10test_utils16custom_test_typeI6__halfEELj64ELj4EENSt9enable_ifIXsr10test_utilsE35device_test_enabled_for_warp_size_vIXT1_EEEvE4typeEPT_S8_ ; -- Begin function _Z26warp_inclusive_scan_kernelIN10test_utils16custom_test_typeI6__halfEELj64ELj4EENSt9enable_ifIXsr10test_utilsE35device_test_enabled_for_warp_size_vIXT1_EEEvE4typeEPT_S8_
	.globl	_Z26warp_inclusive_scan_kernelIN10test_utils16custom_test_typeI6__halfEELj64ELj4EENSt9enable_ifIXsr10test_utilsE35device_test_enabled_for_warp_size_vIXT1_EEEvE4typeEPT_S8_
	.p2align	8
	.type	_Z26warp_inclusive_scan_kernelIN10test_utils16custom_test_typeI6__halfEELj64ELj4EENSt9enable_ifIXsr10test_utilsE35device_test_enabled_for_warp_size_vIXT1_EEEvE4typeEPT_S8_,@function
_Z26warp_inclusive_scan_kernelIN10test_utils16custom_test_typeI6__halfEELj64ELj4EENSt9enable_ifIXsr10test_utilsE35device_test_enabled_for_warp_size_vIXT1_EEEvE4typeEPT_S8_: ; @_Z26warp_inclusive_scan_kernelIN10test_utils16custom_test_typeI6__halfEELj64ELj4EENSt9enable_ifIXsr10test_utilsE35device_test_enabled_for_warp_size_vIXT1_EEEvE4typeEPT_S8_
; %bb.0:
	s_load_dword s7, s[4:5], 0x1c
	s_load_dwordx4 s[0:3], s[4:5], 0x0
	v_mov_b32_e32 v1, 0
	s_waitcnt lgkmcnt(0)
	s_and_b32 s4, s7, 0xffff
	s_mul_i32 s6, s6, s4
	v_add_u32_e32 v0, s6, v0
	v_lshlrev_b64 v[0:1], 2, v[0:1]
	v_mov_b32_e32 v3, s1
	v_add_co_u32_e32 v2, vcc, s0, v0
	v_addc_co_u32_e32 v3, vcc, v3, v1, vcc
	global_load_dword v2, v[2:3], off
	v_mbcnt_lo_u32_b32 v3, -1, 0
	v_mbcnt_hi_u32_b32 v3, -1, v3
	v_and_b32_e32 v3, 3, v3
	v_cmp_ne_u32_e32 vcc, 0, v3
	s_waitcnt vmcnt(0)
	v_mov_b32_dpp v4, v2 row_shr:1 row_mask:0xf bank_mask:0xf
	s_and_saveexec_b64 s[0:1], vcc
; %bb.1:
	v_pk_add_f16 v2, v2, v4
; %bb.2:
	s_or_b64 exec, exec, s[0:1]
	s_nop 0
	v_mov_b32_dpp v4, v2 row_shr:2 row_mask:0xf bank_mask:0xf
	v_cmp_lt_u32_e32 vcc, 1, v3
	s_and_saveexec_b64 s[0:1], vcc
; %bb.3:
	s_mov_b32 s4, 0xffff
	v_bfi_b32 v2, s4, v2, v2
	v_pk_add_f16 v2, v2, v4
; %bb.4:
	s_or_b64 exec, exec, s[0:1]
	v_mov_b32_e32 v3, s3
	v_add_co_u32_e32 v0, vcc, s2, v0
	v_addc_co_u32_e32 v1, vcc, v3, v1, vcc
	global_store_dword v[0:1], v2, off
	s_endpgm
	.section	.rodata,"a",@progbits
	.p2align	6, 0x0
	.amdhsa_kernel _Z26warp_inclusive_scan_kernelIN10test_utils16custom_test_typeI6__halfEELj64ELj4EENSt9enable_ifIXsr10test_utilsE35device_test_enabled_for_warp_size_vIXT1_EEEvE4typeEPT_S8_
		.amdhsa_group_segment_fixed_size 0
		.amdhsa_private_segment_fixed_size 0
		.amdhsa_kernarg_size 272
		.amdhsa_user_sgpr_count 6
		.amdhsa_user_sgpr_private_segment_buffer 1
		.amdhsa_user_sgpr_dispatch_ptr 0
		.amdhsa_user_sgpr_queue_ptr 0
		.amdhsa_user_sgpr_kernarg_segment_ptr 1
		.amdhsa_user_sgpr_dispatch_id 0
		.amdhsa_user_sgpr_flat_scratch_init 0
		.amdhsa_user_sgpr_private_segment_size 0
		.amdhsa_uses_dynamic_stack 0
		.amdhsa_system_sgpr_private_segment_wavefront_offset 0
		.amdhsa_system_sgpr_workgroup_id_x 1
		.amdhsa_system_sgpr_workgroup_id_y 0
		.amdhsa_system_sgpr_workgroup_id_z 0
		.amdhsa_system_sgpr_workgroup_info 0
		.amdhsa_system_vgpr_workitem_id 0
		.amdhsa_next_free_vgpr 5
		.amdhsa_next_free_sgpr 8
		.amdhsa_reserve_vcc 1
		.amdhsa_reserve_flat_scratch 0
		.amdhsa_float_round_mode_32 0
		.amdhsa_float_round_mode_16_64 0
		.amdhsa_float_denorm_mode_32 3
		.amdhsa_float_denorm_mode_16_64 3
		.amdhsa_dx10_clamp 1
		.amdhsa_ieee_mode 1
		.amdhsa_fp16_overflow 0
		.amdhsa_exception_fp_ieee_invalid_op 0
		.amdhsa_exception_fp_denorm_src 0
		.amdhsa_exception_fp_ieee_div_zero 0
		.amdhsa_exception_fp_ieee_overflow 0
		.amdhsa_exception_fp_ieee_underflow 0
		.amdhsa_exception_fp_ieee_inexact 0
		.amdhsa_exception_int_div_zero 0
	.end_amdhsa_kernel
	.section	.text._Z26warp_inclusive_scan_kernelIN10test_utils16custom_test_typeI6__halfEELj64ELj4EENSt9enable_ifIXsr10test_utilsE35device_test_enabled_for_warp_size_vIXT1_EEEvE4typeEPT_S8_,"axG",@progbits,_Z26warp_inclusive_scan_kernelIN10test_utils16custom_test_typeI6__halfEELj64ELj4EENSt9enable_ifIXsr10test_utilsE35device_test_enabled_for_warp_size_vIXT1_EEEvE4typeEPT_S8_,comdat
.Lfunc_end315:
	.size	_Z26warp_inclusive_scan_kernelIN10test_utils16custom_test_typeI6__halfEELj64ELj4EENSt9enable_ifIXsr10test_utilsE35device_test_enabled_for_warp_size_vIXT1_EEEvE4typeEPT_S8_, .Lfunc_end315-_Z26warp_inclusive_scan_kernelIN10test_utils16custom_test_typeI6__halfEELj64ELj4EENSt9enable_ifIXsr10test_utilsE35device_test_enabled_for_warp_size_vIXT1_EEEvE4typeEPT_S8_
                                        ; -- End function
	.set _Z26warp_inclusive_scan_kernelIN10test_utils16custom_test_typeI6__halfEELj64ELj4EENSt9enable_ifIXsr10test_utilsE35device_test_enabled_for_warp_size_vIXT1_EEEvE4typeEPT_S8_.num_vgpr, 5
	.set _Z26warp_inclusive_scan_kernelIN10test_utils16custom_test_typeI6__halfEELj64ELj4EENSt9enable_ifIXsr10test_utilsE35device_test_enabled_for_warp_size_vIXT1_EEEvE4typeEPT_S8_.num_agpr, 0
	.set _Z26warp_inclusive_scan_kernelIN10test_utils16custom_test_typeI6__halfEELj64ELj4EENSt9enable_ifIXsr10test_utilsE35device_test_enabled_for_warp_size_vIXT1_EEEvE4typeEPT_S8_.numbered_sgpr, 8
	.set _Z26warp_inclusive_scan_kernelIN10test_utils16custom_test_typeI6__halfEELj64ELj4EENSt9enable_ifIXsr10test_utilsE35device_test_enabled_for_warp_size_vIXT1_EEEvE4typeEPT_S8_.num_named_barrier, 0
	.set _Z26warp_inclusive_scan_kernelIN10test_utils16custom_test_typeI6__halfEELj64ELj4EENSt9enable_ifIXsr10test_utilsE35device_test_enabled_for_warp_size_vIXT1_EEEvE4typeEPT_S8_.private_seg_size, 0
	.set _Z26warp_inclusive_scan_kernelIN10test_utils16custom_test_typeI6__halfEELj64ELj4EENSt9enable_ifIXsr10test_utilsE35device_test_enabled_for_warp_size_vIXT1_EEEvE4typeEPT_S8_.uses_vcc, 1
	.set _Z26warp_inclusive_scan_kernelIN10test_utils16custom_test_typeI6__halfEELj64ELj4EENSt9enable_ifIXsr10test_utilsE35device_test_enabled_for_warp_size_vIXT1_EEEvE4typeEPT_S8_.uses_flat_scratch, 0
	.set _Z26warp_inclusive_scan_kernelIN10test_utils16custom_test_typeI6__halfEELj64ELj4EENSt9enable_ifIXsr10test_utilsE35device_test_enabled_for_warp_size_vIXT1_EEEvE4typeEPT_S8_.has_dyn_sized_stack, 0
	.set _Z26warp_inclusive_scan_kernelIN10test_utils16custom_test_typeI6__halfEELj64ELj4EENSt9enable_ifIXsr10test_utilsE35device_test_enabled_for_warp_size_vIXT1_EEEvE4typeEPT_S8_.has_recursion, 0
	.set _Z26warp_inclusive_scan_kernelIN10test_utils16custom_test_typeI6__halfEELj64ELj4EENSt9enable_ifIXsr10test_utilsE35device_test_enabled_for_warp_size_vIXT1_EEEvE4typeEPT_S8_.has_indirect_call, 0
	.section	.AMDGPU.csdata,"",@progbits
; Kernel info:
; codeLenInByte = 192
; TotalNumSgprs: 12
; NumVgprs: 5
; ScratchSize: 0
; MemoryBound: 0
; FloatMode: 240
; IeeeMode: 1
; LDSByteSize: 0 bytes/workgroup (compile time only)
; SGPRBlocks: 1
; VGPRBlocks: 1
; NumSGPRsForWavesPerEU: 12
; NumVGPRsForWavesPerEU: 5
; Occupancy: 10
; WaveLimiterHint : 0
; COMPUTE_PGM_RSRC2:SCRATCH_EN: 0
; COMPUTE_PGM_RSRC2:USER_SGPR: 6
; COMPUTE_PGM_RSRC2:TRAP_HANDLER: 0
; COMPUTE_PGM_RSRC2:TGID_X_EN: 1
; COMPUTE_PGM_RSRC2:TGID_Y_EN: 0
; COMPUTE_PGM_RSRC2:TGID_Z_EN: 0
; COMPUTE_PGM_RSRC2:TIDIG_COMP_CNT: 0
	.section	.text._Z26warp_inclusive_scan_kernelIN10test_utils16custom_test_typeI6__halfEELj32ELj2EENSt9enable_ifIXsr10test_utilsE35device_test_enabled_for_warp_size_vIXT1_EEEvE4typeEPT_S8_,"axG",@progbits,_Z26warp_inclusive_scan_kernelIN10test_utils16custom_test_typeI6__halfEELj32ELj2EENSt9enable_ifIXsr10test_utilsE35device_test_enabled_for_warp_size_vIXT1_EEEvE4typeEPT_S8_,comdat
	.protected	_Z26warp_inclusive_scan_kernelIN10test_utils16custom_test_typeI6__halfEELj32ELj2EENSt9enable_ifIXsr10test_utilsE35device_test_enabled_for_warp_size_vIXT1_EEEvE4typeEPT_S8_ ; -- Begin function _Z26warp_inclusive_scan_kernelIN10test_utils16custom_test_typeI6__halfEELj32ELj2EENSt9enable_ifIXsr10test_utilsE35device_test_enabled_for_warp_size_vIXT1_EEEvE4typeEPT_S8_
	.globl	_Z26warp_inclusive_scan_kernelIN10test_utils16custom_test_typeI6__halfEELj32ELj2EENSt9enable_ifIXsr10test_utilsE35device_test_enabled_for_warp_size_vIXT1_EEEvE4typeEPT_S8_
	.p2align	8
	.type	_Z26warp_inclusive_scan_kernelIN10test_utils16custom_test_typeI6__halfEELj32ELj2EENSt9enable_ifIXsr10test_utilsE35device_test_enabled_for_warp_size_vIXT1_EEEvE4typeEPT_S8_,@function
_Z26warp_inclusive_scan_kernelIN10test_utils16custom_test_typeI6__halfEELj32ELj2EENSt9enable_ifIXsr10test_utilsE35device_test_enabled_for_warp_size_vIXT1_EEEvE4typeEPT_S8_: ; @_Z26warp_inclusive_scan_kernelIN10test_utils16custom_test_typeI6__halfEELj32ELj2EENSt9enable_ifIXsr10test_utilsE35device_test_enabled_for_warp_size_vIXT1_EEEvE4typeEPT_S8_
; %bb.0:
	s_load_dword s7, s[4:5], 0x1c
	s_load_dwordx4 s[0:3], s[4:5], 0x0
	v_mov_b32_e32 v1, 0
	s_waitcnt lgkmcnt(0)
	s_and_b32 s4, s7, 0xffff
	s_mul_i32 s6, s6, s4
	v_add_u32_e32 v0, s6, v0
	v_lshlrev_b64 v[0:1], 2, v[0:1]
	v_mov_b32_e32 v3, s1
	v_add_co_u32_e32 v2, vcc, s0, v0
	v_addc_co_u32_e32 v3, vcc, v3, v1, vcc
	global_load_dword v2, v[2:3], off
	v_mbcnt_lo_u32_b32 v3, -1, 0
	v_mbcnt_hi_u32_b32 v3, -1, v3
	v_and_b32_e32 v3, 1, v3
	v_cmp_eq_u32_e32 vcc, 0, v3
	v_mov_b32_e32 v4, s3
	s_waitcnt vmcnt(0)
	v_mov_b32_dpp v5, v2 row_shr:1 row_mask:0xf bank_mask:0xf
	v_pk_add_f16 v5, v2, v5
	v_cndmask_b32_e32 v2, v5, v2, vcc
	v_add_co_u32_e32 v0, vcc, s2, v0
	v_addc_co_u32_e32 v1, vcc, v4, v1, vcc
	global_store_dword v[0:1], v2, off
	s_endpgm
	.section	.rodata,"a",@progbits
	.p2align	6, 0x0
	.amdhsa_kernel _Z26warp_inclusive_scan_kernelIN10test_utils16custom_test_typeI6__halfEELj32ELj2EENSt9enable_ifIXsr10test_utilsE35device_test_enabled_for_warp_size_vIXT1_EEEvE4typeEPT_S8_
		.amdhsa_group_segment_fixed_size 0
		.amdhsa_private_segment_fixed_size 0
		.amdhsa_kernarg_size 272
		.amdhsa_user_sgpr_count 6
		.amdhsa_user_sgpr_private_segment_buffer 1
		.amdhsa_user_sgpr_dispatch_ptr 0
		.amdhsa_user_sgpr_queue_ptr 0
		.amdhsa_user_sgpr_kernarg_segment_ptr 1
		.amdhsa_user_sgpr_dispatch_id 0
		.amdhsa_user_sgpr_flat_scratch_init 0
		.amdhsa_user_sgpr_private_segment_size 0
		.amdhsa_uses_dynamic_stack 0
		.amdhsa_system_sgpr_private_segment_wavefront_offset 0
		.amdhsa_system_sgpr_workgroup_id_x 1
		.amdhsa_system_sgpr_workgroup_id_y 0
		.amdhsa_system_sgpr_workgroup_id_z 0
		.amdhsa_system_sgpr_workgroup_info 0
		.amdhsa_system_vgpr_workitem_id 0
		.amdhsa_next_free_vgpr 6
		.amdhsa_next_free_sgpr 8
		.amdhsa_reserve_vcc 1
		.amdhsa_reserve_flat_scratch 0
		.amdhsa_float_round_mode_32 0
		.amdhsa_float_round_mode_16_64 0
		.amdhsa_float_denorm_mode_32 3
		.amdhsa_float_denorm_mode_16_64 3
		.amdhsa_dx10_clamp 1
		.amdhsa_ieee_mode 1
		.amdhsa_fp16_overflow 0
		.amdhsa_exception_fp_ieee_invalid_op 0
		.amdhsa_exception_fp_denorm_src 0
		.amdhsa_exception_fp_ieee_div_zero 0
		.amdhsa_exception_fp_ieee_overflow 0
		.amdhsa_exception_fp_ieee_underflow 0
		.amdhsa_exception_fp_ieee_inexact 0
		.amdhsa_exception_int_div_zero 0
	.end_amdhsa_kernel
	.section	.text._Z26warp_inclusive_scan_kernelIN10test_utils16custom_test_typeI6__halfEELj32ELj2EENSt9enable_ifIXsr10test_utilsE35device_test_enabled_for_warp_size_vIXT1_EEEvE4typeEPT_S8_,"axG",@progbits,_Z26warp_inclusive_scan_kernelIN10test_utils16custom_test_typeI6__halfEELj32ELj2EENSt9enable_ifIXsr10test_utilsE35device_test_enabled_for_warp_size_vIXT1_EEEvE4typeEPT_S8_,comdat
.Lfunc_end316:
	.size	_Z26warp_inclusive_scan_kernelIN10test_utils16custom_test_typeI6__halfEELj32ELj2EENSt9enable_ifIXsr10test_utilsE35device_test_enabled_for_warp_size_vIXT1_EEEvE4typeEPT_S8_, .Lfunc_end316-_Z26warp_inclusive_scan_kernelIN10test_utils16custom_test_typeI6__halfEELj32ELj2EENSt9enable_ifIXsr10test_utilsE35device_test_enabled_for_warp_size_vIXT1_EEEvE4typeEPT_S8_
                                        ; -- End function
	.set _Z26warp_inclusive_scan_kernelIN10test_utils16custom_test_typeI6__halfEELj32ELj2EENSt9enable_ifIXsr10test_utilsE35device_test_enabled_for_warp_size_vIXT1_EEEvE4typeEPT_S8_.num_vgpr, 6
	.set _Z26warp_inclusive_scan_kernelIN10test_utils16custom_test_typeI6__halfEELj32ELj2EENSt9enable_ifIXsr10test_utilsE35device_test_enabled_for_warp_size_vIXT1_EEEvE4typeEPT_S8_.num_agpr, 0
	.set _Z26warp_inclusive_scan_kernelIN10test_utils16custom_test_typeI6__halfEELj32ELj2EENSt9enable_ifIXsr10test_utilsE35device_test_enabled_for_warp_size_vIXT1_EEEvE4typeEPT_S8_.numbered_sgpr, 8
	.set _Z26warp_inclusive_scan_kernelIN10test_utils16custom_test_typeI6__halfEELj32ELj2EENSt9enable_ifIXsr10test_utilsE35device_test_enabled_for_warp_size_vIXT1_EEEvE4typeEPT_S8_.num_named_barrier, 0
	.set _Z26warp_inclusive_scan_kernelIN10test_utils16custom_test_typeI6__halfEELj32ELj2EENSt9enable_ifIXsr10test_utilsE35device_test_enabled_for_warp_size_vIXT1_EEEvE4typeEPT_S8_.private_seg_size, 0
	.set _Z26warp_inclusive_scan_kernelIN10test_utils16custom_test_typeI6__halfEELj32ELj2EENSt9enable_ifIXsr10test_utilsE35device_test_enabled_for_warp_size_vIXT1_EEEvE4typeEPT_S8_.uses_vcc, 1
	.set _Z26warp_inclusive_scan_kernelIN10test_utils16custom_test_typeI6__halfEELj32ELj2EENSt9enable_ifIXsr10test_utilsE35device_test_enabled_for_warp_size_vIXT1_EEEvE4typeEPT_S8_.uses_flat_scratch, 0
	.set _Z26warp_inclusive_scan_kernelIN10test_utils16custom_test_typeI6__halfEELj32ELj2EENSt9enable_ifIXsr10test_utilsE35device_test_enabled_for_warp_size_vIXT1_EEEvE4typeEPT_S8_.has_dyn_sized_stack, 0
	.set _Z26warp_inclusive_scan_kernelIN10test_utils16custom_test_typeI6__halfEELj32ELj2EENSt9enable_ifIXsr10test_utilsE35device_test_enabled_for_warp_size_vIXT1_EEEvE4typeEPT_S8_.has_recursion, 0
	.set _Z26warp_inclusive_scan_kernelIN10test_utils16custom_test_typeI6__halfEELj32ELj2EENSt9enable_ifIXsr10test_utilsE35device_test_enabled_for_warp_size_vIXT1_EEEvE4typeEPT_S8_.has_indirect_call, 0
	.section	.AMDGPU.csdata,"",@progbits
; Kernel info:
; codeLenInByte = 140
; TotalNumSgprs: 12
; NumVgprs: 6
; ScratchSize: 0
; MemoryBound: 0
; FloatMode: 240
; IeeeMode: 1
; LDSByteSize: 0 bytes/workgroup (compile time only)
; SGPRBlocks: 1
; VGPRBlocks: 1
; NumSGPRsForWavesPerEU: 12
; NumVGPRsForWavesPerEU: 6
; Occupancy: 10
; WaveLimiterHint : 0
; COMPUTE_PGM_RSRC2:SCRATCH_EN: 0
; COMPUTE_PGM_RSRC2:USER_SGPR: 6
; COMPUTE_PGM_RSRC2:TRAP_HANDLER: 0
; COMPUTE_PGM_RSRC2:TGID_X_EN: 1
; COMPUTE_PGM_RSRC2:TGID_Y_EN: 0
; COMPUTE_PGM_RSRC2:TGID_Z_EN: 0
; COMPUTE_PGM_RSRC2:TIDIG_COMP_CNT: 0
	.section	.text._Z26warp_inclusive_scan_kernelIN10test_utils16custom_test_typeI6__halfEELj64ELj2EENSt9enable_ifIXsr10test_utilsE35device_test_enabled_for_warp_size_vIXT1_EEEvE4typeEPT_S8_,"axG",@progbits,_Z26warp_inclusive_scan_kernelIN10test_utils16custom_test_typeI6__halfEELj64ELj2EENSt9enable_ifIXsr10test_utilsE35device_test_enabled_for_warp_size_vIXT1_EEEvE4typeEPT_S8_,comdat
	.protected	_Z26warp_inclusive_scan_kernelIN10test_utils16custom_test_typeI6__halfEELj64ELj2EENSt9enable_ifIXsr10test_utilsE35device_test_enabled_for_warp_size_vIXT1_EEEvE4typeEPT_S8_ ; -- Begin function _Z26warp_inclusive_scan_kernelIN10test_utils16custom_test_typeI6__halfEELj64ELj2EENSt9enable_ifIXsr10test_utilsE35device_test_enabled_for_warp_size_vIXT1_EEEvE4typeEPT_S8_
	.globl	_Z26warp_inclusive_scan_kernelIN10test_utils16custom_test_typeI6__halfEELj64ELj2EENSt9enable_ifIXsr10test_utilsE35device_test_enabled_for_warp_size_vIXT1_EEEvE4typeEPT_S8_
	.p2align	8
	.type	_Z26warp_inclusive_scan_kernelIN10test_utils16custom_test_typeI6__halfEELj64ELj2EENSt9enable_ifIXsr10test_utilsE35device_test_enabled_for_warp_size_vIXT1_EEEvE4typeEPT_S8_,@function
_Z26warp_inclusive_scan_kernelIN10test_utils16custom_test_typeI6__halfEELj64ELj2EENSt9enable_ifIXsr10test_utilsE35device_test_enabled_for_warp_size_vIXT1_EEEvE4typeEPT_S8_: ; @_Z26warp_inclusive_scan_kernelIN10test_utils16custom_test_typeI6__halfEELj64ELj2EENSt9enable_ifIXsr10test_utilsE35device_test_enabled_for_warp_size_vIXT1_EEEvE4typeEPT_S8_
; %bb.0:
	s_load_dword s7, s[4:5], 0x1c
	s_load_dwordx4 s[0:3], s[4:5], 0x0
	v_mov_b32_e32 v1, 0
	s_waitcnt lgkmcnt(0)
	s_and_b32 s4, s7, 0xffff
	s_mul_i32 s6, s6, s4
	v_add_u32_e32 v0, s6, v0
	v_lshlrev_b64 v[0:1], 2, v[0:1]
	v_mov_b32_e32 v3, s1
	v_add_co_u32_e32 v2, vcc, s0, v0
	v_addc_co_u32_e32 v3, vcc, v3, v1, vcc
	global_load_dword v2, v[2:3], off
	v_mbcnt_lo_u32_b32 v3, -1, 0
	v_mbcnt_hi_u32_b32 v3, -1, v3
	v_and_b32_e32 v3, 1, v3
	v_cmp_eq_u32_e32 vcc, 0, v3
	v_mov_b32_e32 v4, s3
	s_waitcnt vmcnt(0)
	v_mov_b32_dpp v5, v2 row_shr:1 row_mask:0xf bank_mask:0xf
	v_pk_add_f16 v5, v2, v5
	v_cndmask_b32_e32 v2, v5, v2, vcc
	v_add_co_u32_e32 v0, vcc, s2, v0
	v_addc_co_u32_e32 v1, vcc, v4, v1, vcc
	global_store_dword v[0:1], v2, off
	s_endpgm
	.section	.rodata,"a",@progbits
	.p2align	6, 0x0
	.amdhsa_kernel _Z26warp_inclusive_scan_kernelIN10test_utils16custom_test_typeI6__halfEELj64ELj2EENSt9enable_ifIXsr10test_utilsE35device_test_enabled_for_warp_size_vIXT1_EEEvE4typeEPT_S8_
		.amdhsa_group_segment_fixed_size 0
		.amdhsa_private_segment_fixed_size 0
		.amdhsa_kernarg_size 272
		.amdhsa_user_sgpr_count 6
		.amdhsa_user_sgpr_private_segment_buffer 1
		.amdhsa_user_sgpr_dispatch_ptr 0
		.amdhsa_user_sgpr_queue_ptr 0
		.amdhsa_user_sgpr_kernarg_segment_ptr 1
		.amdhsa_user_sgpr_dispatch_id 0
		.amdhsa_user_sgpr_flat_scratch_init 0
		.amdhsa_user_sgpr_private_segment_size 0
		.amdhsa_uses_dynamic_stack 0
		.amdhsa_system_sgpr_private_segment_wavefront_offset 0
		.amdhsa_system_sgpr_workgroup_id_x 1
		.amdhsa_system_sgpr_workgroup_id_y 0
		.amdhsa_system_sgpr_workgroup_id_z 0
		.amdhsa_system_sgpr_workgroup_info 0
		.amdhsa_system_vgpr_workitem_id 0
		.amdhsa_next_free_vgpr 6
		.amdhsa_next_free_sgpr 8
		.amdhsa_reserve_vcc 1
		.amdhsa_reserve_flat_scratch 0
		.amdhsa_float_round_mode_32 0
		.amdhsa_float_round_mode_16_64 0
		.amdhsa_float_denorm_mode_32 3
		.amdhsa_float_denorm_mode_16_64 3
		.amdhsa_dx10_clamp 1
		.amdhsa_ieee_mode 1
		.amdhsa_fp16_overflow 0
		.amdhsa_exception_fp_ieee_invalid_op 0
		.amdhsa_exception_fp_denorm_src 0
		.amdhsa_exception_fp_ieee_div_zero 0
		.amdhsa_exception_fp_ieee_overflow 0
		.amdhsa_exception_fp_ieee_underflow 0
		.amdhsa_exception_fp_ieee_inexact 0
		.amdhsa_exception_int_div_zero 0
	.end_amdhsa_kernel
	.section	.text._Z26warp_inclusive_scan_kernelIN10test_utils16custom_test_typeI6__halfEELj64ELj2EENSt9enable_ifIXsr10test_utilsE35device_test_enabled_for_warp_size_vIXT1_EEEvE4typeEPT_S8_,"axG",@progbits,_Z26warp_inclusive_scan_kernelIN10test_utils16custom_test_typeI6__halfEELj64ELj2EENSt9enable_ifIXsr10test_utilsE35device_test_enabled_for_warp_size_vIXT1_EEEvE4typeEPT_S8_,comdat
.Lfunc_end317:
	.size	_Z26warp_inclusive_scan_kernelIN10test_utils16custom_test_typeI6__halfEELj64ELj2EENSt9enable_ifIXsr10test_utilsE35device_test_enabled_for_warp_size_vIXT1_EEEvE4typeEPT_S8_, .Lfunc_end317-_Z26warp_inclusive_scan_kernelIN10test_utils16custom_test_typeI6__halfEELj64ELj2EENSt9enable_ifIXsr10test_utilsE35device_test_enabled_for_warp_size_vIXT1_EEEvE4typeEPT_S8_
                                        ; -- End function
	.set _Z26warp_inclusive_scan_kernelIN10test_utils16custom_test_typeI6__halfEELj64ELj2EENSt9enable_ifIXsr10test_utilsE35device_test_enabled_for_warp_size_vIXT1_EEEvE4typeEPT_S8_.num_vgpr, 6
	.set _Z26warp_inclusive_scan_kernelIN10test_utils16custom_test_typeI6__halfEELj64ELj2EENSt9enable_ifIXsr10test_utilsE35device_test_enabled_for_warp_size_vIXT1_EEEvE4typeEPT_S8_.num_agpr, 0
	.set _Z26warp_inclusive_scan_kernelIN10test_utils16custom_test_typeI6__halfEELj64ELj2EENSt9enable_ifIXsr10test_utilsE35device_test_enabled_for_warp_size_vIXT1_EEEvE4typeEPT_S8_.numbered_sgpr, 8
	.set _Z26warp_inclusive_scan_kernelIN10test_utils16custom_test_typeI6__halfEELj64ELj2EENSt9enable_ifIXsr10test_utilsE35device_test_enabled_for_warp_size_vIXT1_EEEvE4typeEPT_S8_.num_named_barrier, 0
	.set _Z26warp_inclusive_scan_kernelIN10test_utils16custom_test_typeI6__halfEELj64ELj2EENSt9enable_ifIXsr10test_utilsE35device_test_enabled_for_warp_size_vIXT1_EEEvE4typeEPT_S8_.private_seg_size, 0
	.set _Z26warp_inclusive_scan_kernelIN10test_utils16custom_test_typeI6__halfEELj64ELj2EENSt9enable_ifIXsr10test_utilsE35device_test_enabled_for_warp_size_vIXT1_EEEvE4typeEPT_S8_.uses_vcc, 1
	.set _Z26warp_inclusive_scan_kernelIN10test_utils16custom_test_typeI6__halfEELj64ELj2EENSt9enable_ifIXsr10test_utilsE35device_test_enabled_for_warp_size_vIXT1_EEEvE4typeEPT_S8_.uses_flat_scratch, 0
	.set _Z26warp_inclusive_scan_kernelIN10test_utils16custom_test_typeI6__halfEELj64ELj2EENSt9enable_ifIXsr10test_utilsE35device_test_enabled_for_warp_size_vIXT1_EEEvE4typeEPT_S8_.has_dyn_sized_stack, 0
	.set _Z26warp_inclusive_scan_kernelIN10test_utils16custom_test_typeI6__halfEELj64ELj2EENSt9enable_ifIXsr10test_utilsE35device_test_enabled_for_warp_size_vIXT1_EEEvE4typeEPT_S8_.has_recursion, 0
	.set _Z26warp_inclusive_scan_kernelIN10test_utils16custom_test_typeI6__halfEELj64ELj2EENSt9enable_ifIXsr10test_utilsE35device_test_enabled_for_warp_size_vIXT1_EEEvE4typeEPT_S8_.has_indirect_call, 0
	.section	.AMDGPU.csdata,"",@progbits
; Kernel info:
; codeLenInByte = 140
; TotalNumSgprs: 12
; NumVgprs: 6
; ScratchSize: 0
; MemoryBound: 0
; FloatMode: 240
; IeeeMode: 1
; LDSByteSize: 0 bytes/workgroup (compile time only)
; SGPRBlocks: 1
; VGPRBlocks: 1
; NumSGPRsForWavesPerEU: 12
; NumVGPRsForWavesPerEU: 6
; Occupancy: 10
; WaveLimiterHint : 0
; COMPUTE_PGM_RSRC2:SCRATCH_EN: 0
; COMPUTE_PGM_RSRC2:USER_SGPR: 6
; COMPUTE_PGM_RSRC2:TRAP_HANDLER: 0
; COMPUTE_PGM_RSRC2:TGID_X_EN: 1
; COMPUTE_PGM_RSRC2:TGID_Y_EN: 0
; COMPUTE_PGM_RSRC2:TGID_Z_EN: 0
; COMPUTE_PGM_RSRC2:TIDIG_COMP_CNT: 0
	.section	.text._Z26warp_inclusive_scan_kernelIN10test_utils16custom_test_typeIfEELj256ELj64EENSt9enable_ifIXsr10test_utilsE35device_test_enabled_for_warp_size_vIXT1_EEEvE4typeEPT_S7_,"axG",@progbits,_Z26warp_inclusive_scan_kernelIN10test_utils16custom_test_typeIfEELj256ELj64EENSt9enable_ifIXsr10test_utilsE35device_test_enabled_for_warp_size_vIXT1_EEEvE4typeEPT_S7_,comdat
	.protected	_Z26warp_inclusive_scan_kernelIN10test_utils16custom_test_typeIfEELj256ELj64EENSt9enable_ifIXsr10test_utilsE35device_test_enabled_for_warp_size_vIXT1_EEEvE4typeEPT_S7_ ; -- Begin function _Z26warp_inclusive_scan_kernelIN10test_utils16custom_test_typeIfEELj256ELj64EENSt9enable_ifIXsr10test_utilsE35device_test_enabled_for_warp_size_vIXT1_EEEvE4typeEPT_S7_
	.globl	_Z26warp_inclusive_scan_kernelIN10test_utils16custom_test_typeIfEELj256ELj64EENSt9enable_ifIXsr10test_utilsE35device_test_enabled_for_warp_size_vIXT1_EEEvE4typeEPT_S7_
	.p2align	8
	.type	_Z26warp_inclusive_scan_kernelIN10test_utils16custom_test_typeIfEELj256ELj64EENSt9enable_ifIXsr10test_utilsE35device_test_enabled_for_warp_size_vIXT1_EEEvE4typeEPT_S7_,@function
_Z26warp_inclusive_scan_kernelIN10test_utils16custom_test_typeIfEELj256ELj64EENSt9enable_ifIXsr10test_utilsE35device_test_enabled_for_warp_size_vIXT1_EEEvE4typeEPT_S7_: ; @_Z26warp_inclusive_scan_kernelIN10test_utils16custom_test_typeIfEELj256ELj64EENSt9enable_ifIXsr10test_utilsE35device_test_enabled_for_warp_size_vIXT1_EEEvE4typeEPT_S7_
; %bb.0:
	s_load_dword s7, s[4:5], 0x1c
	s_load_dwordx4 s[0:3], s[4:5], 0x0
	v_mov_b32_e32 v1, 0
	v_mbcnt_lo_u32_b32 v4, -1, 0
	v_mbcnt_hi_u32_b32 v4, -1, v4
	s_waitcnt lgkmcnt(0)
	s_and_b32 s4, s7, 0xffff
	s_mul_i32 s6, s6, s4
	v_add_u32_e32 v0, s6, v0
	v_lshlrev_b64 v[0:1], 3, v[0:1]
	v_mov_b32_e32 v3, s1
	v_add_co_u32_e32 v2, vcc, s0, v0
	v_addc_co_u32_e32 v3, vcc, v3, v1, vcc
	global_load_dwordx2 v[2:3], v[2:3], off
	v_and_b32_e32 v5, 15, v4
	v_cmp_ne_u32_e32 vcc, 0, v5
	s_waitcnt vmcnt(0)
	v_mov_b32_dpp v6, v2 row_shr:1 row_mask:0xf bank_mask:0xf
	v_mov_b32_dpp v7, v3 row_shr:1 row_mask:0xf bank_mask:0xf
	s_and_saveexec_b64 s[0:1], vcc
; %bb.1:
	v_add_f32_e32 v3, v3, v7
	v_add_f32_e32 v2, v2, v6
; %bb.2:
	s_or_b64 exec, exec, s[0:1]
	s_nop 0
	v_mov_b32_dpp v6, v2 row_shr:2 row_mask:0xf bank_mask:0xf
	v_mov_b32_dpp v7, v3 row_shr:2 row_mask:0xf bank_mask:0xf
	v_cmp_lt_u32_e32 vcc, 1, v5
	s_and_saveexec_b64 s[0:1], vcc
; %bb.3:
	v_add_f32_e32 v3, v3, v7
	v_add_f32_e32 v2, v2, v6
; %bb.4:
	s_or_b64 exec, exec, s[0:1]
	s_nop 0
	v_mov_b32_dpp v6, v2 row_shr:4 row_mask:0xf bank_mask:0xf
	v_mov_b32_dpp v7, v3 row_shr:4 row_mask:0xf bank_mask:0xf
	v_cmp_lt_u32_e32 vcc, 3, v5
	;; [unrolled: 10-line block ×3, first 2 shown]
	s_and_saveexec_b64 s[0:1], vcc
; %bb.7:
	v_add_f32_e32 v3, v3, v7
	v_add_f32_e32 v2, v2, v6
; %bb.8:
	s_or_b64 exec, exec, s[0:1]
	v_and_b32_e32 v7, 16, v4
	v_mov_b32_dpp v5, v2 row_bcast:15 row_mask:0xf bank_mask:0xf
	v_mov_b32_dpp v6, v3 row_bcast:15 row_mask:0xf bank_mask:0xf
	v_cmp_ne_u32_e32 vcc, 0, v7
	s_and_saveexec_b64 s[0:1], vcc
; %bb.9:
	v_add_f32_e32 v3, v3, v6
	v_add_f32_e32 v2, v2, v5
; %bb.10:
	s_or_b64 exec, exec, s[0:1]
	s_nop 0
	v_mov_b32_dpp v5, v2 row_bcast:31 row_mask:0xf bank_mask:0xf
	v_mov_b32_dpp v6, v3 row_bcast:31 row_mask:0xf bank_mask:0xf
	v_add_f32_e32 v5, v2, v5
	v_add_f32_e32 v6, v3, v6
	v_cmp_lt_u32_e32 vcc, 31, v4
	v_cndmask_b32_e32 v2, v2, v5, vcc
	v_cndmask_b32_e32 v3, v3, v6, vcc
	v_mov_b32_e32 v4, s3
	v_add_co_u32_e32 v0, vcc, s2, v0
	v_addc_co_u32_e32 v1, vcc, v4, v1, vcc
	global_store_dwordx2 v[0:1], v[2:3], off
	s_endpgm
	.section	.rodata,"a",@progbits
	.p2align	6, 0x0
	.amdhsa_kernel _Z26warp_inclusive_scan_kernelIN10test_utils16custom_test_typeIfEELj256ELj64EENSt9enable_ifIXsr10test_utilsE35device_test_enabled_for_warp_size_vIXT1_EEEvE4typeEPT_S7_
		.amdhsa_group_segment_fixed_size 0
		.amdhsa_private_segment_fixed_size 0
		.amdhsa_kernarg_size 272
		.amdhsa_user_sgpr_count 6
		.amdhsa_user_sgpr_private_segment_buffer 1
		.amdhsa_user_sgpr_dispatch_ptr 0
		.amdhsa_user_sgpr_queue_ptr 0
		.amdhsa_user_sgpr_kernarg_segment_ptr 1
		.amdhsa_user_sgpr_dispatch_id 0
		.amdhsa_user_sgpr_flat_scratch_init 0
		.amdhsa_user_sgpr_private_segment_size 0
		.amdhsa_uses_dynamic_stack 0
		.amdhsa_system_sgpr_private_segment_wavefront_offset 0
		.amdhsa_system_sgpr_workgroup_id_x 1
		.amdhsa_system_sgpr_workgroup_id_y 0
		.amdhsa_system_sgpr_workgroup_id_z 0
		.amdhsa_system_sgpr_workgroup_info 0
		.amdhsa_system_vgpr_workitem_id 0
		.amdhsa_next_free_vgpr 8
		.amdhsa_next_free_sgpr 8
		.amdhsa_reserve_vcc 1
		.amdhsa_reserve_flat_scratch 0
		.amdhsa_float_round_mode_32 0
		.amdhsa_float_round_mode_16_64 0
		.amdhsa_float_denorm_mode_32 3
		.amdhsa_float_denorm_mode_16_64 3
		.amdhsa_dx10_clamp 1
		.amdhsa_ieee_mode 1
		.amdhsa_fp16_overflow 0
		.amdhsa_exception_fp_ieee_invalid_op 0
		.amdhsa_exception_fp_denorm_src 0
		.amdhsa_exception_fp_ieee_div_zero 0
		.amdhsa_exception_fp_ieee_overflow 0
		.amdhsa_exception_fp_ieee_underflow 0
		.amdhsa_exception_fp_ieee_inexact 0
		.amdhsa_exception_int_div_zero 0
	.end_amdhsa_kernel
	.section	.text._Z26warp_inclusive_scan_kernelIN10test_utils16custom_test_typeIfEELj256ELj64EENSt9enable_ifIXsr10test_utilsE35device_test_enabled_for_warp_size_vIXT1_EEEvE4typeEPT_S7_,"axG",@progbits,_Z26warp_inclusive_scan_kernelIN10test_utils16custom_test_typeIfEELj256ELj64EENSt9enable_ifIXsr10test_utilsE35device_test_enabled_for_warp_size_vIXT1_EEEvE4typeEPT_S7_,comdat
.Lfunc_end318:
	.size	_Z26warp_inclusive_scan_kernelIN10test_utils16custom_test_typeIfEELj256ELj64EENSt9enable_ifIXsr10test_utilsE35device_test_enabled_for_warp_size_vIXT1_EEEvE4typeEPT_S7_, .Lfunc_end318-_Z26warp_inclusive_scan_kernelIN10test_utils16custom_test_typeIfEELj256ELj64EENSt9enable_ifIXsr10test_utilsE35device_test_enabled_for_warp_size_vIXT1_EEEvE4typeEPT_S7_
                                        ; -- End function
	.set _Z26warp_inclusive_scan_kernelIN10test_utils16custom_test_typeIfEELj256ELj64EENSt9enable_ifIXsr10test_utilsE35device_test_enabled_for_warp_size_vIXT1_EEEvE4typeEPT_S7_.num_vgpr, 8
	.set _Z26warp_inclusive_scan_kernelIN10test_utils16custom_test_typeIfEELj256ELj64EENSt9enable_ifIXsr10test_utilsE35device_test_enabled_for_warp_size_vIXT1_EEEvE4typeEPT_S7_.num_agpr, 0
	.set _Z26warp_inclusive_scan_kernelIN10test_utils16custom_test_typeIfEELj256ELj64EENSt9enable_ifIXsr10test_utilsE35device_test_enabled_for_warp_size_vIXT1_EEEvE4typeEPT_S7_.numbered_sgpr, 8
	.set _Z26warp_inclusive_scan_kernelIN10test_utils16custom_test_typeIfEELj256ELj64EENSt9enable_ifIXsr10test_utilsE35device_test_enabled_for_warp_size_vIXT1_EEEvE4typeEPT_S7_.num_named_barrier, 0
	.set _Z26warp_inclusive_scan_kernelIN10test_utils16custom_test_typeIfEELj256ELj64EENSt9enable_ifIXsr10test_utilsE35device_test_enabled_for_warp_size_vIXT1_EEEvE4typeEPT_S7_.private_seg_size, 0
	.set _Z26warp_inclusive_scan_kernelIN10test_utils16custom_test_typeIfEELj256ELj64EENSt9enable_ifIXsr10test_utilsE35device_test_enabled_for_warp_size_vIXT1_EEEvE4typeEPT_S7_.uses_vcc, 1
	.set _Z26warp_inclusive_scan_kernelIN10test_utils16custom_test_typeIfEELj256ELj64EENSt9enable_ifIXsr10test_utilsE35device_test_enabled_for_warp_size_vIXT1_EEEvE4typeEPT_S7_.uses_flat_scratch, 0
	.set _Z26warp_inclusive_scan_kernelIN10test_utils16custom_test_typeIfEELj256ELj64EENSt9enable_ifIXsr10test_utilsE35device_test_enabled_for_warp_size_vIXT1_EEEvE4typeEPT_S7_.has_dyn_sized_stack, 0
	.set _Z26warp_inclusive_scan_kernelIN10test_utils16custom_test_typeIfEELj256ELj64EENSt9enable_ifIXsr10test_utilsE35device_test_enabled_for_warp_size_vIXT1_EEEvE4typeEPT_S7_.has_recursion, 0
	.set _Z26warp_inclusive_scan_kernelIN10test_utils16custom_test_typeIfEELj256ELj64EENSt9enable_ifIXsr10test_utilsE35device_test_enabled_for_warp_size_vIXT1_EEEvE4typeEPT_S7_.has_indirect_call, 0
	.section	.AMDGPU.csdata,"",@progbits
; Kernel info:
; codeLenInByte = 352
; TotalNumSgprs: 12
; NumVgprs: 8
; ScratchSize: 0
; MemoryBound: 0
; FloatMode: 240
; IeeeMode: 1
; LDSByteSize: 0 bytes/workgroup (compile time only)
; SGPRBlocks: 1
; VGPRBlocks: 1
; NumSGPRsForWavesPerEU: 12
; NumVGPRsForWavesPerEU: 8
; Occupancy: 10
; WaveLimiterHint : 0
; COMPUTE_PGM_RSRC2:SCRATCH_EN: 0
; COMPUTE_PGM_RSRC2:USER_SGPR: 6
; COMPUTE_PGM_RSRC2:TRAP_HANDLER: 0
; COMPUTE_PGM_RSRC2:TGID_X_EN: 1
; COMPUTE_PGM_RSRC2:TGID_Y_EN: 0
; COMPUTE_PGM_RSRC2:TGID_Z_EN: 0
; COMPUTE_PGM_RSRC2:TIDIG_COMP_CNT: 0
	.section	.text._Z26warp_inclusive_scan_kernelIN10test_utils16custom_test_typeIfEELj128ELj32EENSt9enable_ifIXsr10test_utilsE35device_test_enabled_for_warp_size_vIXT1_EEEvE4typeEPT_S7_,"axG",@progbits,_Z26warp_inclusive_scan_kernelIN10test_utils16custom_test_typeIfEELj128ELj32EENSt9enable_ifIXsr10test_utilsE35device_test_enabled_for_warp_size_vIXT1_EEEvE4typeEPT_S7_,comdat
	.protected	_Z26warp_inclusive_scan_kernelIN10test_utils16custom_test_typeIfEELj128ELj32EENSt9enable_ifIXsr10test_utilsE35device_test_enabled_for_warp_size_vIXT1_EEEvE4typeEPT_S7_ ; -- Begin function _Z26warp_inclusive_scan_kernelIN10test_utils16custom_test_typeIfEELj128ELj32EENSt9enable_ifIXsr10test_utilsE35device_test_enabled_for_warp_size_vIXT1_EEEvE4typeEPT_S7_
	.globl	_Z26warp_inclusive_scan_kernelIN10test_utils16custom_test_typeIfEELj128ELj32EENSt9enable_ifIXsr10test_utilsE35device_test_enabled_for_warp_size_vIXT1_EEEvE4typeEPT_S7_
	.p2align	8
	.type	_Z26warp_inclusive_scan_kernelIN10test_utils16custom_test_typeIfEELj128ELj32EENSt9enable_ifIXsr10test_utilsE35device_test_enabled_for_warp_size_vIXT1_EEEvE4typeEPT_S7_,@function
_Z26warp_inclusive_scan_kernelIN10test_utils16custom_test_typeIfEELj128ELj32EENSt9enable_ifIXsr10test_utilsE35device_test_enabled_for_warp_size_vIXT1_EEEvE4typeEPT_S7_: ; @_Z26warp_inclusive_scan_kernelIN10test_utils16custom_test_typeIfEELj128ELj32EENSt9enable_ifIXsr10test_utilsE35device_test_enabled_for_warp_size_vIXT1_EEEvE4typeEPT_S7_
; %bb.0:
	s_load_dword s7, s[4:5], 0x1c
	s_load_dwordx4 s[0:3], s[4:5], 0x0
	v_mov_b32_e32 v1, 0
	v_mbcnt_lo_u32_b32 v4, -1, 0
	v_mbcnt_hi_u32_b32 v4, -1, v4
	s_waitcnt lgkmcnt(0)
	s_and_b32 s4, s7, 0xffff
	s_mul_i32 s6, s6, s4
	v_add_u32_e32 v0, s6, v0
	v_lshlrev_b64 v[0:1], 3, v[0:1]
	v_mov_b32_e32 v3, s1
	v_add_co_u32_e32 v2, vcc, s0, v0
	v_addc_co_u32_e32 v3, vcc, v3, v1, vcc
	global_load_dwordx2 v[2:3], v[2:3], off
	v_and_b32_e32 v5, 15, v4
	v_cmp_ne_u32_e32 vcc, 0, v5
	s_waitcnt vmcnt(0)
	v_mov_b32_dpp v6, v2 row_shr:1 row_mask:0xf bank_mask:0xf
	v_mov_b32_dpp v7, v3 row_shr:1 row_mask:0xf bank_mask:0xf
	s_and_saveexec_b64 s[0:1], vcc
; %bb.1:
	v_add_f32_e32 v3, v3, v7
	v_add_f32_e32 v2, v2, v6
; %bb.2:
	s_or_b64 exec, exec, s[0:1]
	s_nop 0
	v_mov_b32_dpp v6, v2 row_shr:2 row_mask:0xf bank_mask:0xf
	v_mov_b32_dpp v7, v3 row_shr:2 row_mask:0xf bank_mask:0xf
	v_cmp_lt_u32_e32 vcc, 1, v5
	s_and_saveexec_b64 s[0:1], vcc
; %bb.3:
	v_add_f32_e32 v3, v3, v7
	v_add_f32_e32 v2, v2, v6
; %bb.4:
	s_or_b64 exec, exec, s[0:1]
	s_nop 0
	v_mov_b32_dpp v6, v2 row_shr:4 row_mask:0xf bank_mask:0xf
	v_mov_b32_dpp v7, v3 row_shr:4 row_mask:0xf bank_mask:0xf
	v_cmp_lt_u32_e32 vcc, 3, v5
	;; [unrolled: 10-line block ×3, first 2 shown]
	s_and_saveexec_b64 s[0:1], vcc
; %bb.7:
	v_add_f32_e32 v3, v3, v7
	v_add_f32_e32 v2, v2, v6
; %bb.8:
	s_or_b64 exec, exec, s[0:1]
	s_nop 0
	v_mov_b32_dpp v5, v2 row_bcast:15 row_mask:0xf bank_mask:0xf
	v_mov_b32_dpp v6, v3 row_bcast:15 row_mask:0xf bank_mask:0xf
	v_and_b32_e32 v4, 16, v4
	v_add_f32_e32 v5, v2, v5
	v_add_f32_e32 v6, v3, v6
	v_cmp_eq_u32_e32 vcc, 0, v4
	v_cndmask_b32_e32 v2, v5, v2, vcc
	v_cndmask_b32_e32 v3, v6, v3, vcc
	v_mov_b32_e32 v4, s3
	v_add_co_u32_e32 v0, vcc, s2, v0
	v_addc_co_u32_e32 v1, vcc, v4, v1, vcc
	global_store_dwordx2 v[0:1], v[2:3], off
	s_endpgm
	.section	.rodata,"a",@progbits
	.p2align	6, 0x0
	.amdhsa_kernel _Z26warp_inclusive_scan_kernelIN10test_utils16custom_test_typeIfEELj128ELj32EENSt9enable_ifIXsr10test_utilsE35device_test_enabled_for_warp_size_vIXT1_EEEvE4typeEPT_S7_
		.amdhsa_group_segment_fixed_size 0
		.amdhsa_private_segment_fixed_size 0
		.amdhsa_kernarg_size 272
		.amdhsa_user_sgpr_count 6
		.amdhsa_user_sgpr_private_segment_buffer 1
		.amdhsa_user_sgpr_dispatch_ptr 0
		.amdhsa_user_sgpr_queue_ptr 0
		.amdhsa_user_sgpr_kernarg_segment_ptr 1
		.amdhsa_user_sgpr_dispatch_id 0
		.amdhsa_user_sgpr_flat_scratch_init 0
		.amdhsa_user_sgpr_private_segment_size 0
		.amdhsa_uses_dynamic_stack 0
		.amdhsa_system_sgpr_private_segment_wavefront_offset 0
		.amdhsa_system_sgpr_workgroup_id_x 1
		.amdhsa_system_sgpr_workgroup_id_y 0
		.amdhsa_system_sgpr_workgroup_id_z 0
		.amdhsa_system_sgpr_workgroup_info 0
		.amdhsa_system_vgpr_workitem_id 0
		.amdhsa_next_free_vgpr 8
		.amdhsa_next_free_sgpr 8
		.amdhsa_reserve_vcc 1
		.amdhsa_reserve_flat_scratch 0
		.amdhsa_float_round_mode_32 0
		.amdhsa_float_round_mode_16_64 0
		.amdhsa_float_denorm_mode_32 3
		.amdhsa_float_denorm_mode_16_64 3
		.amdhsa_dx10_clamp 1
		.amdhsa_ieee_mode 1
		.amdhsa_fp16_overflow 0
		.amdhsa_exception_fp_ieee_invalid_op 0
		.amdhsa_exception_fp_denorm_src 0
		.amdhsa_exception_fp_ieee_div_zero 0
		.amdhsa_exception_fp_ieee_overflow 0
		.amdhsa_exception_fp_ieee_underflow 0
		.amdhsa_exception_fp_ieee_inexact 0
		.amdhsa_exception_int_div_zero 0
	.end_amdhsa_kernel
	.section	.text._Z26warp_inclusive_scan_kernelIN10test_utils16custom_test_typeIfEELj128ELj32EENSt9enable_ifIXsr10test_utilsE35device_test_enabled_for_warp_size_vIXT1_EEEvE4typeEPT_S7_,"axG",@progbits,_Z26warp_inclusive_scan_kernelIN10test_utils16custom_test_typeIfEELj128ELj32EENSt9enable_ifIXsr10test_utilsE35device_test_enabled_for_warp_size_vIXT1_EEEvE4typeEPT_S7_,comdat
.Lfunc_end319:
	.size	_Z26warp_inclusive_scan_kernelIN10test_utils16custom_test_typeIfEELj128ELj32EENSt9enable_ifIXsr10test_utilsE35device_test_enabled_for_warp_size_vIXT1_EEEvE4typeEPT_S7_, .Lfunc_end319-_Z26warp_inclusive_scan_kernelIN10test_utils16custom_test_typeIfEELj128ELj32EENSt9enable_ifIXsr10test_utilsE35device_test_enabled_for_warp_size_vIXT1_EEEvE4typeEPT_S7_
                                        ; -- End function
	.set _Z26warp_inclusive_scan_kernelIN10test_utils16custom_test_typeIfEELj128ELj32EENSt9enable_ifIXsr10test_utilsE35device_test_enabled_for_warp_size_vIXT1_EEEvE4typeEPT_S7_.num_vgpr, 8
	.set _Z26warp_inclusive_scan_kernelIN10test_utils16custom_test_typeIfEELj128ELj32EENSt9enable_ifIXsr10test_utilsE35device_test_enabled_for_warp_size_vIXT1_EEEvE4typeEPT_S7_.num_agpr, 0
	.set _Z26warp_inclusive_scan_kernelIN10test_utils16custom_test_typeIfEELj128ELj32EENSt9enable_ifIXsr10test_utilsE35device_test_enabled_for_warp_size_vIXT1_EEEvE4typeEPT_S7_.numbered_sgpr, 8
	.set _Z26warp_inclusive_scan_kernelIN10test_utils16custom_test_typeIfEELj128ELj32EENSt9enable_ifIXsr10test_utilsE35device_test_enabled_for_warp_size_vIXT1_EEEvE4typeEPT_S7_.num_named_barrier, 0
	.set _Z26warp_inclusive_scan_kernelIN10test_utils16custom_test_typeIfEELj128ELj32EENSt9enable_ifIXsr10test_utilsE35device_test_enabled_for_warp_size_vIXT1_EEEvE4typeEPT_S7_.private_seg_size, 0
	.set _Z26warp_inclusive_scan_kernelIN10test_utils16custom_test_typeIfEELj128ELj32EENSt9enable_ifIXsr10test_utilsE35device_test_enabled_for_warp_size_vIXT1_EEEvE4typeEPT_S7_.uses_vcc, 1
	.set _Z26warp_inclusive_scan_kernelIN10test_utils16custom_test_typeIfEELj128ELj32EENSt9enable_ifIXsr10test_utilsE35device_test_enabled_for_warp_size_vIXT1_EEEvE4typeEPT_S7_.uses_flat_scratch, 0
	.set _Z26warp_inclusive_scan_kernelIN10test_utils16custom_test_typeIfEELj128ELj32EENSt9enable_ifIXsr10test_utilsE35device_test_enabled_for_warp_size_vIXT1_EEEvE4typeEPT_S7_.has_dyn_sized_stack, 0
	.set _Z26warp_inclusive_scan_kernelIN10test_utils16custom_test_typeIfEELj128ELj32EENSt9enable_ifIXsr10test_utilsE35device_test_enabled_for_warp_size_vIXT1_EEEvE4typeEPT_S7_.has_recursion, 0
	.set _Z26warp_inclusive_scan_kernelIN10test_utils16custom_test_typeIfEELj128ELj32EENSt9enable_ifIXsr10test_utilsE35device_test_enabled_for_warp_size_vIXT1_EEEvE4typeEPT_S7_.has_indirect_call, 0
	.section	.AMDGPU.csdata,"",@progbits
; Kernel info:
; codeLenInByte = 316
; TotalNumSgprs: 12
; NumVgprs: 8
; ScratchSize: 0
; MemoryBound: 0
; FloatMode: 240
; IeeeMode: 1
; LDSByteSize: 0 bytes/workgroup (compile time only)
; SGPRBlocks: 1
; VGPRBlocks: 1
; NumSGPRsForWavesPerEU: 12
; NumVGPRsForWavesPerEU: 8
; Occupancy: 10
; WaveLimiterHint : 0
; COMPUTE_PGM_RSRC2:SCRATCH_EN: 0
; COMPUTE_PGM_RSRC2:USER_SGPR: 6
; COMPUTE_PGM_RSRC2:TRAP_HANDLER: 0
; COMPUTE_PGM_RSRC2:TGID_X_EN: 1
; COMPUTE_PGM_RSRC2:TGID_Y_EN: 0
; COMPUTE_PGM_RSRC2:TGID_Z_EN: 0
; COMPUTE_PGM_RSRC2:TIDIG_COMP_CNT: 0
	.section	.text._Z26warp_inclusive_scan_kernelIN10test_utils16custom_test_typeIfEELj64ELj16EENSt9enable_ifIXsr10test_utilsE35device_test_enabled_for_warp_size_vIXT1_EEEvE4typeEPT_S7_,"axG",@progbits,_Z26warp_inclusive_scan_kernelIN10test_utils16custom_test_typeIfEELj64ELj16EENSt9enable_ifIXsr10test_utilsE35device_test_enabled_for_warp_size_vIXT1_EEEvE4typeEPT_S7_,comdat
	.protected	_Z26warp_inclusive_scan_kernelIN10test_utils16custom_test_typeIfEELj64ELj16EENSt9enable_ifIXsr10test_utilsE35device_test_enabled_for_warp_size_vIXT1_EEEvE4typeEPT_S7_ ; -- Begin function _Z26warp_inclusive_scan_kernelIN10test_utils16custom_test_typeIfEELj64ELj16EENSt9enable_ifIXsr10test_utilsE35device_test_enabled_for_warp_size_vIXT1_EEEvE4typeEPT_S7_
	.globl	_Z26warp_inclusive_scan_kernelIN10test_utils16custom_test_typeIfEELj64ELj16EENSt9enable_ifIXsr10test_utilsE35device_test_enabled_for_warp_size_vIXT1_EEEvE4typeEPT_S7_
	.p2align	8
	.type	_Z26warp_inclusive_scan_kernelIN10test_utils16custom_test_typeIfEELj64ELj16EENSt9enable_ifIXsr10test_utilsE35device_test_enabled_for_warp_size_vIXT1_EEEvE4typeEPT_S7_,@function
_Z26warp_inclusive_scan_kernelIN10test_utils16custom_test_typeIfEELj64ELj16EENSt9enable_ifIXsr10test_utilsE35device_test_enabled_for_warp_size_vIXT1_EEEvE4typeEPT_S7_: ; @_Z26warp_inclusive_scan_kernelIN10test_utils16custom_test_typeIfEELj64ELj16EENSt9enable_ifIXsr10test_utilsE35device_test_enabled_for_warp_size_vIXT1_EEEvE4typeEPT_S7_
; %bb.0:
	s_load_dword s7, s[4:5], 0x1c
	s_load_dwordx4 s[0:3], s[4:5], 0x0
	v_mov_b32_e32 v1, 0
	v_mbcnt_lo_u32_b32 v4, -1, 0
	v_mbcnt_hi_u32_b32 v4, -1, v4
	s_waitcnt lgkmcnt(0)
	s_and_b32 s4, s7, 0xffff
	s_mul_i32 s6, s6, s4
	v_add_u32_e32 v0, s6, v0
	v_lshlrev_b64 v[0:1], 3, v[0:1]
	v_mov_b32_e32 v3, s1
	v_add_co_u32_e32 v2, vcc, s0, v0
	v_addc_co_u32_e32 v3, vcc, v3, v1, vcc
	global_load_dwordx2 v[2:3], v[2:3], off
	v_and_b32_e32 v4, 15, v4
	v_cmp_ne_u32_e32 vcc, 0, v4
	s_waitcnt vmcnt(0)
	v_mov_b32_dpp v5, v2 row_shr:1 row_mask:0xf bank_mask:0xf
	v_mov_b32_dpp v6, v3 row_shr:1 row_mask:0xf bank_mask:0xf
	s_and_saveexec_b64 s[0:1], vcc
; %bb.1:
	v_add_f32_e32 v3, v3, v6
	v_add_f32_e32 v2, v2, v5
; %bb.2:
	s_or_b64 exec, exec, s[0:1]
	s_nop 0
	v_mov_b32_dpp v5, v2 row_shr:2 row_mask:0xf bank_mask:0xf
	v_mov_b32_dpp v6, v3 row_shr:2 row_mask:0xf bank_mask:0xf
	v_cmp_lt_u32_e32 vcc, 1, v4
	s_and_saveexec_b64 s[0:1], vcc
; %bb.3:
	v_add_f32_e32 v3, v3, v6
	v_add_f32_e32 v2, v2, v5
; %bb.4:
	s_or_b64 exec, exec, s[0:1]
	s_nop 0
	v_mov_b32_dpp v5, v2 row_shr:4 row_mask:0xf bank_mask:0xf
	v_mov_b32_dpp v6, v3 row_shr:4 row_mask:0xf bank_mask:0xf
	v_cmp_lt_u32_e32 vcc, 3, v4
	s_and_saveexec_b64 s[0:1], vcc
; %bb.5:
	v_add_f32_e32 v3, v3, v6
	v_add_f32_e32 v2, v2, v5
; %bb.6:
	s_or_b64 exec, exec, s[0:1]
	s_nop 0
	v_mov_b32_dpp v5, v2 row_shr:8 row_mask:0xf bank_mask:0xf
	v_mov_b32_dpp v6, v3 row_shr:8 row_mask:0xf bank_mask:0xf
	v_add_f32_e32 v5, v2, v5
	v_add_f32_e32 v6, v3, v6
	v_cmp_lt_u32_e32 vcc, 7, v4
	v_cndmask_b32_e32 v2, v2, v5, vcc
	v_cndmask_b32_e32 v3, v3, v6, vcc
	v_mov_b32_e32 v4, s3
	v_add_co_u32_e32 v0, vcc, s2, v0
	v_addc_co_u32_e32 v1, vcc, v4, v1, vcc
	global_store_dwordx2 v[0:1], v[2:3], off
	s_endpgm
	.section	.rodata,"a",@progbits
	.p2align	6, 0x0
	.amdhsa_kernel _Z26warp_inclusive_scan_kernelIN10test_utils16custom_test_typeIfEELj64ELj16EENSt9enable_ifIXsr10test_utilsE35device_test_enabled_for_warp_size_vIXT1_EEEvE4typeEPT_S7_
		.amdhsa_group_segment_fixed_size 0
		.amdhsa_private_segment_fixed_size 0
		.amdhsa_kernarg_size 272
		.amdhsa_user_sgpr_count 6
		.amdhsa_user_sgpr_private_segment_buffer 1
		.amdhsa_user_sgpr_dispatch_ptr 0
		.amdhsa_user_sgpr_queue_ptr 0
		.amdhsa_user_sgpr_kernarg_segment_ptr 1
		.amdhsa_user_sgpr_dispatch_id 0
		.amdhsa_user_sgpr_flat_scratch_init 0
		.amdhsa_user_sgpr_private_segment_size 0
		.amdhsa_uses_dynamic_stack 0
		.amdhsa_system_sgpr_private_segment_wavefront_offset 0
		.amdhsa_system_sgpr_workgroup_id_x 1
		.amdhsa_system_sgpr_workgroup_id_y 0
		.amdhsa_system_sgpr_workgroup_id_z 0
		.amdhsa_system_sgpr_workgroup_info 0
		.amdhsa_system_vgpr_workitem_id 0
		.amdhsa_next_free_vgpr 7
		.amdhsa_next_free_sgpr 8
		.amdhsa_reserve_vcc 1
		.amdhsa_reserve_flat_scratch 0
		.amdhsa_float_round_mode_32 0
		.amdhsa_float_round_mode_16_64 0
		.amdhsa_float_denorm_mode_32 3
		.amdhsa_float_denorm_mode_16_64 3
		.amdhsa_dx10_clamp 1
		.amdhsa_ieee_mode 1
		.amdhsa_fp16_overflow 0
		.amdhsa_exception_fp_ieee_invalid_op 0
		.amdhsa_exception_fp_denorm_src 0
		.amdhsa_exception_fp_ieee_div_zero 0
		.amdhsa_exception_fp_ieee_overflow 0
		.amdhsa_exception_fp_ieee_underflow 0
		.amdhsa_exception_fp_ieee_inexact 0
		.amdhsa_exception_int_div_zero 0
	.end_amdhsa_kernel
	.section	.text._Z26warp_inclusive_scan_kernelIN10test_utils16custom_test_typeIfEELj64ELj16EENSt9enable_ifIXsr10test_utilsE35device_test_enabled_for_warp_size_vIXT1_EEEvE4typeEPT_S7_,"axG",@progbits,_Z26warp_inclusive_scan_kernelIN10test_utils16custom_test_typeIfEELj64ELj16EENSt9enable_ifIXsr10test_utilsE35device_test_enabled_for_warp_size_vIXT1_EEEvE4typeEPT_S7_,comdat
.Lfunc_end320:
	.size	_Z26warp_inclusive_scan_kernelIN10test_utils16custom_test_typeIfEELj64ELj16EENSt9enable_ifIXsr10test_utilsE35device_test_enabled_for_warp_size_vIXT1_EEEvE4typeEPT_S7_, .Lfunc_end320-_Z26warp_inclusive_scan_kernelIN10test_utils16custom_test_typeIfEELj64ELj16EENSt9enable_ifIXsr10test_utilsE35device_test_enabled_for_warp_size_vIXT1_EEEvE4typeEPT_S7_
                                        ; -- End function
	.set _Z26warp_inclusive_scan_kernelIN10test_utils16custom_test_typeIfEELj64ELj16EENSt9enable_ifIXsr10test_utilsE35device_test_enabled_for_warp_size_vIXT1_EEEvE4typeEPT_S7_.num_vgpr, 7
	.set _Z26warp_inclusive_scan_kernelIN10test_utils16custom_test_typeIfEELj64ELj16EENSt9enable_ifIXsr10test_utilsE35device_test_enabled_for_warp_size_vIXT1_EEEvE4typeEPT_S7_.num_agpr, 0
	.set _Z26warp_inclusive_scan_kernelIN10test_utils16custom_test_typeIfEELj64ELj16EENSt9enable_ifIXsr10test_utilsE35device_test_enabled_for_warp_size_vIXT1_EEEvE4typeEPT_S7_.numbered_sgpr, 8
	.set _Z26warp_inclusive_scan_kernelIN10test_utils16custom_test_typeIfEELj64ELj16EENSt9enable_ifIXsr10test_utilsE35device_test_enabled_for_warp_size_vIXT1_EEEvE4typeEPT_S7_.num_named_barrier, 0
	.set _Z26warp_inclusive_scan_kernelIN10test_utils16custom_test_typeIfEELj64ELj16EENSt9enable_ifIXsr10test_utilsE35device_test_enabled_for_warp_size_vIXT1_EEEvE4typeEPT_S7_.private_seg_size, 0
	.set _Z26warp_inclusive_scan_kernelIN10test_utils16custom_test_typeIfEELj64ELj16EENSt9enable_ifIXsr10test_utilsE35device_test_enabled_for_warp_size_vIXT1_EEEvE4typeEPT_S7_.uses_vcc, 1
	.set _Z26warp_inclusive_scan_kernelIN10test_utils16custom_test_typeIfEELj64ELj16EENSt9enable_ifIXsr10test_utilsE35device_test_enabled_for_warp_size_vIXT1_EEEvE4typeEPT_S7_.uses_flat_scratch, 0
	.set _Z26warp_inclusive_scan_kernelIN10test_utils16custom_test_typeIfEELj64ELj16EENSt9enable_ifIXsr10test_utilsE35device_test_enabled_for_warp_size_vIXT1_EEEvE4typeEPT_S7_.has_dyn_sized_stack, 0
	.set _Z26warp_inclusive_scan_kernelIN10test_utils16custom_test_typeIfEELj64ELj16EENSt9enable_ifIXsr10test_utilsE35device_test_enabled_for_warp_size_vIXT1_EEEvE4typeEPT_S7_.has_recursion, 0
	.set _Z26warp_inclusive_scan_kernelIN10test_utils16custom_test_typeIfEELj64ELj16EENSt9enable_ifIXsr10test_utilsE35device_test_enabled_for_warp_size_vIXT1_EEEvE4typeEPT_S7_.has_indirect_call, 0
	.section	.AMDGPU.csdata,"",@progbits
; Kernel info:
; codeLenInByte = 272
; TotalNumSgprs: 12
; NumVgprs: 7
; ScratchSize: 0
; MemoryBound: 0
; FloatMode: 240
; IeeeMode: 1
; LDSByteSize: 0 bytes/workgroup (compile time only)
; SGPRBlocks: 1
; VGPRBlocks: 1
; NumSGPRsForWavesPerEU: 12
; NumVGPRsForWavesPerEU: 7
; Occupancy: 10
; WaveLimiterHint : 0
; COMPUTE_PGM_RSRC2:SCRATCH_EN: 0
; COMPUTE_PGM_RSRC2:USER_SGPR: 6
; COMPUTE_PGM_RSRC2:TRAP_HANDLER: 0
; COMPUTE_PGM_RSRC2:TGID_X_EN: 1
; COMPUTE_PGM_RSRC2:TGID_Y_EN: 0
; COMPUTE_PGM_RSRC2:TGID_Z_EN: 0
; COMPUTE_PGM_RSRC2:TIDIG_COMP_CNT: 0
	.section	.text._Z26warp_inclusive_scan_kernelIN10test_utils16custom_test_typeIfEELj32ELj8EENSt9enable_ifIXsr10test_utilsE35device_test_enabled_for_warp_size_vIXT1_EEEvE4typeEPT_S7_,"axG",@progbits,_Z26warp_inclusive_scan_kernelIN10test_utils16custom_test_typeIfEELj32ELj8EENSt9enable_ifIXsr10test_utilsE35device_test_enabled_for_warp_size_vIXT1_EEEvE4typeEPT_S7_,comdat
	.protected	_Z26warp_inclusive_scan_kernelIN10test_utils16custom_test_typeIfEELj32ELj8EENSt9enable_ifIXsr10test_utilsE35device_test_enabled_for_warp_size_vIXT1_EEEvE4typeEPT_S7_ ; -- Begin function _Z26warp_inclusive_scan_kernelIN10test_utils16custom_test_typeIfEELj32ELj8EENSt9enable_ifIXsr10test_utilsE35device_test_enabled_for_warp_size_vIXT1_EEEvE4typeEPT_S7_
	.globl	_Z26warp_inclusive_scan_kernelIN10test_utils16custom_test_typeIfEELj32ELj8EENSt9enable_ifIXsr10test_utilsE35device_test_enabled_for_warp_size_vIXT1_EEEvE4typeEPT_S7_
	.p2align	8
	.type	_Z26warp_inclusive_scan_kernelIN10test_utils16custom_test_typeIfEELj32ELj8EENSt9enable_ifIXsr10test_utilsE35device_test_enabled_for_warp_size_vIXT1_EEEvE4typeEPT_S7_,@function
_Z26warp_inclusive_scan_kernelIN10test_utils16custom_test_typeIfEELj32ELj8EENSt9enable_ifIXsr10test_utilsE35device_test_enabled_for_warp_size_vIXT1_EEEvE4typeEPT_S7_: ; @_Z26warp_inclusive_scan_kernelIN10test_utils16custom_test_typeIfEELj32ELj8EENSt9enable_ifIXsr10test_utilsE35device_test_enabled_for_warp_size_vIXT1_EEEvE4typeEPT_S7_
; %bb.0:
	s_load_dword s7, s[4:5], 0x1c
	s_load_dwordx4 s[0:3], s[4:5], 0x0
	v_mov_b32_e32 v1, 0
	v_mbcnt_lo_u32_b32 v4, -1, 0
	v_mbcnt_hi_u32_b32 v4, -1, v4
	s_waitcnt lgkmcnt(0)
	s_and_b32 s4, s7, 0xffff
	s_mul_i32 s6, s6, s4
	v_add_u32_e32 v0, s6, v0
	v_lshlrev_b64 v[0:1], 3, v[0:1]
	v_mov_b32_e32 v3, s1
	v_add_co_u32_e32 v2, vcc, s0, v0
	v_addc_co_u32_e32 v3, vcc, v3, v1, vcc
	global_load_dwordx2 v[2:3], v[2:3], off
	v_and_b32_e32 v4, 7, v4
	v_cmp_ne_u32_e32 vcc, 0, v4
	s_waitcnt vmcnt(0)
	v_mov_b32_dpp v5, v2 row_shr:1 row_mask:0xf bank_mask:0xf
	v_mov_b32_dpp v6, v3 row_shr:1 row_mask:0xf bank_mask:0xf
	s_and_saveexec_b64 s[0:1], vcc
; %bb.1:
	v_add_f32_e32 v3, v3, v6
	v_add_f32_e32 v2, v2, v5
; %bb.2:
	s_or_b64 exec, exec, s[0:1]
	s_nop 0
	v_mov_b32_dpp v5, v2 row_shr:2 row_mask:0xf bank_mask:0xf
	v_mov_b32_dpp v6, v3 row_shr:2 row_mask:0xf bank_mask:0xf
	v_cmp_lt_u32_e32 vcc, 1, v4
	s_and_saveexec_b64 s[0:1], vcc
; %bb.3:
	v_add_f32_e32 v3, v3, v6
	v_add_f32_e32 v2, v2, v5
; %bb.4:
	s_or_b64 exec, exec, s[0:1]
	s_nop 0
	v_mov_b32_dpp v5, v2 row_shr:4 row_mask:0xf bank_mask:0xf
	v_mov_b32_dpp v6, v3 row_shr:4 row_mask:0xf bank_mask:0xf
	v_add_f32_e32 v5, v2, v5
	v_add_f32_e32 v6, v3, v6
	v_cmp_lt_u32_e32 vcc, 3, v4
	v_cndmask_b32_e32 v2, v2, v5, vcc
	v_cndmask_b32_e32 v3, v3, v6, vcc
	v_mov_b32_e32 v4, s3
	v_add_co_u32_e32 v0, vcc, s2, v0
	v_addc_co_u32_e32 v1, vcc, v4, v1, vcc
	global_store_dwordx2 v[0:1], v[2:3], off
	s_endpgm
	.section	.rodata,"a",@progbits
	.p2align	6, 0x0
	.amdhsa_kernel _Z26warp_inclusive_scan_kernelIN10test_utils16custom_test_typeIfEELj32ELj8EENSt9enable_ifIXsr10test_utilsE35device_test_enabled_for_warp_size_vIXT1_EEEvE4typeEPT_S7_
		.amdhsa_group_segment_fixed_size 0
		.amdhsa_private_segment_fixed_size 0
		.amdhsa_kernarg_size 272
		.amdhsa_user_sgpr_count 6
		.amdhsa_user_sgpr_private_segment_buffer 1
		.amdhsa_user_sgpr_dispatch_ptr 0
		.amdhsa_user_sgpr_queue_ptr 0
		.amdhsa_user_sgpr_kernarg_segment_ptr 1
		.amdhsa_user_sgpr_dispatch_id 0
		.amdhsa_user_sgpr_flat_scratch_init 0
		.amdhsa_user_sgpr_private_segment_size 0
		.amdhsa_uses_dynamic_stack 0
		.amdhsa_system_sgpr_private_segment_wavefront_offset 0
		.amdhsa_system_sgpr_workgroup_id_x 1
		.amdhsa_system_sgpr_workgroup_id_y 0
		.amdhsa_system_sgpr_workgroup_id_z 0
		.amdhsa_system_sgpr_workgroup_info 0
		.amdhsa_system_vgpr_workitem_id 0
		.amdhsa_next_free_vgpr 7
		.amdhsa_next_free_sgpr 8
		.amdhsa_reserve_vcc 1
		.amdhsa_reserve_flat_scratch 0
		.amdhsa_float_round_mode_32 0
		.amdhsa_float_round_mode_16_64 0
		.amdhsa_float_denorm_mode_32 3
		.amdhsa_float_denorm_mode_16_64 3
		.amdhsa_dx10_clamp 1
		.amdhsa_ieee_mode 1
		.amdhsa_fp16_overflow 0
		.amdhsa_exception_fp_ieee_invalid_op 0
		.amdhsa_exception_fp_denorm_src 0
		.amdhsa_exception_fp_ieee_div_zero 0
		.amdhsa_exception_fp_ieee_overflow 0
		.amdhsa_exception_fp_ieee_underflow 0
		.amdhsa_exception_fp_ieee_inexact 0
		.amdhsa_exception_int_div_zero 0
	.end_amdhsa_kernel
	.section	.text._Z26warp_inclusive_scan_kernelIN10test_utils16custom_test_typeIfEELj32ELj8EENSt9enable_ifIXsr10test_utilsE35device_test_enabled_for_warp_size_vIXT1_EEEvE4typeEPT_S7_,"axG",@progbits,_Z26warp_inclusive_scan_kernelIN10test_utils16custom_test_typeIfEELj32ELj8EENSt9enable_ifIXsr10test_utilsE35device_test_enabled_for_warp_size_vIXT1_EEEvE4typeEPT_S7_,comdat
.Lfunc_end321:
	.size	_Z26warp_inclusive_scan_kernelIN10test_utils16custom_test_typeIfEELj32ELj8EENSt9enable_ifIXsr10test_utilsE35device_test_enabled_for_warp_size_vIXT1_EEEvE4typeEPT_S7_, .Lfunc_end321-_Z26warp_inclusive_scan_kernelIN10test_utils16custom_test_typeIfEELj32ELj8EENSt9enable_ifIXsr10test_utilsE35device_test_enabled_for_warp_size_vIXT1_EEEvE4typeEPT_S7_
                                        ; -- End function
	.set _Z26warp_inclusive_scan_kernelIN10test_utils16custom_test_typeIfEELj32ELj8EENSt9enable_ifIXsr10test_utilsE35device_test_enabled_for_warp_size_vIXT1_EEEvE4typeEPT_S7_.num_vgpr, 7
	.set _Z26warp_inclusive_scan_kernelIN10test_utils16custom_test_typeIfEELj32ELj8EENSt9enable_ifIXsr10test_utilsE35device_test_enabled_for_warp_size_vIXT1_EEEvE4typeEPT_S7_.num_agpr, 0
	.set _Z26warp_inclusive_scan_kernelIN10test_utils16custom_test_typeIfEELj32ELj8EENSt9enable_ifIXsr10test_utilsE35device_test_enabled_for_warp_size_vIXT1_EEEvE4typeEPT_S7_.numbered_sgpr, 8
	.set _Z26warp_inclusive_scan_kernelIN10test_utils16custom_test_typeIfEELj32ELj8EENSt9enable_ifIXsr10test_utilsE35device_test_enabled_for_warp_size_vIXT1_EEEvE4typeEPT_S7_.num_named_barrier, 0
	.set _Z26warp_inclusive_scan_kernelIN10test_utils16custom_test_typeIfEELj32ELj8EENSt9enable_ifIXsr10test_utilsE35device_test_enabled_for_warp_size_vIXT1_EEEvE4typeEPT_S7_.private_seg_size, 0
	.set _Z26warp_inclusive_scan_kernelIN10test_utils16custom_test_typeIfEELj32ELj8EENSt9enable_ifIXsr10test_utilsE35device_test_enabled_for_warp_size_vIXT1_EEEvE4typeEPT_S7_.uses_vcc, 1
	.set _Z26warp_inclusive_scan_kernelIN10test_utils16custom_test_typeIfEELj32ELj8EENSt9enable_ifIXsr10test_utilsE35device_test_enabled_for_warp_size_vIXT1_EEEvE4typeEPT_S7_.uses_flat_scratch, 0
	.set _Z26warp_inclusive_scan_kernelIN10test_utils16custom_test_typeIfEELj32ELj8EENSt9enable_ifIXsr10test_utilsE35device_test_enabled_for_warp_size_vIXT1_EEEvE4typeEPT_S7_.has_dyn_sized_stack, 0
	.set _Z26warp_inclusive_scan_kernelIN10test_utils16custom_test_typeIfEELj32ELj8EENSt9enable_ifIXsr10test_utilsE35device_test_enabled_for_warp_size_vIXT1_EEEvE4typeEPT_S7_.has_recursion, 0
	.set _Z26warp_inclusive_scan_kernelIN10test_utils16custom_test_typeIfEELj32ELj8EENSt9enable_ifIXsr10test_utilsE35device_test_enabled_for_warp_size_vIXT1_EEEvE4typeEPT_S7_.has_indirect_call, 0
	.section	.AMDGPU.csdata,"",@progbits
; Kernel info:
; codeLenInByte = 232
; TotalNumSgprs: 12
; NumVgprs: 7
; ScratchSize: 0
; MemoryBound: 0
; FloatMode: 240
; IeeeMode: 1
; LDSByteSize: 0 bytes/workgroup (compile time only)
; SGPRBlocks: 1
; VGPRBlocks: 1
; NumSGPRsForWavesPerEU: 12
; NumVGPRsForWavesPerEU: 7
; Occupancy: 10
; WaveLimiterHint : 0
; COMPUTE_PGM_RSRC2:SCRATCH_EN: 0
; COMPUTE_PGM_RSRC2:USER_SGPR: 6
; COMPUTE_PGM_RSRC2:TRAP_HANDLER: 0
; COMPUTE_PGM_RSRC2:TGID_X_EN: 1
; COMPUTE_PGM_RSRC2:TGID_Y_EN: 0
; COMPUTE_PGM_RSRC2:TGID_Z_EN: 0
; COMPUTE_PGM_RSRC2:TIDIG_COMP_CNT: 0
	.section	.text._Z26warp_inclusive_scan_kernelIN10test_utils16custom_test_typeIfEELj64ELj8EENSt9enable_ifIXsr10test_utilsE35device_test_enabled_for_warp_size_vIXT1_EEEvE4typeEPT_S7_,"axG",@progbits,_Z26warp_inclusive_scan_kernelIN10test_utils16custom_test_typeIfEELj64ELj8EENSt9enable_ifIXsr10test_utilsE35device_test_enabled_for_warp_size_vIXT1_EEEvE4typeEPT_S7_,comdat
	.protected	_Z26warp_inclusive_scan_kernelIN10test_utils16custom_test_typeIfEELj64ELj8EENSt9enable_ifIXsr10test_utilsE35device_test_enabled_for_warp_size_vIXT1_EEEvE4typeEPT_S7_ ; -- Begin function _Z26warp_inclusive_scan_kernelIN10test_utils16custom_test_typeIfEELj64ELj8EENSt9enable_ifIXsr10test_utilsE35device_test_enabled_for_warp_size_vIXT1_EEEvE4typeEPT_S7_
	.globl	_Z26warp_inclusive_scan_kernelIN10test_utils16custom_test_typeIfEELj64ELj8EENSt9enable_ifIXsr10test_utilsE35device_test_enabled_for_warp_size_vIXT1_EEEvE4typeEPT_S7_
	.p2align	8
	.type	_Z26warp_inclusive_scan_kernelIN10test_utils16custom_test_typeIfEELj64ELj8EENSt9enable_ifIXsr10test_utilsE35device_test_enabled_for_warp_size_vIXT1_EEEvE4typeEPT_S7_,@function
_Z26warp_inclusive_scan_kernelIN10test_utils16custom_test_typeIfEELj64ELj8EENSt9enable_ifIXsr10test_utilsE35device_test_enabled_for_warp_size_vIXT1_EEEvE4typeEPT_S7_: ; @_Z26warp_inclusive_scan_kernelIN10test_utils16custom_test_typeIfEELj64ELj8EENSt9enable_ifIXsr10test_utilsE35device_test_enabled_for_warp_size_vIXT1_EEEvE4typeEPT_S7_
; %bb.0:
	s_load_dword s7, s[4:5], 0x1c
	s_load_dwordx4 s[0:3], s[4:5], 0x0
	v_mov_b32_e32 v1, 0
	v_mbcnt_lo_u32_b32 v4, -1, 0
	v_mbcnt_hi_u32_b32 v4, -1, v4
	s_waitcnt lgkmcnt(0)
	s_and_b32 s4, s7, 0xffff
	s_mul_i32 s6, s6, s4
	v_add_u32_e32 v0, s6, v0
	v_lshlrev_b64 v[0:1], 3, v[0:1]
	v_mov_b32_e32 v3, s1
	v_add_co_u32_e32 v2, vcc, s0, v0
	v_addc_co_u32_e32 v3, vcc, v3, v1, vcc
	global_load_dwordx2 v[2:3], v[2:3], off
	v_and_b32_e32 v4, 7, v4
	v_cmp_ne_u32_e32 vcc, 0, v4
	s_waitcnt vmcnt(0)
	v_mov_b32_dpp v5, v2 row_shr:1 row_mask:0xf bank_mask:0xf
	v_mov_b32_dpp v6, v3 row_shr:1 row_mask:0xf bank_mask:0xf
	s_and_saveexec_b64 s[0:1], vcc
; %bb.1:
	v_add_f32_e32 v3, v3, v6
	v_add_f32_e32 v2, v2, v5
; %bb.2:
	s_or_b64 exec, exec, s[0:1]
	s_nop 0
	v_mov_b32_dpp v5, v2 row_shr:2 row_mask:0xf bank_mask:0xf
	v_mov_b32_dpp v6, v3 row_shr:2 row_mask:0xf bank_mask:0xf
	v_cmp_lt_u32_e32 vcc, 1, v4
	s_and_saveexec_b64 s[0:1], vcc
; %bb.3:
	v_add_f32_e32 v3, v3, v6
	v_add_f32_e32 v2, v2, v5
; %bb.4:
	s_or_b64 exec, exec, s[0:1]
	s_nop 0
	v_mov_b32_dpp v5, v2 row_shr:4 row_mask:0xf bank_mask:0xf
	v_mov_b32_dpp v6, v3 row_shr:4 row_mask:0xf bank_mask:0xf
	v_add_f32_e32 v5, v2, v5
	v_add_f32_e32 v6, v3, v6
	v_cmp_lt_u32_e32 vcc, 3, v4
	v_cndmask_b32_e32 v2, v2, v5, vcc
	v_cndmask_b32_e32 v3, v3, v6, vcc
	v_mov_b32_e32 v4, s3
	v_add_co_u32_e32 v0, vcc, s2, v0
	v_addc_co_u32_e32 v1, vcc, v4, v1, vcc
	global_store_dwordx2 v[0:1], v[2:3], off
	s_endpgm
	.section	.rodata,"a",@progbits
	.p2align	6, 0x0
	.amdhsa_kernel _Z26warp_inclusive_scan_kernelIN10test_utils16custom_test_typeIfEELj64ELj8EENSt9enable_ifIXsr10test_utilsE35device_test_enabled_for_warp_size_vIXT1_EEEvE4typeEPT_S7_
		.amdhsa_group_segment_fixed_size 0
		.amdhsa_private_segment_fixed_size 0
		.amdhsa_kernarg_size 272
		.amdhsa_user_sgpr_count 6
		.amdhsa_user_sgpr_private_segment_buffer 1
		.amdhsa_user_sgpr_dispatch_ptr 0
		.amdhsa_user_sgpr_queue_ptr 0
		.amdhsa_user_sgpr_kernarg_segment_ptr 1
		.amdhsa_user_sgpr_dispatch_id 0
		.amdhsa_user_sgpr_flat_scratch_init 0
		.amdhsa_user_sgpr_private_segment_size 0
		.amdhsa_uses_dynamic_stack 0
		.amdhsa_system_sgpr_private_segment_wavefront_offset 0
		.amdhsa_system_sgpr_workgroup_id_x 1
		.amdhsa_system_sgpr_workgroup_id_y 0
		.amdhsa_system_sgpr_workgroup_id_z 0
		.amdhsa_system_sgpr_workgroup_info 0
		.amdhsa_system_vgpr_workitem_id 0
		.amdhsa_next_free_vgpr 7
		.amdhsa_next_free_sgpr 8
		.amdhsa_reserve_vcc 1
		.amdhsa_reserve_flat_scratch 0
		.amdhsa_float_round_mode_32 0
		.amdhsa_float_round_mode_16_64 0
		.amdhsa_float_denorm_mode_32 3
		.amdhsa_float_denorm_mode_16_64 3
		.amdhsa_dx10_clamp 1
		.amdhsa_ieee_mode 1
		.amdhsa_fp16_overflow 0
		.amdhsa_exception_fp_ieee_invalid_op 0
		.amdhsa_exception_fp_denorm_src 0
		.amdhsa_exception_fp_ieee_div_zero 0
		.amdhsa_exception_fp_ieee_overflow 0
		.amdhsa_exception_fp_ieee_underflow 0
		.amdhsa_exception_fp_ieee_inexact 0
		.amdhsa_exception_int_div_zero 0
	.end_amdhsa_kernel
	.section	.text._Z26warp_inclusive_scan_kernelIN10test_utils16custom_test_typeIfEELj64ELj8EENSt9enable_ifIXsr10test_utilsE35device_test_enabled_for_warp_size_vIXT1_EEEvE4typeEPT_S7_,"axG",@progbits,_Z26warp_inclusive_scan_kernelIN10test_utils16custom_test_typeIfEELj64ELj8EENSt9enable_ifIXsr10test_utilsE35device_test_enabled_for_warp_size_vIXT1_EEEvE4typeEPT_S7_,comdat
.Lfunc_end322:
	.size	_Z26warp_inclusive_scan_kernelIN10test_utils16custom_test_typeIfEELj64ELj8EENSt9enable_ifIXsr10test_utilsE35device_test_enabled_for_warp_size_vIXT1_EEEvE4typeEPT_S7_, .Lfunc_end322-_Z26warp_inclusive_scan_kernelIN10test_utils16custom_test_typeIfEELj64ELj8EENSt9enable_ifIXsr10test_utilsE35device_test_enabled_for_warp_size_vIXT1_EEEvE4typeEPT_S7_
                                        ; -- End function
	.set _Z26warp_inclusive_scan_kernelIN10test_utils16custom_test_typeIfEELj64ELj8EENSt9enable_ifIXsr10test_utilsE35device_test_enabled_for_warp_size_vIXT1_EEEvE4typeEPT_S7_.num_vgpr, 7
	.set _Z26warp_inclusive_scan_kernelIN10test_utils16custom_test_typeIfEELj64ELj8EENSt9enable_ifIXsr10test_utilsE35device_test_enabled_for_warp_size_vIXT1_EEEvE4typeEPT_S7_.num_agpr, 0
	.set _Z26warp_inclusive_scan_kernelIN10test_utils16custom_test_typeIfEELj64ELj8EENSt9enable_ifIXsr10test_utilsE35device_test_enabled_for_warp_size_vIXT1_EEEvE4typeEPT_S7_.numbered_sgpr, 8
	.set _Z26warp_inclusive_scan_kernelIN10test_utils16custom_test_typeIfEELj64ELj8EENSt9enable_ifIXsr10test_utilsE35device_test_enabled_for_warp_size_vIXT1_EEEvE4typeEPT_S7_.num_named_barrier, 0
	.set _Z26warp_inclusive_scan_kernelIN10test_utils16custom_test_typeIfEELj64ELj8EENSt9enable_ifIXsr10test_utilsE35device_test_enabled_for_warp_size_vIXT1_EEEvE4typeEPT_S7_.private_seg_size, 0
	.set _Z26warp_inclusive_scan_kernelIN10test_utils16custom_test_typeIfEELj64ELj8EENSt9enable_ifIXsr10test_utilsE35device_test_enabled_for_warp_size_vIXT1_EEEvE4typeEPT_S7_.uses_vcc, 1
	.set _Z26warp_inclusive_scan_kernelIN10test_utils16custom_test_typeIfEELj64ELj8EENSt9enable_ifIXsr10test_utilsE35device_test_enabled_for_warp_size_vIXT1_EEEvE4typeEPT_S7_.uses_flat_scratch, 0
	.set _Z26warp_inclusive_scan_kernelIN10test_utils16custom_test_typeIfEELj64ELj8EENSt9enable_ifIXsr10test_utilsE35device_test_enabled_for_warp_size_vIXT1_EEEvE4typeEPT_S7_.has_dyn_sized_stack, 0
	.set _Z26warp_inclusive_scan_kernelIN10test_utils16custom_test_typeIfEELj64ELj8EENSt9enable_ifIXsr10test_utilsE35device_test_enabled_for_warp_size_vIXT1_EEEvE4typeEPT_S7_.has_recursion, 0
	.set _Z26warp_inclusive_scan_kernelIN10test_utils16custom_test_typeIfEELj64ELj8EENSt9enable_ifIXsr10test_utilsE35device_test_enabled_for_warp_size_vIXT1_EEEvE4typeEPT_S7_.has_indirect_call, 0
	.section	.AMDGPU.csdata,"",@progbits
; Kernel info:
; codeLenInByte = 232
; TotalNumSgprs: 12
; NumVgprs: 7
; ScratchSize: 0
; MemoryBound: 0
; FloatMode: 240
; IeeeMode: 1
; LDSByteSize: 0 bytes/workgroup (compile time only)
; SGPRBlocks: 1
; VGPRBlocks: 1
; NumSGPRsForWavesPerEU: 12
; NumVGPRsForWavesPerEU: 7
; Occupancy: 10
; WaveLimiterHint : 0
; COMPUTE_PGM_RSRC2:SCRATCH_EN: 0
; COMPUTE_PGM_RSRC2:USER_SGPR: 6
; COMPUTE_PGM_RSRC2:TRAP_HANDLER: 0
; COMPUTE_PGM_RSRC2:TGID_X_EN: 1
; COMPUTE_PGM_RSRC2:TGID_Y_EN: 0
; COMPUTE_PGM_RSRC2:TGID_Z_EN: 0
; COMPUTE_PGM_RSRC2:TIDIG_COMP_CNT: 0
	.section	.text._Z26warp_inclusive_scan_kernelIN10test_utils16custom_test_typeIfEELj32ELj4EENSt9enable_ifIXsr10test_utilsE35device_test_enabled_for_warp_size_vIXT1_EEEvE4typeEPT_S7_,"axG",@progbits,_Z26warp_inclusive_scan_kernelIN10test_utils16custom_test_typeIfEELj32ELj4EENSt9enable_ifIXsr10test_utilsE35device_test_enabled_for_warp_size_vIXT1_EEEvE4typeEPT_S7_,comdat
	.protected	_Z26warp_inclusive_scan_kernelIN10test_utils16custom_test_typeIfEELj32ELj4EENSt9enable_ifIXsr10test_utilsE35device_test_enabled_for_warp_size_vIXT1_EEEvE4typeEPT_S7_ ; -- Begin function _Z26warp_inclusive_scan_kernelIN10test_utils16custom_test_typeIfEELj32ELj4EENSt9enable_ifIXsr10test_utilsE35device_test_enabled_for_warp_size_vIXT1_EEEvE4typeEPT_S7_
	.globl	_Z26warp_inclusive_scan_kernelIN10test_utils16custom_test_typeIfEELj32ELj4EENSt9enable_ifIXsr10test_utilsE35device_test_enabled_for_warp_size_vIXT1_EEEvE4typeEPT_S7_
	.p2align	8
	.type	_Z26warp_inclusive_scan_kernelIN10test_utils16custom_test_typeIfEELj32ELj4EENSt9enable_ifIXsr10test_utilsE35device_test_enabled_for_warp_size_vIXT1_EEEvE4typeEPT_S7_,@function
_Z26warp_inclusive_scan_kernelIN10test_utils16custom_test_typeIfEELj32ELj4EENSt9enable_ifIXsr10test_utilsE35device_test_enabled_for_warp_size_vIXT1_EEEvE4typeEPT_S7_: ; @_Z26warp_inclusive_scan_kernelIN10test_utils16custom_test_typeIfEELj32ELj4EENSt9enable_ifIXsr10test_utilsE35device_test_enabled_for_warp_size_vIXT1_EEEvE4typeEPT_S7_
; %bb.0:
	s_load_dword s7, s[4:5], 0x1c
	s_load_dwordx4 s[0:3], s[4:5], 0x0
	v_mov_b32_e32 v1, 0
	v_mbcnt_lo_u32_b32 v4, -1, 0
	v_mbcnt_hi_u32_b32 v4, -1, v4
	s_waitcnt lgkmcnt(0)
	s_and_b32 s4, s7, 0xffff
	s_mul_i32 s6, s6, s4
	v_add_u32_e32 v0, s6, v0
	v_lshlrev_b64 v[0:1], 3, v[0:1]
	v_mov_b32_e32 v3, s1
	v_add_co_u32_e32 v2, vcc, s0, v0
	v_addc_co_u32_e32 v3, vcc, v3, v1, vcc
	global_load_dwordx2 v[2:3], v[2:3], off
	v_and_b32_e32 v4, 3, v4
	v_cmp_ne_u32_e32 vcc, 0, v4
	s_waitcnt vmcnt(0)
	v_mov_b32_dpp v5, v2 row_shr:1 row_mask:0xf bank_mask:0xf
	v_mov_b32_dpp v6, v3 row_shr:1 row_mask:0xf bank_mask:0xf
	s_and_saveexec_b64 s[0:1], vcc
; %bb.1:
	v_add_f32_e32 v3, v3, v6
	v_add_f32_e32 v2, v2, v5
; %bb.2:
	s_or_b64 exec, exec, s[0:1]
	s_nop 0
	v_mov_b32_dpp v5, v2 row_shr:2 row_mask:0xf bank_mask:0xf
	v_mov_b32_dpp v6, v3 row_shr:2 row_mask:0xf bank_mask:0xf
	v_add_f32_e32 v5, v2, v5
	v_add_f32_e32 v6, v3, v6
	v_cmp_lt_u32_e32 vcc, 1, v4
	v_cndmask_b32_e32 v2, v2, v5, vcc
	v_cndmask_b32_e32 v3, v3, v6, vcc
	v_mov_b32_e32 v4, s3
	v_add_co_u32_e32 v0, vcc, s2, v0
	v_addc_co_u32_e32 v1, vcc, v4, v1, vcc
	global_store_dwordx2 v[0:1], v[2:3], off
	s_endpgm
	.section	.rodata,"a",@progbits
	.p2align	6, 0x0
	.amdhsa_kernel _Z26warp_inclusive_scan_kernelIN10test_utils16custom_test_typeIfEELj32ELj4EENSt9enable_ifIXsr10test_utilsE35device_test_enabled_for_warp_size_vIXT1_EEEvE4typeEPT_S7_
		.amdhsa_group_segment_fixed_size 0
		.amdhsa_private_segment_fixed_size 0
		.amdhsa_kernarg_size 272
		.amdhsa_user_sgpr_count 6
		.amdhsa_user_sgpr_private_segment_buffer 1
		.amdhsa_user_sgpr_dispatch_ptr 0
		.amdhsa_user_sgpr_queue_ptr 0
		.amdhsa_user_sgpr_kernarg_segment_ptr 1
		.amdhsa_user_sgpr_dispatch_id 0
		.amdhsa_user_sgpr_flat_scratch_init 0
		.amdhsa_user_sgpr_private_segment_size 0
		.amdhsa_uses_dynamic_stack 0
		.amdhsa_system_sgpr_private_segment_wavefront_offset 0
		.amdhsa_system_sgpr_workgroup_id_x 1
		.amdhsa_system_sgpr_workgroup_id_y 0
		.amdhsa_system_sgpr_workgroup_id_z 0
		.amdhsa_system_sgpr_workgroup_info 0
		.amdhsa_system_vgpr_workitem_id 0
		.amdhsa_next_free_vgpr 7
		.amdhsa_next_free_sgpr 8
		.amdhsa_reserve_vcc 1
		.amdhsa_reserve_flat_scratch 0
		.amdhsa_float_round_mode_32 0
		.amdhsa_float_round_mode_16_64 0
		.amdhsa_float_denorm_mode_32 3
		.amdhsa_float_denorm_mode_16_64 3
		.amdhsa_dx10_clamp 1
		.amdhsa_ieee_mode 1
		.amdhsa_fp16_overflow 0
		.amdhsa_exception_fp_ieee_invalid_op 0
		.amdhsa_exception_fp_denorm_src 0
		.amdhsa_exception_fp_ieee_div_zero 0
		.amdhsa_exception_fp_ieee_overflow 0
		.amdhsa_exception_fp_ieee_underflow 0
		.amdhsa_exception_fp_ieee_inexact 0
		.amdhsa_exception_int_div_zero 0
	.end_amdhsa_kernel
	.section	.text._Z26warp_inclusive_scan_kernelIN10test_utils16custom_test_typeIfEELj32ELj4EENSt9enable_ifIXsr10test_utilsE35device_test_enabled_for_warp_size_vIXT1_EEEvE4typeEPT_S7_,"axG",@progbits,_Z26warp_inclusive_scan_kernelIN10test_utils16custom_test_typeIfEELj32ELj4EENSt9enable_ifIXsr10test_utilsE35device_test_enabled_for_warp_size_vIXT1_EEEvE4typeEPT_S7_,comdat
.Lfunc_end323:
	.size	_Z26warp_inclusive_scan_kernelIN10test_utils16custom_test_typeIfEELj32ELj4EENSt9enable_ifIXsr10test_utilsE35device_test_enabled_for_warp_size_vIXT1_EEEvE4typeEPT_S7_, .Lfunc_end323-_Z26warp_inclusive_scan_kernelIN10test_utils16custom_test_typeIfEELj32ELj4EENSt9enable_ifIXsr10test_utilsE35device_test_enabled_for_warp_size_vIXT1_EEEvE4typeEPT_S7_
                                        ; -- End function
	.set _Z26warp_inclusive_scan_kernelIN10test_utils16custom_test_typeIfEELj32ELj4EENSt9enable_ifIXsr10test_utilsE35device_test_enabled_for_warp_size_vIXT1_EEEvE4typeEPT_S7_.num_vgpr, 7
	.set _Z26warp_inclusive_scan_kernelIN10test_utils16custom_test_typeIfEELj32ELj4EENSt9enable_ifIXsr10test_utilsE35device_test_enabled_for_warp_size_vIXT1_EEEvE4typeEPT_S7_.num_agpr, 0
	.set _Z26warp_inclusive_scan_kernelIN10test_utils16custom_test_typeIfEELj32ELj4EENSt9enable_ifIXsr10test_utilsE35device_test_enabled_for_warp_size_vIXT1_EEEvE4typeEPT_S7_.numbered_sgpr, 8
	.set _Z26warp_inclusive_scan_kernelIN10test_utils16custom_test_typeIfEELj32ELj4EENSt9enable_ifIXsr10test_utilsE35device_test_enabled_for_warp_size_vIXT1_EEEvE4typeEPT_S7_.num_named_barrier, 0
	.set _Z26warp_inclusive_scan_kernelIN10test_utils16custom_test_typeIfEELj32ELj4EENSt9enable_ifIXsr10test_utilsE35device_test_enabled_for_warp_size_vIXT1_EEEvE4typeEPT_S7_.private_seg_size, 0
	.set _Z26warp_inclusive_scan_kernelIN10test_utils16custom_test_typeIfEELj32ELj4EENSt9enable_ifIXsr10test_utilsE35device_test_enabled_for_warp_size_vIXT1_EEEvE4typeEPT_S7_.uses_vcc, 1
	.set _Z26warp_inclusive_scan_kernelIN10test_utils16custom_test_typeIfEELj32ELj4EENSt9enable_ifIXsr10test_utilsE35device_test_enabled_for_warp_size_vIXT1_EEEvE4typeEPT_S7_.uses_flat_scratch, 0
	.set _Z26warp_inclusive_scan_kernelIN10test_utils16custom_test_typeIfEELj32ELj4EENSt9enable_ifIXsr10test_utilsE35device_test_enabled_for_warp_size_vIXT1_EEEvE4typeEPT_S7_.has_dyn_sized_stack, 0
	.set _Z26warp_inclusive_scan_kernelIN10test_utils16custom_test_typeIfEELj32ELj4EENSt9enable_ifIXsr10test_utilsE35device_test_enabled_for_warp_size_vIXT1_EEEvE4typeEPT_S7_.has_recursion, 0
	.set _Z26warp_inclusive_scan_kernelIN10test_utils16custom_test_typeIfEELj32ELj4EENSt9enable_ifIXsr10test_utilsE35device_test_enabled_for_warp_size_vIXT1_EEEvE4typeEPT_S7_.has_indirect_call, 0
	.section	.AMDGPU.csdata,"",@progbits
; Kernel info:
; codeLenInByte = 192
; TotalNumSgprs: 12
; NumVgprs: 7
; ScratchSize: 0
; MemoryBound: 0
; FloatMode: 240
; IeeeMode: 1
; LDSByteSize: 0 bytes/workgroup (compile time only)
; SGPRBlocks: 1
; VGPRBlocks: 1
; NumSGPRsForWavesPerEU: 12
; NumVGPRsForWavesPerEU: 7
; Occupancy: 10
; WaveLimiterHint : 0
; COMPUTE_PGM_RSRC2:SCRATCH_EN: 0
; COMPUTE_PGM_RSRC2:USER_SGPR: 6
; COMPUTE_PGM_RSRC2:TRAP_HANDLER: 0
; COMPUTE_PGM_RSRC2:TGID_X_EN: 1
; COMPUTE_PGM_RSRC2:TGID_Y_EN: 0
; COMPUTE_PGM_RSRC2:TGID_Z_EN: 0
; COMPUTE_PGM_RSRC2:TIDIG_COMP_CNT: 0
	.section	.text._Z26warp_inclusive_scan_kernelIN10test_utils16custom_test_typeIfEELj64ELj4EENSt9enable_ifIXsr10test_utilsE35device_test_enabled_for_warp_size_vIXT1_EEEvE4typeEPT_S7_,"axG",@progbits,_Z26warp_inclusive_scan_kernelIN10test_utils16custom_test_typeIfEELj64ELj4EENSt9enable_ifIXsr10test_utilsE35device_test_enabled_for_warp_size_vIXT1_EEEvE4typeEPT_S7_,comdat
	.protected	_Z26warp_inclusive_scan_kernelIN10test_utils16custom_test_typeIfEELj64ELj4EENSt9enable_ifIXsr10test_utilsE35device_test_enabled_for_warp_size_vIXT1_EEEvE4typeEPT_S7_ ; -- Begin function _Z26warp_inclusive_scan_kernelIN10test_utils16custom_test_typeIfEELj64ELj4EENSt9enable_ifIXsr10test_utilsE35device_test_enabled_for_warp_size_vIXT1_EEEvE4typeEPT_S7_
	.globl	_Z26warp_inclusive_scan_kernelIN10test_utils16custom_test_typeIfEELj64ELj4EENSt9enable_ifIXsr10test_utilsE35device_test_enabled_for_warp_size_vIXT1_EEEvE4typeEPT_S7_
	.p2align	8
	.type	_Z26warp_inclusive_scan_kernelIN10test_utils16custom_test_typeIfEELj64ELj4EENSt9enable_ifIXsr10test_utilsE35device_test_enabled_for_warp_size_vIXT1_EEEvE4typeEPT_S7_,@function
_Z26warp_inclusive_scan_kernelIN10test_utils16custom_test_typeIfEELj64ELj4EENSt9enable_ifIXsr10test_utilsE35device_test_enabled_for_warp_size_vIXT1_EEEvE4typeEPT_S7_: ; @_Z26warp_inclusive_scan_kernelIN10test_utils16custom_test_typeIfEELj64ELj4EENSt9enable_ifIXsr10test_utilsE35device_test_enabled_for_warp_size_vIXT1_EEEvE4typeEPT_S7_
; %bb.0:
	s_load_dword s7, s[4:5], 0x1c
	s_load_dwordx4 s[0:3], s[4:5], 0x0
	v_mov_b32_e32 v1, 0
	v_mbcnt_lo_u32_b32 v4, -1, 0
	v_mbcnt_hi_u32_b32 v4, -1, v4
	s_waitcnt lgkmcnt(0)
	s_and_b32 s4, s7, 0xffff
	s_mul_i32 s6, s6, s4
	v_add_u32_e32 v0, s6, v0
	v_lshlrev_b64 v[0:1], 3, v[0:1]
	v_mov_b32_e32 v3, s1
	v_add_co_u32_e32 v2, vcc, s0, v0
	v_addc_co_u32_e32 v3, vcc, v3, v1, vcc
	global_load_dwordx2 v[2:3], v[2:3], off
	v_and_b32_e32 v4, 3, v4
	v_cmp_ne_u32_e32 vcc, 0, v4
	s_waitcnt vmcnt(0)
	v_mov_b32_dpp v5, v2 row_shr:1 row_mask:0xf bank_mask:0xf
	v_mov_b32_dpp v6, v3 row_shr:1 row_mask:0xf bank_mask:0xf
	s_and_saveexec_b64 s[0:1], vcc
; %bb.1:
	v_add_f32_e32 v3, v3, v6
	v_add_f32_e32 v2, v2, v5
; %bb.2:
	s_or_b64 exec, exec, s[0:1]
	s_nop 0
	v_mov_b32_dpp v5, v2 row_shr:2 row_mask:0xf bank_mask:0xf
	v_mov_b32_dpp v6, v3 row_shr:2 row_mask:0xf bank_mask:0xf
	v_add_f32_e32 v5, v2, v5
	v_add_f32_e32 v6, v3, v6
	v_cmp_lt_u32_e32 vcc, 1, v4
	v_cndmask_b32_e32 v2, v2, v5, vcc
	v_cndmask_b32_e32 v3, v3, v6, vcc
	v_mov_b32_e32 v4, s3
	v_add_co_u32_e32 v0, vcc, s2, v0
	v_addc_co_u32_e32 v1, vcc, v4, v1, vcc
	global_store_dwordx2 v[0:1], v[2:3], off
	s_endpgm
	.section	.rodata,"a",@progbits
	.p2align	6, 0x0
	.amdhsa_kernel _Z26warp_inclusive_scan_kernelIN10test_utils16custom_test_typeIfEELj64ELj4EENSt9enable_ifIXsr10test_utilsE35device_test_enabled_for_warp_size_vIXT1_EEEvE4typeEPT_S7_
		.amdhsa_group_segment_fixed_size 0
		.amdhsa_private_segment_fixed_size 0
		.amdhsa_kernarg_size 272
		.amdhsa_user_sgpr_count 6
		.amdhsa_user_sgpr_private_segment_buffer 1
		.amdhsa_user_sgpr_dispatch_ptr 0
		.amdhsa_user_sgpr_queue_ptr 0
		.amdhsa_user_sgpr_kernarg_segment_ptr 1
		.amdhsa_user_sgpr_dispatch_id 0
		.amdhsa_user_sgpr_flat_scratch_init 0
		.amdhsa_user_sgpr_private_segment_size 0
		.amdhsa_uses_dynamic_stack 0
		.amdhsa_system_sgpr_private_segment_wavefront_offset 0
		.amdhsa_system_sgpr_workgroup_id_x 1
		.amdhsa_system_sgpr_workgroup_id_y 0
		.amdhsa_system_sgpr_workgroup_id_z 0
		.amdhsa_system_sgpr_workgroup_info 0
		.amdhsa_system_vgpr_workitem_id 0
		.amdhsa_next_free_vgpr 7
		.amdhsa_next_free_sgpr 8
		.amdhsa_reserve_vcc 1
		.amdhsa_reserve_flat_scratch 0
		.amdhsa_float_round_mode_32 0
		.amdhsa_float_round_mode_16_64 0
		.amdhsa_float_denorm_mode_32 3
		.amdhsa_float_denorm_mode_16_64 3
		.amdhsa_dx10_clamp 1
		.amdhsa_ieee_mode 1
		.amdhsa_fp16_overflow 0
		.amdhsa_exception_fp_ieee_invalid_op 0
		.amdhsa_exception_fp_denorm_src 0
		.amdhsa_exception_fp_ieee_div_zero 0
		.amdhsa_exception_fp_ieee_overflow 0
		.amdhsa_exception_fp_ieee_underflow 0
		.amdhsa_exception_fp_ieee_inexact 0
		.amdhsa_exception_int_div_zero 0
	.end_amdhsa_kernel
	.section	.text._Z26warp_inclusive_scan_kernelIN10test_utils16custom_test_typeIfEELj64ELj4EENSt9enable_ifIXsr10test_utilsE35device_test_enabled_for_warp_size_vIXT1_EEEvE4typeEPT_S7_,"axG",@progbits,_Z26warp_inclusive_scan_kernelIN10test_utils16custom_test_typeIfEELj64ELj4EENSt9enable_ifIXsr10test_utilsE35device_test_enabled_for_warp_size_vIXT1_EEEvE4typeEPT_S7_,comdat
.Lfunc_end324:
	.size	_Z26warp_inclusive_scan_kernelIN10test_utils16custom_test_typeIfEELj64ELj4EENSt9enable_ifIXsr10test_utilsE35device_test_enabled_for_warp_size_vIXT1_EEEvE4typeEPT_S7_, .Lfunc_end324-_Z26warp_inclusive_scan_kernelIN10test_utils16custom_test_typeIfEELj64ELj4EENSt9enable_ifIXsr10test_utilsE35device_test_enabled_for_warp_size_vIXT1_EEEvE4typeEPT_S7_
                                        ; -- End function
	.set _Z26warp_inclusive_scan_kernelIN10test_utils16custom_test_typeIfEELj64ELj4EENSt9enable_ifIXsr10test_utilsE35device_test_enabled_for_warp_size_vIXT1_EEEvE4typeEPT_S7_.num_vgpr, 7
	.set _Z26warp_inclusive_scan_kernelIN10test_utils16custom_test_typeIfEELj64ELj4EENSt9enable_ifIXsr10test_utilsE35device_test_enabled_for_warp_size_vIXT1_EEEvE4typeEPT_S7_.num_agpr, 0
	.set _Z26warp_inclusive_scan_kernelIN10test_utils16custom_test_typeIfEELj64ELj4EENSt9enable_ifIXsr10test_utilsE35device_test_enabled_for_warp_size_vIXT1_EEEvE4typeEPT_S7_.numbered_sgpr, 8
	.set _Z26warp_inclusive_scan_kernelIN10test_utils16custom_test_typeIfEELj64ELj4EENSt9enable_ifIXsr10test_utilsE35device_test_enabled_for_warp_size_vIXT1_EEEvE4typeEPT_S7_.num_named_barrier, 0
	.set _Z26warp_inclusive_scan_kernelIN10test_utils16custom_test_typeIfEELj64ELj4EENSt9enable_ifIXsr10test_utilsE35device_test_enabled_for_warp_size_vIXT1_EEEvE4typeEPT_S7_.private_seg_size, 0
	.set _Z26warp_inclusive_scan_kernelIN10test_utils16custom_test_typeIfEELj64ELj4EENSt9enable_ifIXsr10test_utilsE35device_test_enabled_for_warp_size_vIXT1_EEEvE4typeEPT_S7_.uses_vcc, 1
	.set _Z26warp_inclusive_scan_kernelIN10test_utils16custom_test_typeIfEELj64ELj4EENSt9enable_ifIXsr10test_utilsE35device_test_enabled_for_warp_size_vIXT1_EEEvE4typeEPT_S7_.uses_flat_scratch, 0
	.set _Z26warp_inclusive_scan_kernelIN10test_utils16custom_test_typeIfEELj64ELj4EENSt9enable_ifIXsr10test_utilsE35device_test_enabled_for_warp_size_vIXT1_EEEvE4typeEPT_S7_.has_dyn_sized_stack, 0
	.set _Z26warp_inclusive_scan_kernelIN10test_utils16custom_test_typeIfEELj64ELj4EENSt9enable_ifIXsr10test_utilsE35device_test_enabled_for_warp_size_vIXT1_EEEvE4typeEPT_S7_.has_recursion, 0
	.set _Z26warp_inclusive_scan_kernelIN10test_utils16custom_test_typeIfEELj64ELj4EENSt9enable_ifIXsr10test_utilsE35device_test_enabled_for_warp_size_vIXT1_EEEvE4typeEPT_S7_.has_indirect_call, 0
	.section	.AMDGPU.csdata,"",@progbits
; Kernel info:
; codeLenInByte = 192
; TotalNumSgprs: 12
; NumVgprs: 7
; ScratchSize: 0
; MemoryBound: 0
; FloatMode: 240
; IeeeMode: 1
; LDSByteSize: 0 bytes/workgroup (compile time only)
; SGPRBlocks: 1
; VGPRBlocks: 1
; NumSGPRsForWavesPerEU: 12
; NumVGPRsForWavesPerEU: 7
; Occupancy: 10
; WaveLimiterHint : 0
; COMPUTE_PGM_RSRC2:SCRATCH_EN: 0
; COMPUTE_PGM_RSRC2:USER_SGPR: 6
; COMPUTE_PGM_RSRC2:TRAP_HANDLER: 0
; COMPUTE_PGM_RSRC2:TGID_X_EN: 1
; COMPUTE_PGM_RSRC2:TGID_Y_EN: 0
; COMPUTE_PGM_RSRC2:TGID_Z_EN: 0
; COMPUTE_PGM_RSRC2:TIDIG_COMP_CNT: 0
	.section	.text._Z26warp_inclusive_scan_kernelIN10test_utils16custom_test_typeIfEELj32ELj2EENSt9enable_ifIXsr10test_utilsE35device_test_enabled_for_warp_size_vIXT1_EEEvE4typeEPT_S7_,"axG",@progbits,_Z26warp_inclusive_scan_kernelIN10test_utils16custom_test_typeIfEELj32ELj2EENSt9enable_ifIXsr10test_utilsE35device_test_enabled_for_warp_size_vIXT1_EEEvE4typeEPT_S7_,comdat
	.protected	_Z26warp_inclusive_scan_kernelIN10test_utils16custom_test_typeIfEELj32ELj2EENSt9enable_ifIXsr10test_utilsE35device_test_enabled_for_warp_size_vIXT1_EEEvE4typeEPT_S7_ ; -- Begin function _Z26warp_inclusive_scan_kernelIN10test_utils16custom_test_typeIfEELj32ELj2EENSt9enable_ifIXsr10test_utilsE35device_test_enabled_for_warp_size_vIXT1_EEEvE4typeEPT_S7_
	.globl	_Z26warp_inclusive_scan_kernelIN10test_utils16custom_test_typeIfEELj32ELj2EENSt9enable_ifIXsr10test_utilsE35device_test_enabled_for_warp_size_vIXT1_EEEvE4typeEPT_S7_
	.p2align	8
	.type	_Z26warp_inclusive_scan_kernelIN10test_utils16custom_test_typeIfEELj32ELj2EENSt9enable_ifIXsr10test_utilsE35device_test_enabled_for_warp_size_vIXT1_EEEvE4typeEPT_S7_,@function
_Z26warp_inclusive_scan_kernelIN10test_utils16custom_test_typeIfEELj32ELj2EENSt9enable_ifIXsr10test_utilsE35device_test_enabled_for_warp_size_vIXT1_EEEvE4typeEPT_S7_: ; @_Z26warp_inclusive_scan_kernelIN10test_utils16custom_test_typeIfEELj32ELj2EENSt9enable_ifIXsr10test_utilsE35device_test_enabled_for_warp_size_vIXT1_EEEvE4typeEPT_S7_
; %bb.0:
	s_load_dword s7, s[4:5], 0x1c
	s_load_dwordx4 s[0:3], s[4:5], 0x0
	v_mov_b32_e32 v1, 0
	v_mbcnt_lo_u32_b32 v4, -1, 0
	v_mbcnt_hi_u32_b32 v4, -1, v4
	s_waitcnt lgkmcnt(0)
	s_and_b32 s4, s7, 0xffff
	s_mul_i32 s6, s6, s4
	v_add_u32_e32 v0, s6, v0
	v_lshlrev_b64 v[0:1], 3, v[0:1]
	v_mov_b32_e32 v3, s1
	v_add_co_u32_e32 v2, vcc, s0, v0
	v_addc_co_u32_e32 v3, vcc, v3, v1, vcc
	global_load_dwordx2 v[2:3], v[2:3], off
	v_and_b32_e32 v4, 1, v4
	v_cmp_eq_u32_e32 vcc, 0, v4
	v_mov_b32_e32 v5, s3
	s_waitcnt vmcnt(0)
	v_mov_b32_dpp v6, v2 row_shr:1 row_mask:0xf bank_mask:0xf
	v_mov_b32_dpp v7, v3 row_shr:1 row_mask:0xf bank_mask:0xf
	v_add_f32_e32 v6, v2, v6
	v_add_f32_e32 v7, v3, v7
	v_cndmask_b32_e32 v2, v6, v2, vcc
	v_cndmask_b32_e32 v3, v7, v3, vcc
	v_add_co_u32_e32 v0, vcc, s2, v0
	v_addc_co_u32_e32 v1, vcc, v5, v1, vcc
	global_store_dwordx2 v[0:1], v[2:3], off
	s_endpgm
	.section	.rodata,"a",@progbits
	.p2align	6, 0x0
	.amdhsa_kernel _Z26warp_inclusive_scan_kernelIN10test_utils16custom_test_typeIfEELj32ELj2EENSt9enable_ifIXsr10test_utilsE35device_test_enabled_for_warp_size_vIXT1_EEEvE4typeEPT_S7_
		.amdhsa_group_segment_fixed_size 0
		.amdhsa_private_segment_fixed_size 0
		.amdhsa_kernarg_size 272
		.amdhsa_user_sgpr_count 6
		.amdhsa_user_sgpr_private_segment_buffer 1
		.amdhsa_user_sgpr_dispatch_ptr 0
		.amdhsa_user_sgpr_queue_ptr 0
		.amdhsa_user_sgpr_kernarg_segment_ptr 1
		.amdhsa_user_sgpr_dispatch_id 0
		.amdhsa_user_sgpr_flat_scratch_init 0
		.amdhsa_user_sgpr_private_segment_size 0
		.amdhsa_uses_dynamic_stack 0
		.amdhsa_system_sgpr_private_segment_wavefront_offset 0
		.amdhsa_system_sgpr_workgroup_id_x 1
		.amdhsa_system_sgpr_workgroup_id_y 0
		.amdhsa_system_sgpr_workgroup_id_z 0
		.amdhsa_system_sgpr_workgroup_info 0
		.amdhsa_system_vgpr_workitem_id 0
		.amdhsa_next_free_vgpr 8
		.amdhsa_next_free_sgpr 8
		.amdhsa_reserve_vcc 1
		.amdhsa_reserve_flat_scratch 0
		.amdhsa_float_round_mode_32 0
		.amdhsa_float_round_mode_16_64 0
		.amdhsa_float_denorm_mode_32 3
		.amdhsa_float_denorm_mode_16_64 3
		.amdhsa_dx10_clamp 1
		.amdhsa_ieee_mode 1
		.amdhsa_fp16_overflow 0
		.amdhsa_exception_fp_ieee_invalid_op 0
		.amdhsa_exception_fp_denorm_src 0
		.amdhsa_exception_fp_ieee_div_zero 0
		.amdhsa_exception_fp_ieee_overflow 0
		.amdhsa_exception_fp_ieee_underflow 0
		.amdhsa_exception_fp_ieee_inexact 0
		.amdhsa_exception_int_div_zero 0
	.end_amdhsa_kernel
	.section	.text._Z26warp_inclusive_scan_kernelIN10test_utils16custom_test_typeIfEELj32ELj2EENSt9enable_ifIXsr10test_utilsE35device_test_enabled_for_warp_size_vIXT1_EEEvE4typeEPT_S7_,"axG",@progbits,_Z26warp_inclusive_scan_kernelIN10test_utils16custom_test_typeIfEELj32ELj2EENSt9enable_ifIXsr10test_utilsE35device_test_enabled_for_warp_size_vIXT1_EEEvE4typeEPT_S7_,comdat
.Lfunc_end325:
	.size	_Z26warp_inclusive_scan_kernelIN10test_utils16custom_test_typeIfEELj32ELj2EENSt9enable_ifIXsr10test_utilsE35device_test_enabled_for_warp_size_vIXT1_EEEvE4typeEPT_S7_, .Lfunc_end325-_Z26warp_inclusive_scan_kernelIN10test_utils16custom_test_typeIfEELj32ELj2EENSt9enable_ifIXsr10test_utilsE35device_test_enabled_for_warp_size_vIXT1_EEEvE4typeEPT_S7_
                                        ; -- End function
	.set _Z26warp_inclusive_scan_kernelIN10test_utils16custom_test_typeIfEELj32ELj2EENSt9enable_ifIXsr10test_utilsE35device_test_enabled_for_warp_size_vIXT1_EEEvE4typeEPT_S7_.num_vgpr, 8
	.set _Z26warp_inclusive_scan_kernelIN10test_utils16custom_test_typeIfEELj32ELj2EENSt9enable_ifIXsr10test_utilsE35device_test_enabled_for_warp_size_vIXT1_EEEvE4typeEPT_S7_.num_agpr, 0
	.set _Z26warp_inclusive_scan_kernelIN10test_utils16custom_test_typeIfEELj32ELj2EENSt9enable_ifIXsr10test_utilsE35device_test_enabled_for_warp_size_vIXT1_EEEvE4typeEPT_S7_.numbered_sgpr, 8
	.set _Z26warp_inclusive_scan_kernelIN10test_utils16custom_test_typeIfEELj32ELj2EENSt9enable_ifIXsr10test_utilsE35device_test_enabled_for_warp_size_vIXT1_EEEvE4typeEPT_S7_.num_named_barrier, 0
	.set _Z26warp_inclusive_scan_kernelIN10test_utils16custom_test_typeIfEELj32ELj2EENSt9enable_ifIXsr10test_utilsE35device_test_enabled_for_warp_size_vIXT1_EEEvE4typeEPT_S7_.private_seg_size, 0
	.set _Z26warp_inclusive_scan_kernelIN10test_utils16custom_test_typeIfEELj32ELj2EENSt9enable_ifIXsr10test_utilsE35device_test_enabled_for_warp_size_vIXT1_EEEvE4typeEPT_S7_.uses_vcc, 1
	.set _Z26warp_inclusive_scan_kernelIN10test_utils16custom_test_typeIfEELj32ELj2EENSt9enable_ifIXsr10test_utilsE35device_test_enabled_for_warp_size_vIXT1_EEEvE4typeEPT_S7_.uses_flat_scratch, 0
	.set _Z26warp_inclusive_scan_kernelIN10test_utils16custom_test_typeIfEELj32ELj2EENSt9enable_ifIXsr10test_utilsE35device_test_enabled_for_warp_size_vIXT1_EEEvE4typeEPT_S7_.has_dyn_sized_stack, 0
	.set _Z26warp_inclusive_scan_kernelIN10test_utils16custom_test_typeIfEELj32ELj2EENSt9enable_ifIXsr10test_utilsE35device_test_enabled_for_warp_size_vIXT1_EEEvE4typeEPT_S7_.has_recursion, 0
	.set _Z26warp_inclusive_scan_kernelIN10test_utils16custom_test_typeIfEELj32ELj2EENSt9enable_ifIXsr10test_utilsE35device_test_enabled_for_warp_size_vIXT1_EEEvE4typeEPT_S7_.has_indirect_call, 0
	.section	.AMDGPU.csdata,"",@progbits
; Kernel info:
; codeLenInByte = 152
; TotalNumSgprs: 12
; NumVgprs: 8
; ScratchSize: 0
; MemoryBound: 0
; FloatMode: 240
; IeeeMode: 1
; LDSByteSize: 0 bytes/workgroup (compile time only)
; SGPRBlocks: 1
; VGPRBlocks: 1
; NumSGPRsForWavesPerEU: 12
; NumVGPRsForWavesPerEU: 8
; Occupancy: 10
; WaveLimiterHint : 0
; COMPUTE_PGM_RSRC2:SCRATCH_EN: 0
; COMPUTE_PGM_RSRC2:USER_SGPR: 6
; COMPUTE_PGM_RSRC2:TRAP_HANDLER: 0
; COMPUTE_PGM_RSRC2:TGID_X_EN: 1
; COMPUTE_PGM_RSRC2:TGID_Y_EN: 0
; COMPUTE_PGM_RSRC2:TGID_Z_EN: 0
; COMPUTE_PGM_RSRC2:TIDIG_COMP_CNT: 0
	.section	.text._Z26warp_inclusive_scan_kernelIN10test_utils16custom_test_typeIfEELj64ELj2EENSt9enable_ifIXsr10test_utilsE35device_test_enabled_for_warp_size_vIXT1_EEEvE4typeEPT_S7_,"axG",@progbits,_Z26warp_inclusive_scan_kernelIN10test_utils16custom_test_typeIfEELj64ELj2EENSt9enable_ifIXsr10test_utilsE35device_test_enabled_for_warp_size_vIXT1_EEEvE4typeEPT_S7_,comdat
	.protected	_Z26warp_inclusive_scan_kernelIN10test_utils16custom_test_typeIfEELj64ELj2EENSt9enable_ifIXsr10test_utilsE35device_test_enabled_for_warp_size_vIXT1_EEEvE4typeEPT_S7_ ; -- Begin function _Z26warp_inclusive_scan_kernelIN10test_utils16custom_test_typeIfEELj64ELj2EENSt9enable_ifIXsr10test_utilsE35device_test_enabled_for_warp_size_vIXT1_EEEvE4typeEPT_S7_
	.globl	_Z26warp_inclusive_scan_kernelIN10test_utils16custom_test_typeIfEELj64ELj2EENSt9enable_ifIXsr10test_utilsE35device_test_enabled_for_warp_size_vIXT1_EEEvE4typeEPT_S7_
	.p2align	8
	.type	_Z26warp_inclusive_scan_kernelIN10test_utils16custom_test_typeIfEELj64ELj2EENSt9enable_ifIXsr10test_utilsE35device_test_enabled_for_warp_size_vIXT1_EEEvE4typeEPT_S7_,@function
_Z26warp_inclusive_scan_kernelIN10test_utils16custom_test_typeIfEELj64ELj2EENSt9enable_ifIXsr10test_utilsE35device_test_enabled_for_warp_size_vIXT1_EEEvE4typeEPT_S7_: ; @_Z26warp_inclusive_scan_kernelIN10test_utils16custom_test_typeIfEELj64ELj2EENSt9enable_ifIXsr10test_utilsE35device_test_enabled_for_warp_size_vIXT1_EEEvE4typeEPT_S7_
; %bb.0:
	s_load_dword s7, s[4:5], 0x1c
	s_load_dwordx4 s[0:3], s[4:5], 0x0
	v_mov_b32_e32 v1, 0
	v_mbcnt_lo_u32_b32 v4, -1, 0
	v_mbcnt_hi_u32_b32 v4, -1, v4
	s_waitcnt lgkmcnt(0)
	s_and_b32 s4, s7, 0xffff
	s_mul_i32 s6, s6, s4
	v_add_u32_e32 v0, s6, v0
	v_lshlrev_b64 v[0:1], 3, v[0:1]
	v_mov_b32_e32 v3, s1
	v_add_co_u32_e32 v2, vcc, s0, v0
	v_addc_co_u32_e32 v3, vcc, v3, v1, vcc
	global_load_dwordx2 v[2:3], v[2:3], off
	v_and_b32_e32 v4, 1, v4
	v_cmp_eq_u32_e32 vcc, 0, v4
	v_mov_b32_e32 v5, s3
	s_waitcnt vmcnt(0)
	v_mov_b32_dpp v6, v2 row_shr:1 row_mask:0xf bank_mask:0xf
	v_mov_b32_dpp v7, v3 row_shr:1 row_mask:0xf bank_mask:0xf
	v_add_f32_e32 v6, v2, v6
	v_add_f32_e32 v7, v3, v7
	v_cndmask_b32_e32 v2, v6, v2, vcc
	v_cndmask_b32_e32 v3, v7, v3, vcc
	v_add_co_u32_e32 v0, vcc, s2, v0
	v_addc_co_u32_e32 v1, vcc, v5, v1, vcc
	global_store_dwordx2 v[0:1], v[2:3], off
	s_endpgm
	.section	.rodata,"a",@progbits
	.p2align	6, 0x0
	.amdhsa_kernel _Z26warp_inclusive_scan_kernelIN10test_utils16custom_test_typeIfEELj64ELj2EENSt9enable_ifIXsr10test_utilsE35device_test_enabled_for_warp_size_vIXT1_EEEvE4typeEPT_S7_
		.amdhsa_group_segment_fixed_size 0
		.amdhsa_private_segment_fixed_size 0
		.amdhsa_kernarg_size 272
		.amdhsa_user_sgpr_count 6
		.amdhsa_user_sgpr_private_segment_buffer 1
		.amdhsa_user_sgpr_dispatch_ptr 0
		.amdhsa_user_sgpr_queue_ptr 0
		.amdhsa_user_sgpr_kernarg_segment_ptr 1
		.amdhsa_user_sgpr_dispatch_id 0
		.amdhsa_user_sgpr_flat_scratch_init 0
		.amdhsa_user_sgpr_private_segment_size 0
		.amdhsa_uses_dynamic_stack 0
		.amdhsa_system_sgpr_private_segment_wavefront_offset 0
		.amdhsa_system_sgpr_workgroup_id_x 1
		.amdhsa_system_sgpr_workgroup_id_y 0
		.amdhsa_system_sgpr_workgroup_id_z 0
		.amdhsa_system_sgpr_workgroup_info 0
		.amdhsa_system_vgpr_workitem_id 0
		.amdhsa_next_free_vgpr 8
		.amdhsa_next_free_sgpr 8
		.amdhsa_reserve_vcc 1
		.amdhsa_reserve_flat_scratch 0
		.amdhsa_float_round_mode_32 0
		.amdhsa_float_round_mode_16_64 0
		.amdhsa_float_denorm_mode_32 3
		.amdhsa_float_denorm_mode_16_64 3
		.amdhsa_dx10_clamp 1
		.amdhsa_ieee_mode 1
		.amdhsa_fp16_overflow 0
		.amdhsa_exception_fp_ieee_invalid_op 0
		.amdhsa_exception_fp_denorm_src 0
		.amdhsa_exception_fp_ieee_div_zero 0
		.amdhsa_exception_fp_ieee_overflow 0
		.amdhsa_exception_fp_ieee_underflow 0
		.amdhsa_exception_fp_ieee_inexact 0
		.amdhsa_exception_int_div_zero 0
	.end_amdhsa_kernel
	.section	.text._Z26warp_inclusive_scan_kernelIN10test_utils16custom_test_typeIfEELj64ELj2EENSt9enable_ifIXsr10test_utilsE35device_test_enabled_for_warp_size_vIXT1_EEEvE4typeEPT_S7_,"axG",@progbits,_Z26warp_inclusive_scan_kernelIN10test_utils16custom_test_typeIfEELj64ELj2EENSt9enable_ifIXsr10test_utilsE35device_test_enabled_for_warp_size_vIXT1_EEEvE4typeEPT_S7_,comdat
.Lfunc_end326:
	.size	_Z26warp_inclusive_scan_kernelIN10test_utils16custom_test_typeIfEELj64ELj2EENSt9enable_ifIXsr10test_utilsE35device_test_enabled_for_warp_size_vIXT1_EEEvE4typeEPT_S7_, .Lfunc_end326-_Z26warp_inclusive_scan_kernelIN10test_utils16custom_test_typeIfEELj64ELj2EENSt9enable_ifIXsr10test_utilsE35device_test_enabled_for_warp_size_vIXT1_EEEvE4typeEPT_S7_
                                        ; -- End function
	.set _Z26warp_inclusive_scan_kernelIN10test_utils16custom_test_typeIfEELj64ELj2EENSt9enable_ifIXsr10test_utilsE35device_test_enabled_for_warp_size_vIXT1_EEEvE4typeEPT_S7_.num_vgpr, 8
	.set _Z26warp_inclusive_scan_kernelIN10test_utils16custom_test_typeIfEELj64ELj2EENSt9enable_ifIXsr10test_utilsE35device_test_enabled_for_warp_size_vIXT1_EEEvE4typeEPT_S7_.num_agpr, 0
	.set _Z26warp_inclusive_scan_kernelIN10test_utils16custom_test_typeIfEELj64ELj2EENSt9enable_ifIXsr10test_utilsE35device_test_enabled_for_warp_size_vIXT1_EEEvE4typeEPT_S7_.numbered_sgpr, 8
	.set _Z26warp_inclusive_scan_kernelIN10test_utils16custom_test_typeIfEELj64ELj2EENSt9enable_ifIXsr10test_utilsE35device_test_enabled_for_warp_size_vIXT1_EEEvE4typeEPT_S7_.num_named_barrier, 0
	.set _Z26warp_inclusive_scan_kernelIN10test_utils16custom_test_typeIfEELj64ELj2EENSt9enable_ifIXsr10test_utilsE35device_test_enabled_for_warp_size_vIXT1_EEEvE4typeEPT_S7_.private_seg_size, 0
	.set _Z26warp_inclusive_scan_kernelIN10test_utils16custom_test_typeIfEELj64ELj2EENSt9enable_ifIXsr10test_utilsE35device_test_enabled_for_warp_size_vIXT1_EEEvE4typeEPT_S7_.uses_vcc, 1
	.set _Z26warp_inclusive_scan_kernelIN10test_utils16custom_test_typeIfEELj64ELj2EENSt9enable_ifIXsr10test_utilsE35device_test_enabled_for_warp_size_vIXT1_EEEvE4typeEPT_S7_.uses_flat_scratch, 0
	.set _Z26warp_inclusive_scan_kernelIN10test_utils16custom_test_typeIfEELj64ELj2EENSt9enable_ifIXsr10test_utilsE35device_test_enabled_for_warp_size_vIXT1_EEEvE4typeEPT_S7_.has_dyn_sized_stack, 0
	.set _Z26warp_inclusive_scan_kernelIN10test_utils16custom_test_typeIfEELj64ELj2EENSt9enable_ifIXsr10test_utilsE35device_test_enabled_for_warp_size_vIXT1_EEEvE4typeEPT_S7_.has_recursion, 0
	.set _Z26warp_inclusive_scan_kernelIN10test_utils16custom_test_typeIfEELj64ELj2EENSt9enable_ifIXsr10test_utilsE35device_test_enabled_for_warp_size_vIXT1_EEEvE4typeEPT_S7_.has_indirect_call, 0
	.section	.AMDGPU.csdata,"",@progbits
; Kernel info:
; codeLenInByte = 152
; TotalNumSgprs: 12
; NumVgprs: 8
; ScratchSize: 0
; MemoryBound: 0
; FloatMode: 240
; IeeeMode: 1
; LDSByteSize: 0 bytes/workgroup (compile time only)
; SGPRBlocks: 1
; VGPRBlocks: 1
; NumSGPRsForWavesPerEU: 12
; NumVGPRsForWavesPerEU: 8
; Occupancy: 10
; WaveLimiterHint : 0
; COMPUTE_PGM_RSRC2:SCRATCH_EN: 0
; COMPUTE_PGM_RSRC2:USER_SGPR: 6
; COMPUTE_PGM_RSRC2:TRAP_HANDLER: 0
; COMPUTE_PGM_RSRC2:TGID_X_EN: 1
; COMPUTE_PGM_RSRC2:TGID_Y_EN: 0
; COMPUTE_PGM_RSRC2:TGID_Z_EN: 0
; COMPUTE_PGM_RSRC2:TIDIG_COMP_CNT: 0
	.section	.text._Z26warp_inclusive_scan_kernelIN10test_utils16custom_test_typeIiEELj256ELj64EENSt9enable_ifIXsr10test_utilsE35device_test_enabled_for_warp_size_vIXT1_EEEvE4typeEPT_S7_,"axG",@progbits,_Z26warp_inclusive_scan_kernelIN10test_utils16custom_test_typeIiEELj256ELj64EENSt9enable_ifIXsr10test_utilsE35device_test_enabled_for_warp_size_vIXT1_EEEvE4typeEPT_S7_,comdat
	.protected	_Z26warp_inclusive_scan_kernelIN10test_utils16custom_test_typeIiEELj256ELj64EENSt9enable_ifIXsr10test_utilsE35device_test_enabled_for_warp_size_vIXT1_EEEvE4typeEPT_S7_ ; -- Begin function _Z26warp_inclusive_scan_kernelIN10test_utils16custom_test_typeIiEELj256ELj64EENSt9enable_ifIXsr10test_utilsE35device_test_enabled_for_warp_size_vIXT1_EEEvE4typeEPT_S7_
	.globl	_Z26warp_inclusive_scan_kernelIN10test_utils16custom_test_typeIiEELj256ELj64EENSt9enable_ifIXsr10test_utilsE35device_test_enabled_for_warp_size_vIXT1_EEEvE4typeEPT_S7_
	.p2align	8
	.type	_Z26warp_inclusive_scan_kernelIN10test_utils16custom_test_typeIiEELj256ELj64EENSt9enable_ifIXsr10test_utilsE35device_test_enabled_for_warp_size_vIXT1_EEEvE4typeEPT_S7_,@function
_Z26warp_inclusive_scan_kernelIN10test_utils16custom_test_typeIiEELj256ELj64EENSt9enable_ifIXsr10test_utilsE35device_test_enabled_for_warp_size_vIXT1_EEEvE4typeEPT_S7_: ; @_Z26warp_inclusive_scan_kernelIN10test_utils16custom_test_typeIiEELj256ELj64EENSt9enable_ifIXsr10test_utilsE35device_test_enabled_for_warp_size_vIXT1_EEEvE4typeEPT_S7_
; %bb.0:
	s_load_dword s7, s[4:5], 0x1c
	s_load_dwordx4 s[0:3], s[4:5], 0x0
	v_mov_b32_e32 v1, 0
	v_mbcnt_lo_u32_b32 v4, -1, 0
	v_mbcnt_hi_u32_b32 v4, -1, v4
	s_waitcnt lgkmcnt(0)
	s_and_b32 s4, s7, 0xffff
	s_mul_i32 s6, s6, s4
	v_add_u32_e32 v0, s6, v0
	v_lshlrev_b64 v[0:1], 3, v[0:1]
	v_mov_b32_e32 v3, s1
	v_add_co_u32_e32 v2, vcc, s0, v0
	v_addc_co_u32_e32 v3, vcc, v3, v1, vcc
	global_load_dwordx2 v[2:3], v[2:3], off
	v_and_b32_e32 v5, 15, v4
	v_cmp_eq_u32_e32 vcc, 0, v5
	v_bfe_i32 v6, v4, 4, 1
	v_mov_b32_e32 v7, s3
	s_waitcnt vmcnt(0)
	v_mov_b32_dpp v8, v2 row_shr:1 row_mask:0xf bank_mask:0xf
	v_mov_b32_dpp v9, v3 row_shr:1 row_mask:0xf bank_mask:0xf
	v_cndmask_b32_e64 v8, v8, 0, vcc
	v_cndmask_b32_e64 v9, v9, 0, vcc
	v_add_u32_e32 v2, v8, v2
	v_add_u32_e32 v3, v9, v3
	v_cmp_lt_u32_e32 vcc, 1, v5
	v_mov_b32_dpp v8, v2 row_shr:2 row_mask:0xf bank_mask:0xf
	v_mov_b32_dpp v9, v3 row_shr:2 row_mask:0xf bank_mask:0xf
	v_cndmask_b32_e32 v9, 0, v9, vcc
	v_cndmask_b32_e32 v8, 0, v8, vcc
	v_add_u32_e32 v3, v3, v9
	v_add_u32_e32 v2, v2, v8
	v_cmp_lt_u32_e32 vcc, 3, v5
	v_mov_b32_dpp v9, v3 row_shr:4 row_mask:0xf bank_mask:0xf
	v_mov_b32_dpp v8, v2 row_shr:4 row_mask:0xf bank_mask:0xf
	v_cndmask_b32_e32 v9, 0, v9, vcc
	v_cndmask_b32_e32 v8, 0, v8, vcc
	;; [unrolled: 7-line block ×3, first 2 shown]
	v_add_u32_e32 v3, v3, v5
	v_add_u32_e32 v2, v2, v8
	v_cmp_lt_u32_e32 vcc, 31, v4
	v_mov_b32_dpp v8, v3 row_bcast:15 row_mask:0xf bank_mask:0xf
	v_mov_b32_dpp v5, v2 row_bcast:15 row_mask:0xf bank_mask:0xf
	v_and_b32_e32 v5, v6, v5
	v_and_b32_e32 v6, v6, v8
	v_add_u32_e32 v2, v2, v5
	v_add_u32_e32 v3, v3, v6
	s_nop 0
	v_mov_b32_dpp v5, v2 row_bcast:31 row_mask:0xf bank_mask:0xf
	v_mov_b32_dpp v6, v3 row_bcast:31 row_mask:0xf bank_mask:0xf
	v_cndmask_b32_e32 v4, 0, v5, vcc
	v_cndmask_b32_e32 v5, 0, v6, vcc
	v_add_co_u32_e32 v0, vcc, s2, v0
	v_add_u32_e32 v2, v4, v2
	v_add_u32_e32 v3, v5, v3
	v_addc_co_u32_e32 v1, vcc, v7, v1, vcc
	global_store_dwordx2 v[0:1], v[2:3], off
	s_endpgm
	.section	.rodata,"a",@progbits
	.p2align	6, 0x0
	.amdhsa_kernel _Z26warp_inclusive_scan_kernelIN10test_utils16custom_test_typeIiEELj256ELj64EENSt9enable_ifIXsr10test_utilsE35device_test_enabled_for_warp_size_vIXT1_EEEvE4typeEPT_S7_
		.amdhsa_group_segment_fixed_size 0
		.amdhsa_private_segment_fixed_size 0
		.amdhsa_kernarg_size 272
		.amdhsa_user_sgpr_count 6
		.amdhsa_user_sgpr_private_segment_buffer 1
		.amdhsa_user_sgpr_dispatch_ptr 0
		.amdhsa_user_sgpr_queue_ptr 0
		.amdhsa_user_sgpr_kernarg_segment_ptr 1
		.amdhsa_user_sgpr_dispatch_id 0
		.amdhsa_user_sgpr_flat_scratch_init 0
		.amdhsa_user_sgpr_private_segment_size 0
		.amdhsa_uses_dynamic_stack 0
		.amdhsa_system_sgpr_private_segment_wavefront_offset 0
		.amdhsa_system_sgpr_workgroup_id_x 1
		.amdhsa_system_sgpr_workgroup_id_y 0
		.amdhsa_system_sgpr_workgroup_id_z 0
		.amdhsa_system_sgpr_workgroup_info 0
		.amdhsa_system_vgpr_workitem_id 0
		.amdhsa_next_free_vgpr 10
		.amdhsa_next_free_sgpr 8
		.amdhsa_reserve_vcc 1
		.amdhsa_reserve_flat_scratch 0
		.amdhsa_float_round_mode_32 0
		.amdhsa_float_round_mode_16_64 0
		.amdhsa_float_denorm_mode_32 3
		.amdhsa_float_denorm_mode_16_64 3
		.amdhsa_dx10_clamp 1
		.amdhsa_ieee_mode 1
		.amdhsa_fp16_overflow 0
		.amdhsa_exception_fp_ieee_invalid_op 0
		.amdhsa_exception_fp_denorm_src 0
		.amdhsa_exception_fp_ieee_div_zero 0
		.amdhsa_exception_fp_ieee_overflow 0
		.amdhsa_exception_fp_ieee_underflow 0
		.amdhsa_exception_fp_ieee_inexact 0
		.amdhsa_exception_int_div_zero 0
	.end_amdhsa_kernel
	.section	.text._Z26warp_inclusive_scan_kernelIN10test_utils16custom_test_typeIiEELj256ELj64EENSt9enable_ifIXsr10test_utilsE35device_test_enabled_for_warp_size_vIXT1_EEEvE4typeEPT_S7_,"axG",@progbits,_Z26warp_inclusive_scan_kernelIN10test_utils16custom_test_typeIiEELj256ELj64EENSt9enable_ifIXsr10test_utilsE35device_test_enabled_for_warp_size_vIXT1_EEEvE4typeEPT_S7_,comdat
.Lfunc_end327:
	.size	_Z26warp_inclusive_scan_kernelIN10test_utils16custom_test_typeIiEELj256ELj64EENSt9enable_ifIXsr10test_utilsE35device_test_enabled_for_warp_size_vIXT1_EEEvE4typeEPT_S7_, .Lfunc_end327-_Z26warp_inclusive_scan_kernelIN10test_utils16custom_test_typeIiEELj256ELj64EENSt9enable_ifIXsr10test_utilsE35device_test_enabled_for_warp_size_vIXT1_EEEvE4typeEPT_S7_
                                        ; -- End function
	.set _Z26warp_inclusive_scan_kernelIN10test_utils16custom_test_typeIiEELj256ELj64EENSt9enable_ifIXsr10test_utilsE35device_test_enabled_for_warp_size_vIXT1_EEEvE4typeEPT_S7_.num_vgpr, 10
	.set _Z26warp_inclusive_scan_kernelIN10test_utils16custom_test_typeIiEELj256ELj64EENSt9enable_ifIXsr10test_utilsE35device_test_enabled_for_warp_size_vIXT1_EEEvE4typeEPT_S7_.num_agpr, 0
	.set _Z26warp_inclusive_scan_kernelIN10test_utils16custom_test_typeIiEELj256ELj64EENSt9enable_ifIXsr10test_utilsE35device_test_enabled_for_warp_size_vIXT1_EEEvE4typeEPT_S7_.numbered_sgpr, 8
	.set _Z26warp_inclusive_scan_kernelIN10test_utils16custom_test_typeIiEELj256ELj64EENSt9enable_ifIXsr10test_utilsE35device_test_enabled_for_warp_size_vIXT1_EEEvE4typeEPT_S7_.num_named_barrier, 0
	.set _Z26warp_inclusive_scan_kernelIN10test_utils16custom_test_typeIiEELj256ELj64EENSt9enable_ifIXsr10test_utilsE35device_test_enabled_for_warp_size_vIXT1_EEEvE4typeEPT_S7_.private_seg_size, 0
	.set _Z26warp_inclusive_scan_kernelIN10test_utils16custom_test_typeIiEELj256ELj64EENSt9enable_ifIXsr10test_utilsE35device_test_enabled_for_warp_size_vIXT1_EEEvE4typeEPT_S7_.uses_vcc, 1
	.set _Z26warp_inclusive_scan_kernelIN10test_utils16custom_test_typeIiEELj256ELj64EENSt9enable_ifIXsr10test_utilsE35device_test_enabled_for_warp_size_vIXT1_EEEvE4typeEPT_S7_.uses_flat_scratch, 0
	.set _Z26warp_inclusive_scan_kernelIN10test_utils16custom_test_typeIiEELj256ELj64EENSt9enable_ifIXsr10test_utilsE35device_test_enabled_for_warp_size_vIXT1_EEEvE4typeEPT_S7_.has_dyn_sized_stack, 0
	.set _Z26warp_inclusive_scan_kernelIN10test_utils16custom_test_typeIiEELj256ELj64EENSt9enable_ifIXsr10test_utilsE35device_test_enabled_for_warp_size_vIXT1_EEEvE4typeEPT_S7_.has_recursion, 0
	.set _Z26warp_inclusive_scan_kernelIN10test_utils16custom_test_typeIiEELj256ELj64EENSt9enable_ifIXsr10test_utilsE35device_test_enabled_for_warp_size_vIXT1_EEEvE4typeEPT_S7_.has_indirect_call, 0
	.section	.AMDGPU.csdata,"",@progbits
; Kernel info:
; codeLenInByte = 348
; TotalNumSgprs: 12
; NumVgprs: 10
; ScratchSize: 0
; MemoryBound: 0
; FloatMode: 240
; IeeeMode: 1
; LDSByteSize: 0 bytes/workgroup (compile time only)
; SGPRBlocks: 1
; VGPRBlocks: 2
; NumSGPRsForWavesPerEU: 12
; NumVGPRsForWavesPerEU: 10
; Occupancy: 10
; WaveLimiterHint : 0
; COMPUTE_PGM_RSRC2:SCRATCH_EN: 0
; COMPUTE_PGM_RSRC2:USER_SGPR: 6
; COMPUTE_PGM_RSRC2:TRAP_HANDLER: 0
; COMPUTE_PGM_RSRC2:TGID_X_EN: 1
; COMPUTE_PGM_RSRC2:TGID_Y_EN: 0
; COMPUTE_PGM_RSRC2:TGID_Z_EN: 0
; COMPUTE_PGM_RSRC2:TIDIG_COMP_CNT: 0
	.section	.text._Z26warp_inclusive_scan_kernelIN10test_utils16custom_test_typeIiEELj128ELj32EENSt9enable_ifIXsr10test_utilsE35device_test_enabled_for_warp_size_vIXT1_EEEvE4typeEPT_S7_,"axG",@progbits,_Z26warp_inclusive_scan_kernelIN10test_utils16custom_test_typeIiEELj128ELj32EENSt9enable_ifIXsr10test_utilsE35device_test_enabled_for_warp_size_vIXT1_EEEvE4typeEPT_S7_,comdat
	.protected	_Z26warp_inclusive_scan_kernelIN10test_utils16custom_test_typeIiEELj128ELj32EENSt9enable_ifIXsr10test_utilsE35device_test_enabled_for_warp_size_vIXT1_EEEvE4typeEPT_S7_ ; -- Begin function _Z26warp_inclusive_scan_kernelIN10test_utils16custom_test_typeIiEELj128ELj32EENSt9enable_ifIXsr10test_utilsE35device_test_enabled_for_warp_size_vIXT1_EEEvE4typeEPT_S7_
	.globl	_Z26warp_inclusive_scan_kernelIN10test_utils16custom_test_typeIiEELj128ELj32EENSt9enable_ifIXsr10test_utilsE35device_test_enabled_for_warp_size_vIXT1_EEEvE4typeEPT_S7_
	.p2align	8
	.type	_Z26warp_inclusive_scan_kernelIN10test_utils16custom_test_typeIiEELj128ELj32EENSt9enable_ifIXsr10test_utilsE35device_test_enabled_for_warp_size_vIXT1_EEEvE4typeEPT_S7_,@function
_Z26warp_inclusive_scan_kernelIN10test_utils16custom_test_typeIiEELj128ELj32EENSt9enable_ifIXsr10test_utilsE35device_test_enabled_for_warp_size_vIXT1_EEEvE4typeEPT_S7_: ; @_Z26warp_inclusive_scan_kernelIN10test_utils16custom_test_typeIiEELj128ELj32EENSt9enable_ifIXsr10test_utilsE35device_test_enabled_for_warp_size_vIXT1_EEEvE4typeEPT_S7_
; %bb.0:
	s_load_dword s7, s[4:5], 0x1c
	s_load_dwordx4 s[0:3], s[4:5], 0x0
	v_mov_b32_e32 v1, 0
	v_mbcnt_lo_u32_b32 v4, -1, 0
	v_mbcnt_hi_u32_b32 v4, -1, v4
	s_waitcnt lgkmcnt(0)
	s_and_b32 s4, s7, 0xffff
	s_mul_i32 s6, s6, s4
	v_add_u32_e32 v0, s6, v0
	v_lshlrev_b64 v[0:1], 3, v[0:1]
	v_mov_b32_e32 v3, s1
	v_add_co_u32_e32 v2, vcc, s0, v0
	v_addc_co_u32_e32 v3, vcc, v3, v1, vcc
	global_load_dwordx2 v[2:3], v[2:3], off
	v_and_b32_e32 v5, 15, v4
	v_cmp_eq_u32_e32 vcc, 0, v5
	v_bfe_i32 v4, v4, 4, 1
	v_mov_b32_e32 v6, s3
	s_waitcnt vmcnt(0)
	v_mov_b32_dpp v7, v2 row_shr:1 row_mask:0xf bank_mask:0xf
	v_mov_b32_dpp v8, v3 row_shr:1 row_mask:0xf bank_mask:0xf
	v_cndmask_b32_e64 v7, v7, 0, vcc
	v_cndmask_b32_e64 v8, v8, 0, vcc
	v_add_u32_e32 v2, v7, v2
	v_add_u32_e32 v3, v8, v3
	v_cmp_lt_u32_e32 vcc, 1, v5
	v_mov_b32_dpp v7, v2 row_shr:2 row_mask:0xf bank_mask:0xf
	v_mov_b32_dpp v8, v3 row_shr:2 row_mask:0xf bank_mask:0xf
	v_cndmask_b32_e32 v8, 0, v8, vcc
	v_cndmask_b32_e32 v7, 0, v7, vcc
	v_add_u32_e32 v3, v3, v8
	v_add_u32_e32 v2, v2, v7
	v_cmp_lt_u32_e32 vcc, 3, v5
	v_mov_b32_dpp v8, v3 row_shr:4 row_mask:0xf bank_mask:0xf
	v_mov_b32_dpp v7, v2 row_shr:4 row_mask:0xf bank_mask:0xf
	v_cndmask_b32_e32 v8, 0, v8, vcc
	v_cndmask_b32_e32 v7, 0, v7, vcc
	;; [unrolled: 7-line block ×3, first 2 shown]
	v_add_u32_e32 v3, v3, v5
	v_add_u32_e32 v2, v2, v7
	v_add_co_u32_e32 v0, vcc, s2, v0
	s_nop 0
	v_mov_b32_dpp v5, v2 row_bcast:15 row_mask:0xf bank_mask:0xf
	v_mov_b32_dpp v7, v3 row_bcast:15 row_mask:0xf bank_mask:0xf
	v_and_b32_e32 v5, v4, v5
	v_and_b32_e32 v4, v4, v7
	v_add_u32_e32 v2, v5, v2
	v_add_u32_e32 v3, v4, v3
	v_addc_co_u32_e32 v1, vcc, v6, v1, vcc
	global_store_dwordx2 v[0:1], v[2:3], off
	s_endpgm
	.section	.rodata,"a",@progbits
	.p2align	6, 0x0
	.amdhsa_kernel _Z26warp_inclusive_scan_kernelIN10test_utils16custom_test_typeIiEELj128ELj32EENSt9enable_ifIXsr10test_utilsE35device_test_enabled_for_warp_size_vIXT1_EEEvE4typeEPT_S7_
		.amdhsa_group_segment_fixed_size 0
		.amdhsa_private_segment_fixed_size 0
		.amdhsa_kernarg_size 272
		.amdhsa_user_sgpr_count 6
		.amdhsa_user_sgpr_private_segment_buffer 1
		.amdhsa_user_sgpr_dispatch_ptr 0
		.amdhsa_user_sgpr_queue_ptr 0
		.amdhsa_user_sgpr_kernarg_segment_ptr 1
		.amdhsa_user_sgpr_dispatch_id 0
		.amdhsa_user_sgpr_flat_scratch_init 0
		.amdhsa_user_sgpr_private_segment_size 0
		.amdhsa_uses_dynamic_stack 0
		.amdhsa_system_sgpr_private_segment_wavefront_offset 0
		.amdhsa_system_sgpr_workgroup_id_x 1
		.amdhsa_system_sgpr_workgroup_id_y 0
		.amdhsa_system_sgpr_workgroup_id_z 0
		.amdhsa_system_sgpr_workgroup_info 0
		.amdhsa_system_vgpr_workitem_id 0
		.amdhsa_next_free_vgpr 9
		.amdhsa_next_free_sgpr 8
		.amdhsa_reserve_vcc 1
		.amdhsa_reserve_flat_scratch 0
		.amdhsa_float_round_mode_32 0
		.amdhsa_float_round_mode_16_64 0
		.amdhsa_float_denorm_mode_32 3
		.amdhsa_float_denorm_mode_16_64 3
		.amdhsa_dx10_clamp 1
		.amdhsa_ieee_mode 1
		.amdhsa_fp16_overflow 0
		.amdhsa_exception_fp_ieee_invalid_op 0
		.amdhsa_exception_fp_denorm_src 0
		.amdhsa_exception_fp_ieee_div_zero 0
		.amdhsa_exception_fp_ieee_overflow 0
		.amdhsa_exception_fp_ieee_underflow 0
		.amdhsa_exception_fp_ieee_inexact 0
		.amdhsa_exception_int_div_zero 0
	.end_amdhsa_kernel
	.section	.text._Z26warp_inclusive_scan_kernelIN10test_utils16custom_test_typeIiEELj128ELj32EENSt9enable_ifIXsr10test_utilsE35device_test_enabled_for_warp_size_vIXT1_EEEvE4typeEPT_S7_,"axG",@progbits,_Z26warp_inclusive_scan_kernelIN10test_utils16custom_test_typeIiEELj128ELj32EENSt9enable_ifIXsr10test_utilsE35device_test_enabled_for_warp_size_vIXT1_EEEvE4typeEPT_S7_,comdat
.Lfunc_end328:
	.size	_Z26warp_inclusive_scan_kernelIN10test_utils16custom_test_typeIiEELj128ELj32EENSt9enable_ifIXsr10test_utilsE35device_test_enabled_for_warp_size_vIXT1_EEEvE4typeEPT_S7_, .Lfunc_end328-_Z26warp_inclusive_scan_kernelIN10test_utils16custom_test_typeIiEELj128ELj32EENSt9enable_ifIXsr10test_utilsE35device_test_enabled_for_warp_size_vIXT1_EEEvE4typeEPT_S7_
                                        ; -- End function
	.set _Z26warp_inclusive_scan_kernelIN10test_utils16custom_test_typeIiEELj128ELj32EENSt9enable_ifIXsr10test_utilsE35device_test_enabled_for_warp_size_vIXT1_EEEvE4typeEPT_S7_.num_vgpr, 9
	.set _Z26warp_inclusive_scan_kernelIN10test_utils16custom_test_typeIiEELj128ELj32EENSt9enable_ifIXsr10test_utilsE35device_test_enabled_for_warp_size_vIXT1_EEEvE4typeEPT_S7_.num_agpr, 0
	.set _Z26warp_inclusive_scan_kernelIN10test_utils16custom_test_typeIiEELj128ELj32EENSt9enable_ifIXsr10test_utilsE35device_test_enabled_for_warp_size_vIXT1_EEEvE4typeEPT_S7_.numbered_sgpr, 8
	.set _Z26warp_inclusive_scan_kernelIN10test_utils16custom_test_typeIiEELj128ELj32EENSt9enable_ifIXsr10test_utilsE35device_test_enabled_for_warp_size_vIXT1_EEEvE4typeEPT_S7_.num_named_barrier, 0
	.set _Z26warp_inclusive_scan_kernelIN10test_utils16custom_test_typeIiEELj128ELj32EENSt9enable_ifIXsr10test_utilsE35device_test_enabled_for_warp_size_vIXT1_EEEvE4typeEPT_S7_.private_seg_size, 0
	.set _Z26warp_inclusive_scan_kernelIN10test_utils16custom_test_typeIiEELj128ELj32EENSt9enable_ifIXsr10test_utilsE35device_test_enabled_for_warp_size_vIXT1_EEEvE4typeEPT_S7_.uses_vcc, 1
	.set _Z26warp_inclusive_scan_kernelIN10test_utils16custom_test_typeIiEELj128ELj32EENSt9enable_ifIXsr10test_utilsE35device_test_enabled_for_warp_size_vIXT1_EEEvE4typeEPT_S7_.uses_flat_scratch, 0
	.set _Z26warp_inclusive_scan_kernelIN10test_utils16custom_test_typeIiEELj128ELj32EENSt9enable_ifIXsr10test_utilsE35device_test_enabled_for_warp_size_vIXT1_EEEvE4typeEPT_S7_.has_dyn_sized_stack, 0
	.set _Z26warp_inclusive_scan_kernelIN10test_utils16custom_test_typeIiEELj128ELj32EENSt9enable_ifIXsr10test_utilsE35device_test_enabled_for_warp_size_vIXT1_EEEvE4typeEPT_S7_.has_recursion, 0
	.set _Z26warp_inclusive_scan_kernelIN10test_utils16custom_test_typeIiEELj128ELj32EENSt9enable_ifIXsr10test_utilsE35device_test_enabled_for_warp_size_vIXT1_EEEvE4typeEPT_S7_.has_indirect_call, 0
	.section	.AMDGPU.csdata,"",@progbits
; Kernel info:
; codeLenInByte = 312
; TotalNumSgprs: 12
; NumVgprs: 9
; ScratchSize: 0
; MemoryBound: 0
; FloatMode: 240
; IeeeMode: 1
; LDSByteSize: 0 bytes/workgroup (compile time only)
; SGPRBlocks: 1
; VGPRBlocks: 2
; NumSGPRsForWavesPerEU: 12
; NumVGPRsForWavesPerEU: 9
; Occupancy: 10
; WaveLimiterHint : 0
; COMPUTE_PGM_RSRC2:SCRATCH_EN: 0
; COMPUTE_PGM_RSRC2:USER_SGPR: 6
; COMPUTE_PGM_RSRC2:TRAP_HANDLER: 0
; COMPUTE_PGM_RSRC2:TGID_X_EN: 1
; COMPUTE_PGM_RSRC2:TGID_Y_EN: 0
; COMPUTE_PGM_RSRC2:TGID_Z_EN: 0
; COMPUTE_PGM_RSRC2:TIDIG_COMP_CNT: 0
	.section	.text._Z26warp_inclusive_scan_kernelIN10test_utils16custom_test_typeIiEELj64ELj16EENSt9enable_ifIXsr10test_utilsE35device_test_enabled_for_warp_size_vIXT1_EEEvE4typeEPT_S7_,"axG",@progbits,_Z26warp_inclusive_scan_kernelIN10test_utils16custom_test_typeIiEELj64ELj16EENSt9enable_ifIXsr10test_utilsE35device_test_enabled_for_warp_size_vIXT1_EEEvE4typeEPT_S7_,comdat
	.protected	_Z26warp_inclusive_scan_kernelIN10test_utils16custom_test_typeIiEELj64ELj16EENSt9enable_ifIXsr10test_utilsE35device_test_enabled_for_warp_size_vIXT1_EEEvE4typeEPT_S7_ ; -- Begin function _Z26warp_inclusive_scan_kernelIN10test_utils16custom_test_typeIiEELj64ELj16EENSt9enable_ifIXsr10test_utilsE35device_test_enabled_for_warp_size_vIXT1_EEEvE4typeEPT_S7_
	.globl	_Z26warp_inclusive_scan_kernelIN10test_utils16custom_test_typeIiEELj64ELj16EENSt9enable_ifIXsr10test_utilsE35device_test_enabled_for_warp_size_vIXT1_EEEvE4typeEPT_S7_
	.p2align	8
	.type	_Z26warp_inclusive_scan_kernelIN10test_utils16custom_test_typeIiEELj64ELj16EENSt9enable_ifIXsr10test_utilsE35device_test_enabled_for_warp_size_vIXT1_EEEvE4typeEPT_S7_,@function
_Z26warp_inclusive_scan_kernelIN10test_utils16custom_test_typeIiEELj64ELj16EENSt9enable_ifIXsr10test_utilsE35device_test_enabled_for_warp_size_vIXT1_EEEvE4typeEPT_S7_: ; @_Z26warp_inclusive_scan_kernelIN10test_utils16custom_test_typeIiEELj64ELj16EENSt9enable_ifIXsr10test_utilsE35device_test_enabled_for_warp_size_vIXT1_EEEvE4typeEPT_S7_
; %bb.0:
	s_load_dword s7, s[4:5], 0x1c
	s_load_dwordx4 s[0:3], s[4:5], 0x0
	v_mov_b32_e32 v1, 0
	v_mbcnt_lo_u32_b32 v4, -1, 0
	v_mbcnt_hi_u32_b32 v4, -1, v4
	s_waitcnt lgkmcnt(0)
	s_and_b32 s4, s7, 0xffff
	s_mul_i32 s6, s6, s4
	v_add_u32_e32 v0, s6, v0
	v_lshlrev_b64 v[0:1], 3, v[0:1]
	v_mov_b32_e32 v3, s1
	v_add_co_u32_e32 v2, vcc, s0, v0
	v_addc_co_u32_e32 v3, vcc, v3, v1, vcc
	global_load_dwordx2 v[2:3], v[2:3], off
	v_and_b32_e32 v4, 15, v4
	v_cmp_eq_u32_e32 vcc, 0, v4
	v_mov_b32_e32 v5, s3
	s_waitcnt vmcnt(0)
	v_mov_b32_dpp v6, v2 row_shr:1 row_mask:0xf bank_mask:0xf
	v_mov_b32_dpp v7, v3 row_shr:1 row_mask:0xf bank_mask:0xf
	v_cndmask_b32_e64 v6, v6, 0, vcc
	v_cndmask_b32_e64 v7, v7, 0, vcc
	v_add_u32_e32 v2, v6, v2
	v_add_u32_e32 v3, v7, v3
	v_cmp_lt_u32_e32 vcc, 1, v4
	v_mov_b32_dpp v6, v2 row_shr:2 row_mask:0xf bank_mask:0xf
	v_mov_b32_dpp v7, v3 row_shr:2 row_mask:0xf bank_mask:0xf
	v_cndmask_b32_e32 v7, 0, v7, vcc
	v_cndmask_b32_e32 v6, 0, v6, vcc
	v_add_u32_e32 v3, v3, v7
	v_add_u32_e32 v2, v2, v6
	v_cmp_lt_u32_e32 vcc, 3, v4
	v_mov_b32_dpp v7, v3 row_shr:4 row_mask:0xf bank_mask:0xf
	v_mov_b32_dpp v6, v2 row_shr:4 row_mask:0xf bank_mask:0xf
	v_cndmask_b32_e32 v7, 0, v7, vcc
	v_cndmask_b32_e32 v6, 0, v6, vcc
	;; [unrolled: 7-line block ×3, first 2 shown]
	v_add_co_u32_e32 v0, vcc, s2, v0
	v_add_u32_e32 v2, v4, v2
	v_add_u32_e32 v3, v6, v3
	v_addc_co_u32_e32 v1, vcc, v5, v1, vcc
	global_store_dwordx2 v[0:1], v[2:3], off
	s_endpgm
	.section	.rodata,"a",@progbits
	.p2align	6, 0x0
	.amdhsa_kernel _Z26warp_inclusive_scan_kernelIN10test_utils16custom_test_typeIiEELj64ELj16EENSt9enable_ifIXsr10test_utilsE35device_test_enabled_for_warp_size_vIXT1_EEEvE4typeEPT_S7_
		.amdhsa_group_segment_fixed_size 0
		.amdhsa_private_segment_fixed_size 0
		.amdhsa_kernarg_size 272
		.amdhsa_user_sgpr_count 6
		.amdhsa_user_sgpr_private_segment_buffer 1
		.amdhsa_user_sgpr_dispatch_ptr 0
		.amdhsa_user_sgpr_queue_ptr 0
		.amdhsa_user_sgpr_kernarg_segment_ptr 1
		.amdhsa_user_sgpr_dispatch_id 0
		.amdhsa_user_sgpr_flat_scratch_init 0
		.amdhsa_user_sgpr_private_segment_size 0
		.amdhsa_uses_dynamic_stack 0
		.amdhsa_system_sgpr_private_segment_wavefront_offset 0
		.amdhsa_system_sgpr_workgroup_id_x 1
		.amdhsa_system_sgpr_workgroup_id_y 0
		.amdhsa_system_sgpr_workgroup_id_z 0
		.amdhsa_system_sgpr_workgroup_info 0
		.amdhsa_system_vgpr_workitem_id 0
		.amdhsa_next_free_vgpr 8
		.amdhsa_next_free_sgpr 8
		.amdhsa_reserve_vcc 1
		.amdhsa_reserve_flat_scratch 0
		.amdhsa_float_round_mode_32 0
		.amdhsa_float_round_mode_16_64 0
		.amdhsa_float_denorm_mode_32 3
		.amdhsa_float_denorm_mode_16_64 3
		.amdhsa_dx10_clamp 1
		.amdhsa_ieee_mode 1
		.amdhsa_fp16_overflow 0
		.amdhsa_exception_fp_ieee_invalid_op 0
		.amdhsa_exception_fp_denorm_src 0
		.amdhsa_exception_fp_ieee_div_zero 0
		.amdhsa_exception_fp_ieee_overflow 0
		.amdhsa_exception_fp_ieee_underflow 0
		.amdhsa_exception_fp_ieee_inexact 0
		.amdhsa_exception_int_div_zero 0
	.end_amdhsa_kernel
	.section	.text._Z26warp_inclusive_scan_kernelIN10test_utils16custom_test_typeIiEELj64ELj16EENSt9enable_ifIXsr10test_utilsE35device_test_enabled_for_warp_size_vIXT1_EEEvE4typeEPT_S7_,"axG",@progbits,_Z26warp_inclusive_scan_kernelIN10test_utils16custom_test_typeIiEELj64ELj16EENSt9enable_ifIXsr10test_utilsE35device_test_enabled_for_warp_size_vIXT1_EEEvE4typeEPT_S7_,comdat
.Lfunc_end329:
	.size	_Z26warp_inclusive_scan_kernelIN10test_utils16custom_test_typeIiEELj64ELj16EENSt9enable_ifIXsr10test_utilsE35device_test_enabled_for_warp_size_vIXT1_EEEvE4typeEPT_S7_, .Lfunc_end329-_Z26warp_inclusive_scan_kernelIN10test_utils16custom_test_typeIiEELj64ELj16EENSt9enable_ifIXsr10test_utilsE35device_test_enabled_for_warp_size_vIXT1_EEEvE4typeEPT_S7_
                                        ; -- End function
	.set _Z26warp_inclusive_scan_kernelIN10test_utils16custom_test_typeIiEELj64ELj16EENSt9enable_ifIXsr10test_utilsE35device_test_enabled_for_warp_size_vIXT1_EEEvE4typeEPT_S7_.num_vgpr, 8
	.set _Z26warp_inclusive_scan_kernelIN10test_utils16custom_test_typeIiEELj64ELj16EENSt9enable_ifIXsr10test_utilsE35device_test_enabled_for_warp_size_vIXT1_EEEvE4typeEPT_S7_.num_agpr, 0
	.set _Z26warp_inclusive_scan_kernelIN10test_utils16custom_test_typeIiEELj64ELj16EENSt9enable_ifIXsr10test_utilsE35device_test_enabled_for_warp_size_vIXT1_EEEvE4typeEPT_S7_.numbered_sgpr, 8
	.set _Z26warp_inclusive_scan_kernelIN10test_utils16custom_test_typeIiEELj64ELj16EENSt9enable_ifIXsr10test_utilsE35device_test_enabled_for_warp_size_vIXT1_EEEvE4typeEPT_S7_.num_named_barrier, 0
	.set _Z26warp_inclusive_scan_kernelIN10test_utils16custom_test_typeIiEELj64ELj16EENSt9enable_ifIXsr10test_utilsE35device_test_enabled_for_warp_size_vIXT1_EEEvE4typeEPT_S7_.private_seg_size, 0
	.set _Z26warp_inclusive_scan_kernelIN10test_utils16custom_test_typeIiEELj64ELj16EENSt9enable_ifIXsr10test_utilsE35device_test_enabled_for_warp_size_vIXT1_EEEvE4typeEPT_S7_.uses_vcc, 1
	.set _Z26warp_inclusive_scan_kernelIN10test_utils16custom_test_typeIiEELj64ELj16EENSt9enable_ifIXsr10test_utilsE35device_test_enabled_for_warp_size_vIXT1_EEEvE4typeEPT_S7_.uses_flat_scratch, 0
	.set _Z26warp_inclusive_scan_kernelIN10test_utils16custom_test_typeIiEELj64ELj16EENSt9enable_ifIXsr10test_utilsE35device_test_enabled_for_warp_size_vIXT1_EEEvE4typeEPT_S7_.has_dyn_sized_stack, 0
	.set _Z26warp_inclusive_scan_kernelIN10test_utils16custom_test_typeIiEELj64ELj16EENSt9enable_ifIXsr10test_utilsE35device_test_enabled_for_warp_size_vIXT1_EEEvE4typeEPT_S7_.has_recursion, 0
	.set _Z26warp_inclusive_scan_kernelIN10test_utils16custom_test_typeIiEELj64ELj16EENSt9enable_ifIXsr10test_utilsE35device_test_enabled_for_warp_size_vIXT1_EEEvE4typeEPT_S7_.has_indirect_call, 0
	.section	.AMDGPU.csdata,"",@progbits
; Kernel info:
; codeLenInByte = 268
; TotalNumSgprs: 12
; NumVgprs: 8
; ScratchSize: 0
; MemoryBound: 0
; FloatMode: 240
; IeeeMode: 1
; LDSByteSize: 0 bytes/workgroup (compile time only)
; SGPRBlocks: 1
; VGPRBlocks: 1
; NumSGPRsForWavesPerEU: 12
; NumVGPRsForWavesPerEU: 8
; Occupancy: 10
; WaveLimiterHint : 0
; COMPUTE_PGM_RSRC2:SCRATCH_EN: 0
; COMPUTE_PGM_RSRC2:USER_SGPR: 6
; COMPUTE_PGM_RSRC2:TRAP_HANDLER: 0
; COMPUTE_PGM_RSRC2:TGID_X_EN: 1
; COMPUTE_PGM_RSRC2:TGID_Y_EN: 0
; COMPUTE_PGM_RSRC2:TGID_Z_EN: 0
; COMPUTE_PGM_RSRC2:TIDIG_COMP_CNT: 0
	.section	.text._Z26warp_inclusive_scan_kernelIN10test_utils16custom_test_typeIiEELj32ELj8EENSt9enable_ifIXsr10test_utilsE35device_test_enabled_for_warp_size_vIXT1_EEEvE4typeEPT_S7_,"axG",@progbits,_Z26warp_inclusive_scan_kernelIN10test_utils16custom_test_typeIiEELj32ELj8EENSt9enable_ifIXsr10test_utilsE35device_test_enabled_for_warp_size_vIXT1_EEEvE4typeEPT_S7_,comdat
	.protected	_Z26warp_inclusive_scan_kernelIN10test_utils16custom_test_typeIiEELj32ELj8EENSt9enable_ifIXsr10test_utilsE35device_test_enabled_for_warp_size_vIXT1_EEEvE4typeEPT_S7_ ; -- Begin function _Z26warp_inclusive_scan_kernelIN10test_utils16custom_test_typeIiEELj32ELj8EENSt9enable_ifIXsr10test_utilsE35device_test_enabled_for_warp_size_vIXT1_EEEvE4typeEPT_S7_
	.globl	_Z26warp_inclusive_scan_kernelIN10test_utils16custom_test_typeIiEELj32ELj8EENSt9enable_ifIXsr10test_utilsE35device_test_enabled_for_warp_size_vIXT1_EEEvE4typeEPT_S7_
	.p2align	8
	.type	_Z26warp_inclusive_scan_kernelIN10test_utils16custom_test_typeIiEELj32ELj8EENSt9enable_ifIXsr10test_utilsE35device_test_enabled_for_warp_size_vIXT1_EEEvE4typeEPT_S7_,@function
_Z26warp_inclusive_scan_kernelIN10test_utils16custom_test_typeIiEELj32ELj8EENSt9enable_ifIXsr10test_utilsE35device_test_enabled_for_warp_size_vIXT1_EEEvE4typeEPT_S7_: ; @_Z26warp_inclusive_scan_kernelIN10test_utils16custom_test_typeIiEELj32ELj8EENSt9enable_ifIXsr10test_utilsE35device_test_enabled_for_warp_size_vIXT1_EEEvE4typeEPT_S7_
; %bb.0:
	s_load_dword s7, s[4:5], 0x1c
	s_load_dwordx4 s[0:3], s[4:5], 0x0
	v_mov_b32_e32 v1, 0
	v_mbcnt_lo_u32_b32 v4, -1, 0
	v_mbcnt_hi_u32_b32 v4, -1, v4
	s_waitcnt lgkmcnt(0)
	s_and_b32 s4, s7, 0xffff
	s_mul_i32 s6, s6, s4
	v_add_u32_e32 v0, s6, v0
	v_lshlrev_b64 v[0:1], 3, v[0:1]
	v_mov_b32_e32 v3, s1
	v_add_co_u32_e32 v2, vcc, s0, v0
	v_addc_co_u32_e32 v3, vcc, v3, v1, vcc
	global_load_dwordx2 v[2:3], v[2:3], off
	v_and_b32_e32 v4, 7, v4
	v_cmp_eq_u32_e32 vcc, 0, v4
	v_mov_b32_e32 v5, s3
	s_waitcnt vmcnt(0)
	v_mov_b32_dpp v6, v2 row_shr:1 row_mask:0xf bank_mask:0xf
	v_mov_b32_dpp v7, v3 row_shr:1 row_mask:0xf bank_mask:0xf
	v_cndmask_b32_e64 v6, v6, 0, vcc
	v_cndmask_b32_e64 v7, v7, 0, vcc
	v_add_u32_e32 v2, v6, v2
	v_add_u32_e32 v3, v7, v3
	v_cmp_lt_u32_e32 vcc, 1, v4
	v_mov_b32_dpp v6, v2 row_shr:2 row_mask:0xf bank_mask:0xf
	v_mov_b32_dpp v7, v3 row_shr:2 row_mask:0xf bank_mask:0xf
	v_cndmask_b32_e32 v7, 0, v7, vcc
	v_cndmask_b32_e32 v6, 0, v6, vcc
	v_add_u32_e32 v3, v3, v7
	v_add_u32_e32 v2, v2, v6
	v_cmp_lt_u32_e32 vcc, 3, v4
	v_mov_b32_dpp v7, v3 row_shr:4 row_mask:0xf bank_mask:0xf
	v_mov_b32_dpp v6, v2 row_shr:4 row_mask:0xf bank_mask:0xf
	v_cndmask_b32_e32 v4, 0, v6, vcc
	v_cndmask_b32_e32 v6, 0, v7, vcc
	v_add_co_u32_e32 v0, vcc, s2, v0
	v_add_u32_e32 v2, v4, v2
	v_add_u32_e32 v3, v6, v3
	v_addc_co_u32_e32 v1, vcc, v5, v1, vcc
	global_store_dwordx2 v[0:1], v[2:3], off
	s_endpgm
	.section	.rodata,"a",@progbits
	.p2align	6, 0x0
	.amdhsa_kernel _Z26warp_inclusive_scan_kernelIN10test_utils16custom_test_typeIiEELj32ELj8EENSt9enable_ifIXsr10test_utilsE35device_test_enabled_for_warp_size_vIXT1_EEEvE4typeEPT_S7_
		.amdhsa_group_segment_fixed_size 0
		.amdhsa_private_segment_fixed_size 0
		.amdhsa_kernarg_size 272
		.amdhsa_user_sgpr_count 6
		.amdhsa_user_sgpr_private_segment_buffer 1
		.amdhsa_user_sgpr_dispatch_ptr 0
		.amdhsa_user_sgpr_queue_ptr 0
		.amdhsa_user_sgpr_kernarg_segment_ptr 1
		.amdhsa_user_sgpr_dispatch_id 0
		.amdhsa_user_sgpr_flat_scratch_init 0
		.amdhsa_user_sgpr_private_segment_size 0
		.amdhsa_uses_dynamic_stack 0
		.amdhsa_system_sgpr_private_segment_wavefront_offset 0
		.amdhsa_system_sgpr_workgroup_id_x 1
		.amdhsa_system_sgpr_workgroup_id_y 0
		.amdhsa_system_sgpr_workgroup_id_z 0
		.amdhsa_system_sgpr_workgroup_info 0
		.amdhsa_system_vgpr_workitem_id 0
		.amdhsa_next_free_vgpr 8
		.amdhsa_next_free_sgpr 8
		.amdhsa_reserve_vcc 1
		.amdhsa_reserve_flat_scratch 0
		.amdhsa_float_round_mode_32 0
		.amdhsa_float_round_mode_16_64 0
		.amdhsa_float_denorm_mode_32 3
		.amdhsa_float_denorm_mode_16_64 3
		.amdhsa_dx10_clamp 1
		.amdhsa_ieee_mode 1
		.amdhsa_fp16_overflow 0
		.amdhsa_exception_fp_ieee_invalid_op 0
		.amdhsa_exception_fp_denorm_src 0
		.amdhsa_exception_fp_ieee_div_zero 0
		.amdhsa_exception_fp_ieee_overflow 0
		.amdhsa_exception_fp_ieee_underflow 0
		.amdhsa_exception_fp_ieee_inexact 0
		.amdhsa_exception_int_div_zero 0
	.end_amdhsa_kernel
	.section	.text._Z26warp_inclusive_scan_kernelIN10test_utils16custom_test_typeIiEELj32ELj8EENSt9enable_ifIXsr10test_utilsE35device_test_enabled_for_warp_size_vIXT1_EEEvE4typeEPT_S7_,"axG",@progbits,_Z26warp_inclusive_scan_kernelIN10test_utils16custom_test_typeIiEELj32ELj8EENSt9enable_ifIXsr10test_utilsE35device_test_enabled_for_warp_size_vIXT1_EEEvE4typeEPT_S7_,comdat
.Lfunc_end330:
	.size	_Z26warp_inclusive_scan_kernelIN10test_utils16custom_test_typeIiEELj32ELj8EENSt9enable_ifIXsr10test_utilsE35device_test_enabled_for_warp_size_vIXT1_EEEvE4typeEPT_S7_, .Lfunc_end330-_Z26warp_inclusive_scan_kernelIN10test_utils16custom_test_typeIiEELj32ELj8EENSt9enable_ifIXsr10test_utilsE35device_test_enabled_for_warp_size_vIXT1_EEEvE4typeEPT_S7_
                                        ; -- End function
	.set _Z26warp_inclusive_scan_kernelIN10test_utils16custom_test_typeIiEELj32ELj8EENSt9enable_ifIXsr10test_utilsE35device_test_enabled_for_warp_size_vIXT1_EEEvE4typeEPT_S7_.num_vgpr, 8
	.set _Z26warp_inclusive_scan_kernelIN10test_utils16custom_test_typeIiEELj32ELj8EENSt9enable_ifIXsr10test_utilsE35device_test_enabled_for_warp_size_vIXT1_EEEvE4typeEPT_S7_.num_agpr, 0
	.set _Z26warp_inclusive_scan_kernelIN10test_utils16custom_test_typeIiEELj32ELj8EENSt9enable_ifIXsr10test_utilsE35device_test_enabled_for_warp_size_vIXT1_EEEvE4typeEPT_S7_.numbered_sgpr, 8
	.set _Z26warp_inclusive_scan_kernelIN10test_utils16custom_test_typeIiEELj32ELj8EENSt9enable_ifIXsr10test_utilsE35device_test_enabled_for_warp_size_vIXT1_EEEvE4typeEPT_S7_.num_named_barrier, 0
	.set _Z26warp_inclusive_scan_kernelIN10test_utils16custom_test_typeIiEELj32ELj8EENSt9enable_ifIXsr10test_utilsE35device_test_enabled_for_warp_size_vIXT1_EEEvE4typeEPT_S7_.private_seg_size, 0
	.set _Z26warp_inclusive_scan_kernelIN10test_utils16custom_test_typeIiEELj32ELj8EENSt9enable_ifIXsr10test_utilsE35device_test_enabled_for_warp_size_vIXT1_EEEvE4typeEPT_S7_.uses_vcc, 1
	.set _Z26warp_inclusive_scan_kernelIN10test_utils16custom_test_typeIiEELj32ELj8EENSt9enable_ifIXsr10test_utilsE35device_test_enabled_for_warp_size_vIXT1_EEEvE4typeEPT_S7_.uses_flat_scratch, 0
	.set _Z26warp_inclusive_scan_kernelIN10test_utils16custom_test_typeIiEELj32ELj8EENSt9enable_ifIXsr10test_utilsE35device_test_enabled_for_warp_size_vIXT1_EEEvE4typeEPT_S7_.has_dyn_sized_stack, 0
	.set _Z26warp_inclusive_scan_kernelIN10test_utils16custom_test_typeIiEELj32ELj8EENSt9enable_ifIXsr10test_utilsE35device_test_enabled_for_warp_size_vIXT1_EEEvE4typeEPT_S7_.has_recursion, 0
	.set _Z26warp_inclusive_scan_kernelIN10test_utils16custom_test_typeIiEELj32ELj8EENSt9enable_ifIXsr10test_utilsE35device_test_enabled_for_warp_size_vIXT1_EEEvE4typeEPT_S7_.has_indirect_call, 0
	.section	.AMDGPU.csdata,"",@progbits
; Kernel info:
; codeLenInByte = 232
; TotalNumSgprs: 12
; NumVgprs: 8
; ScratchSize: 0
; MemoryBound: 0
; FloatMode: 240
; IeeeMode: 1
; LDSByteSize: 0 bytes/workgroup (compile time only)
; SGPRBlocks: 1
; VGPRBlocks: 1
; NumSGPRsForWavesPerEU: 12
; NumVGPRsForWavesPerEU: 8
; Occupancy: 10
; WaveLimiterHint : 0
; COMPUTE_PGM_RSRC2:SCRATCH_EN: 0
; COMPUTE_PGM_RSRC2:USER_SGPR: 6
; COMPUTE_PGM_RSRC2:TRAP_HANDLER: 0
; COMPUTE_PGM_RSRC2:TGID_X_EN: 1
; COMPUTE_PGM_RSRC2:TGID_Y_EN: 0
; COMPUTE_PGM_RSRC2:TGID_Z_EN: 0
; COMPUTE_PGM_RSRC2:TIDIG_COMP_CNT: 0
	.section	.text._Z26warp_inclusive_scan_kernelIN10test_utils16custom_test_typeIiEELj64ELj8EENSt9enable_ifIXsr10test_utilsE35device_test_enabled_for_warp_size_vIXT1_EEEvE4typeEPT_S7_,"axG",@progbits,_Z26warp_inclusive_scan_kernelIN10test_utils16custom_test_typeIiEELj64ELj8EENSt9enable_ifIXsr10test_utilsE35device_test_enabled_for_warp_size_vIXT1_EEEvE4typeEPT_S7_,comdat
	.protected	_Z26warp_inclusive_scan_kernelIN10test_utils16custom_test_typeIiEELj64ELj8EENSt9enable_ifIXsr10test_utilsE35device_test_enabled_for_warp_size_vIXT1_EEEvE4typeEPT_S7_ ; -- Begin function _Z26warp_inclusive_scan_kernelIN10test_utils16custom_test_typeIiEELj64ELj8EENSt9enable_ifIXsr10test_utilsE35device_test_enabled_for_warp_size_vIXT1_EEEvE4typeEPT_S7_
	.globl	_Z26warp_inclusive_scan_kernelIN10test_utils16custom_test_typeIiEELj64ELj8EENSt9enable_ifIXsr10test_utilsE35device_test_enabled_for_warp_size_vIXT1_EEEvE4typeEPT_S7_
	.p2align	8
	.type	_Z26warp_inclusive_scan_kernelIN10test_utils16custom_test_typeIiEELj64ELj8EENSt9enable_ifIXsr10test_utilsE35device_test_enabled_for_warp_size_vIXT1_EEEvE4typeEPT_S7_,@function
_Z26warp_inclusive_scan_kernelIN10test_utils16custom_test_typeIiEELj64ELj8EENSt9enable_ifIXsr10test_utilsE35device_test_enabled_for_warp_size_vIXT1_EEEvE4typeEPT_S7_: ; @_Z26warp_inclusive_scan_kernelIN10test_utils16custom_test_typeIiEELj64ELj8EENSt9enable_ifIXsr10test_utilsE35device_test_enabled_for_warp_size_vIXT1_EEEvE4typeEPT_S7_
; %bb.0:
	s_load_dword s7, s[4:5], 0x1c
	s_load_dwordx4 s[0:3], s[4:5], 0x0
	v_mov_b32_e32 v1, 0
	v_mbcnt_lo_u32_b32 v4, -1, 0
	v_mbcnt_hi_u32_b32 v4, -1, v4
	s_waitcnt lgkmcnt(0)
	s_and_b32 s4, s7, 0xffff
	s_mul_i32 s6, s6, s4
	v_add_u32_e32 v0, s6, v0
	v_lshlrev_b64 v[0:1], 3, v[0:1]
	v_mov_b32_e32 v3, s1
	v_add_co_u32_e32 v2, vcc, s0, v0
	v_addc_co_u32_e32 v3, vcc, v3, v1, vcc
	global_load_dwordx2 v[2:3], v[2:3], off
	v_and_b32_e32 v4, 7, v4
	v_cmp_eq_u32_e32 vcc, 0, v4
	v_mov_b32_e32 v5, s3
	s_waitcnt vmcnt(0)
	v_mov_b32_dpp v6, v2 row_shr:1 row_mask:0xf bank_mask:0xf
	v_mov_b32_dpp v7, v3 row_shr:1 row_mask:0xf bank_mask:0xf
	v_cndmask_b32_e64 v6, v6, 0, vcc
	v_cndmask_b32_e64 v7, v7, 0, vcc
	v_add_u32_e32 v2, v6, v2
	v_add_u32_e32 v3, v7, v3
	v_cmp_lt_u32_e32 vcc, 1, v4
	v_mov_b32_dpp v6, v2 row_shr:2 row_mask:0xf bank_mask:0xf
	v_mov_b32_dpp v7, v3 row_shr:2 row_mask:0xf bank_mask:0xf
	v_cndmask_b32_e32 v7, 0, v7, vcc
	v_cndmask_b32_e32 v6, 0, v6, vcc
	v_add_u32_e32 v3, v3, v7
	v_add_u32_e32 v2, v2, v6
	v_cmp_lt_u32_e32 vcc, 3, v4
	v_mov_b32_dpp v7, v3 row_shr:4 row_mask:0xf bank_mask:0xf
	v_mov_b32_dpp v6, v2 row_shr:4 row_mask:0xf bank_mask:0xf
	v_cndmask_b32_e32 v4, 0, v6, vcc
	v_cndmask_b32_e32 v6, 0, v7, vcc
	v_add_co_u32_e32 v0, vcc, s2, v0
	v_add_u32_e32 v2, v4, v2
	v_add_u32_e32 v3, v6, v3
	v_addc_co_u32_e32 v1, vcc, v5, v1, vcc
	global_store_dwordx2 v[0:1], v[2:3], off
	s_endpgm
	.section	.rodata,"a",@progbits
	.p2align	6, 0x0
	.amdhsa_kernel _Z26warp_inclusive_scan_kernelIN10test_utils16custom_test_typeIiEELj64ELj8EENSt9enable_ifIXsr10test_utilsE35device_test_enabled_for_warp_size_vIXT1_EEEvE4typeEPT_S7_
		.amdhsa_group_segment_fixed_size 0
		.amdhsa_private_segment_fixed_size 0
		.amdhsa_kernarg_size 272
		.amdhsa_user_sgpr_count 6
		.amdhsa_user_sgpr_private_segment_buffer 1
		.amdhsa_user_sgpr_dispatch_ptr 0
		.amdhsa_user_sgpr_queue_ptr 0
		.amdhsa_user_sgpr_kernarg_segment_ptr 1
		.amdhsa_user_sgpr_dispatch_id 0
		.amdhsa_user_sgpr_flat_scratch_init 0
		.amdhsa_user_sgpr_private_segment_size 0
		.amdhsa_uses_dynamic_stack 0
		.amdhsa_system_sgpr_private_segment_wavefront_offset 0
		.amdhsa_system_sgpr_workgroup_id_x 1
		.amdhsa_system_sgpr_workgroup_id_y 0
		.amdhsa_system_sgpr_workgroup_id_z 0
		.amdhsa_system_sgpr_workgroup_info 0
		.amdhsa_system_vgpr_workitem_id 0
		.amdhsa_next_free_vgpr 8
		.amdhsa_next_free_sgpr 8
		.amdhsa_reserve_vcc 1
		.amdhsa_reserve_flat_scratch 0
		.amdhsa_float_round_mode_32 0
		.amdhsa_float_round_mode_16_64 0
		.amdhsa_float_denorm_mode_32 3
		.amdhsa_float_denorm_mode_16_64 3
		.amdhsa_dx10_clamp 1
		.amdhsa_ieee_mode 1
		.amdhsa_fp16_overflow 0
		.amdhsa_exception_fp_ieee_invalid_op 0
		.amdhsa_exception_fp_denorm_src 0
		.amdhsa_exception_fp_ieee_div_zero 0
		.amdhsa_exception_fp_ieee_overflow 0
		.amdhsa_exception_fp_ieee_underflow 0
		.amdhsa_exception_fp_ieee_inexact 0
		.amdhsa_exception_int_div_zero 0
	.end_amdhsa_kernel
	.section	.text._Z26warp_inclusive_scan_kernelIN10test_utils16custom_test_typeIiEELj64ELj8EENSt9enable_ifIXsr10test_utilsE35device_test_enabled_for_warp_size_vIXT1_EEEvE4typeEPT_S7_,"axG",@progbits,_Z26warp_inclusive_scan_kernelIN10test_utils16custom_test_typeIiEELj64ELj8EENSt9enable_ifIXsr10test_utilsE35device_test_enabled_for_warp_size_vIXT1_EEEvE4typeEPT_S7_,comdat
.Lfunc_end331:
	.size	_Z26warp_inclusive_scan_kernelIN10test_utils16custom_test_typeIiEELj64ELj8EENSt9enable_ifIXsr10test_utilsE35device_test_enabled_for_warp_size_vIXT1_EEEvE4typeEPT_S7_, .Lfunc_end331-_Z26warp_inclusive_scan_kernelIN10test_utils16custom_test_typeIiEELj64ELj8EENSt9enable_ifIXsr10test_utilsE35device_test_enabled_for_warp_size_vIXT1_EEEvE4typeEPT_S7_
                                        ; -- End function
	.set _Z26warp_inclusive_scan_kernelIN10test_utils16custom_test_typeIiEELj64ELj8EENSt9enable_ifIXsr10test_utilsE35device_test_enabled_for_warp_size_vIXT1_EEEvE4typeEPT_S7_.num_vgpr, 8
	.set _Z26warp_inclusive_scan_kernelIN10test_utils16custom_test_typeIiEELj64ELj8EENSt9enable_ifIXsr10test_utilsE35device_test_enabled_for_warp_size_vIXT1_EEEvE4typeEPT_S7_.num_agpr, 0
	.set _Z26warp_inclusive_scan_kernelIN10test_utils16custom_test_typeIiEELj64ELj8EENSt9enable_ifIXsr10test_utilsE35device_test_enabled_for_warp_size_vIXT1_EEEvE4typeEPT_S7_.numbered_sgpr, 8
	.set _Z26warp_inclusive_scan_kernelIN10test_utils16custom_test_typeIiEELj64ELj8EENSt9enable_ifIXsr10test_utilsE35device_test_enabled_for_warp_size_vIXT1_EEEvE4typeEPT_S7_.num_named_barrier, 0
	.set _Z26warp_inclusive_scan_kernelIN10test_utils16custom_test_typeIiEELj64ELj8EENSt9enable_ifIXsr10test_utilsE35device_test_enabled_for_warp_size_vIXT1_EEEvE4typeEPT_S7_.private_seg_size, 0
	.set _Z26warp_inclusive_scan_kernelIN10test_utils16custom_test_typeIiEELj64ELj8EENSt9enable_ifIXsr10test_utilsE35device_test_enabled_for_warp_size_vIXT1_EEEvE4typeEPT_S7_.uses_vcc, 1
	.set _Z26warp_inclusive_scan_kernelIN10test_utils16custom_test_typeIiEELj64ELj8EENSt9enable_ifIXsr10test_utilsE35device_test_enabled_for_warp_size_vIXT1_EEEvE4typeEPT_S7_.uses_flat_scratch, 0
	.set _Z26warp_inclusive_scan_kernelIN10test_utils16custom_test_typeIiEELj64ELj8EENSt9enable_ifIXsr10test_utilsE35device_test_enabled_for_warp_size_vIXT1_EEEvE4typeEPT_S7_.has_dyn_sized_stack, 0
	.set _Z26warp_inclusive_scan_kernelIN10test_utils16custom_test_typeIiEELj64ELj8EENSt9enable_ifIXsr10test_utilsE35device_test_enabled_for_warp_size_vIXT1_EEEvE4typeEPT_S7_.has_recursion, 0
	.set _Z26warp_inclusive_scan_kernelIN10test_utils16custom_test_typeIiEELj64ELj8EENSt9enable_ifIXsr10test_utilsE35device_test_enabled_for_warp_size_vIXT1_EEEvE4typeEPT_S7_.has_indirect_call, 0
	.section	.AMDGPU.csdata,"",@progbits
; Kernel info:
; codeLenInByte = 232
; TotalNumSgprs: 12
; NumVgprs: 8
; ScratchSize: 0
; MemoryBound: 0
; FloatMode: 240
; IeeeMode: 1
; LDSByteSize: 0 bytes/workgroup (compile time only)
; SGPRBlocks: 1
; VGPRBlocks: 1
; NumSGPRsForWavesPerEU: 12
; NumVGPRsForWavesPerEU: 8
; Occupancy: 10
; WaveLimiterHint : 0
; COMPUTE_PGM_RSRC2:SCRATCH_EN: 0
; COMPUTE_PGM_RSRC2:USER_SGPR: 6
; COMPUTE_PGM_RSRC2:TRAP_HANDLER: 0
; COMPUTE_PGM_RSRC2:TGID_X_EN: 1
; COMPUTE_PGM_RSRC2:TGID_Y_EN: 0
; COMPUTE_PGM_RSRC2:TGID_Z_EN: 0
; COMPUTE_PGM_RSRC2:TIDIG_COMP_CNT: 0
	.section	.text._Z26warp_inclusive_scan_kernelIN10test_utils16custom_test_typeIiEELj32ELj4EENSt9enable_ifIXsr10test_utilsE35device_test_enabled_for_warp_size_vIXT1_EEEvE4typeEPT_S7_,"axG",@progbits,_Z26warp_inclusive_scan_kernelIN10test_utils16custom_test_typeIiEELj32ELj4EENSt9enable_ifIXsr10test_utilsE35device_test_enabled_for_warp_size_vIXT1_EEEvE4typeEPT_S7_,comdat
	.protected	_Z26warp_inclusive_scan_kernelIN10test_utils16custom_test_typeIiEELj32ELj4EENSt9enable_ifIXsr10test_utilsE35device_test_enabled_for_warp_size_vIXT1_EEEvE4typeEPT_S7_ ; -- Begin function _Z26warp_inclusive_scan_kernelIN10test_utils16custom_test_typeIiEELj32ELj4EENSt9enable_ifIXsr10test_utilsE35device_test_enabled_for_warp_size_vIXT1_EEEvE4typeEPT_S7_
	.globl	_Z26warp_inclusive_scan_kernelIN10test_utils16custom_test_typeIiEELj32ELj4EENSt9enable_ifIXsr10test_utilsE35device_test_enabled_for_warp_size_vIXT1_EEEvE4typeEPT_S7_
	.p2align	8
	.type	_Z26warp_inclusive_scan_kernelIN10test_utils16custom_test_typeIiEELj32ELj4EENSt9enable_ifIXsr10test_utilsE35device_test_enabled_for_warp_size_vIXT1_EEEvE4typeEPT_S7_,@function
_Z26warp_inclusive_scan_kernelIN10test_utils16custom_test_typeIiEELj32ELj4EENSt9enable_ifIXsr10test_utilsE35device_test_enabled_for_warp_size_vIXT1_EEEvE4typeEPT_S7_: ; @_Z26warp_inclusive_scan_kernelIN10test_utils16custom_test_typeIiEELj32ELj4EENSt9enable_ifIXsr10test_utilsE35device_test_enabled_for_warp_size_vIXT1_EEEvE4typeEPT_S7_
; %bb.0:
	s_load_dword s7, s[4:5], 0x1c
	s_load_dwordx4 s[0:3], s[4:5], 0x0
	v_mov_b32_e32 v1, 0
	v_mbcnt_lo_u32_b32 v4, -1, 0
	v_mbcnt_hi_u32_b32 v4, -1, v4
	s_waitcnt lgkmcnt(0)
	s_and_b32 s4, s7, 0xffff
	s_mul_i32 s6, s6, s4
	v_add_u32_e32 v0, s6, v0
	v_lshlrev_b64 v[0:1], 3, v[0:1]
	v_mov_b32_e32 v3, s1
	v_add_co_u32_e32 v2, vcc, s0, v0
	v_addc_co_u32_e32 v3, vcc, v3, v1, vcc
	global_load_dwordx2 v[2:3], v[2:3], off
	v_and_b32_e32 v4, 3, v4
	v_cmp_eq_u32_e32 vcc, 0, v4
	v_mov_b32_e32 v5, s3
	s_waitcnt vmcnt(0)
	v_mov_b32_dpp v6, v2 row_shr:1 row_mask:0xf bank_mask:0xf
	v_mov_b32_dpp v7, v3 row_shr:1 row_mask:0xf bank_mask:0xf
	v_cndmask_b32_e64 v6, v6, 0, vcc
	v_cndmask_b32_e64 v7, v7, 0, vcc
	v_add_u32_e32 v2, v6, v2
	v_add_u32_e32 v3, v7, v3
	v_cmp_lt_u32_e32 vcc, 1, v4
	v_mov_b32_dpp v6, v2 row_shr:2 row_mask:0xf bank_mask:0xf
	v_mov_b32_dpp v7, v3 row_shr:2 row_mask:0xf bank_mask:0xf
	v_cndmask_b32_e32 v4, 0, v6, vcc
	v_cndmask_b32_e32 v6, 0, v7, vcc
	v_add_co_u32_e32 v0, vcc, s2, v0
	v_add_u32_e32 v2, v4, v2
	v_add_u32_e32 v3, v6, v3
	v_addc_co_u32_e32 v1, vcc, v5, v1, vcc
	global_store_dwordx2 v[0:1], v[2:3], off
	s_endpgm
	.section	.rodata,"a",@progbits
	.p2align	6, 0x0
	.amdhsa_kernel _Z26warp_inclusive_scan_kernelIN10test_utils16custom_test_typeIiEELj32ELj4EENSt9enable_ifIXsr10test_utilsE35device_test_enabled_for_warp_size_vIXT1_EEEvE4typeEPT_S7_
		.amdhsa_group_segment_fixed_size 0
		.amdhsa_private_segment_fixed_size 0
		.amdhsa_kernarg_size 272
		.amdhsa_user_sgpr_count 6
		.amdhsa_user_sgpr_private_segment_buffer 1
		.amdhsa_user_sgpr_dispatch_ptr 0
		.amdhsa_user_sgpr_queue_ptr 0
		.amdhsa_user_sgpr_kernarg_segment_ptr 1
		.amdhsa_user_sgpr_dispatch_id 0
		.amdhsa_user_sgpr_flat_scratch_init 0
		.amdhsa_user_sgpr_private_segment_size 0
		.amdhsa_uses_dynamic_stack 0
		.amdhsa_system_sgpr_private_segment_wavefront_offset 0
		.amdhsa_system_sgpr_workgroup_id_x 1
		.amdhsa_system_sgpr_workgroup_id_y 0
		.amdhsa_system_sgpr_workgroup_id_z 0
		.amdhsa_system_sgpr_workgroup_info 0
		.amdhsa_system_vgpr_workitem_id 0
		.amdhsa_next_free_vgpr 8
		.amdhsa_next_free_sgpr 8
		.amdhsa_reserve_vcc 1
		.amdhsa_reserve_flat_scratch 0
		.amdhsa_float_round_mode_32 0
		.amdhsa_float_round_mode_16_64 0
		.amdhsa_float_denorm_mode_32 3
		.amdhsa_float_denorm_mode_16_64 3
		.amdhsa_dx10_clamp 1
		.amdhsa_ieee_mode 1
		.amdhsa_fp16_overflow 0
		.amdhsa_exception_fp_ieee_invalid_op 0
		.amdhsa_exception_fp_denorm_src 0
		.amdhsa_exception_fp_ieee_div_zero 0
		.amdhsa_exception_fp_ieee_overflow 0
		.amdhsa_exception_fp_ieee_underflow 0
		.amdhsa_exception_fp_ieee_inexact 0
		.amdhsa_exception_int_div_zero 0
	.end_amdhsa_kernel
	.section	.text._Z26warp_inclusive_scan_kernelIN10test_utils16custom_test_typeIiEELj32ELj4EENSt9enable_ifIXsr10test_utilsE35device_test_enabled_for_warp_size_vIXT1_EEEvE4typeEPT_S7_,"axG",@progbits,_Z26warp_inclusive_scan_kernelIN10test_utils16custom_test_typeIiEELj32ELj4EENSt9enable_ifIXsr10test_utilsE35device_test_enabled_for_warp_size_vIXT1_EEEvE4typeEPT_S7_,comdat
.Lfunc_end332:
	.size	_Z26warp_inclusive_scan_kernelIN10test_utils16custom_test_typeIiEELj32ELj4EENSt9enable_ifIXsr10test_utilsE35device_test_enabled_for_warp_size_vIXT1_EEEvE4typeEPT_S7_, .Lfunc_end332-_Z26warp_inclusive_scan_kernelIN10test_utils16custom_test_typeIiEELj32ELj4EENSt9enable_ifIXsr10test_utilsE35device_test_enabled_for_warp_size_vIXT1_EEEvE4typeEPT_S7_
                                        ; -- End function
	.set _Z26warp_inclusive_scan_kernelIN10test_utils16custom_test_typeIiEELj32ELj4EENSt9enable_ifIXsr10test_utilsE35device_test_enabled_for_warp_size_vIXT1_EEEvE4typeEPT_S7_.num_vgpr, 8
	.set _Z26warp_inclusive_scan_kernelIN10test_utils16custom_test_typeIiEELj32ELj4EENSt9enable_ifIXsr10test_utilsE35device_test_enabled_for_warp_size_vIXT1_EEEvE4typeEPT_S7_.num_agpr, 0
	.set _Z26warp_inclusive_scan_kernelIN10test_utils16custom_test_typeIiEELj32ELj4EENSt9enable_ifIXsr10test_utilsE35device_test_enabled_for_warp_size_vIXT1_EEEvE4typeEPT_S7_.numbered_sgpr, 8
	.set _Z26warp_inclusive_scan_kernelIN10test_utils16custom_test_typeIiEELj32ELj4EENSt9enable_ifIXsr10test_utilsE35device_test_enabled_for_warp_size_vIXT1_EEEvE4typeEPT_S7_.num_named_barrier, 0
	.set _Z26warp_inclusive_scan_kernelIN10test_utils16custom_test_typeIiEELj32ELj4EENSt9enable_ifIXsr10test_utilsE35device_test_enabled_for_warp_size_vIXT1_EEEvE4typeEPT_S7_.private_seg_size, 0
	.set _Z26warp_inclusive_scan_kernelIN10test_utils16custom_test_typeIiEELj32ELj4EENSt9enable_ifIXsr10test_utilsE35device_test_enabled_for_warp_size_vIXT1_EEEvE4typeEPT_S7_.uses_vcc, 1
	.set _Z26warp_inclusive_scan_kernelIN10test_utils16custom_test_typeIiEELj32ELj4EENSt9enable_ifIXsr10test_utilsE35device_test_enabled_for_warp_size_vIXT1_EEEvE4typeEPT_S7_.uses_flat_scratch, 0
	.set _Z26warp_inclusive_scan_kernelIN10test_utils16custom_test_typeIiEELj32ELj4EENSt9enable_ifIXsr10test_utilsE35device_test_enabled_for_warp_size_vIXT1_EEEvE4typeEPT_S7_.has_dyn_sized_stack, 0
	.set _Z26warp_inclusive_scan_kernelIN10test_utils16custom_test_typeIiEELj32ELj4EENSt9enable_ifIXsr10test_utilsE35device_test_enabled_for_warp_size_vIXT1_EEEvE4typeEPT_S7_.has_recursion, 0
	.set _Z26warp_inclusive_scan_kernelIN10test_utils16custom_test_typeIiEELj32ELj4EENSt9enable_ifIXsr10test_utilsE35device_test_enabled_for_warp_size_vIXT1_EEEvE4typeEPT_S7_.has_indirect_call, 0
	.section	.AMDGPU.csdata,"",@progbits
; Kernel info:
; codeLenInByte = 196
; TotalNumSgprs: 12
; NumVgprs: 8
; ScratchSize: 0
; MemoryBound: 0
; FloatMode: 240
; IeeeMode: 1
; LDSByteSize: 0 bytes/workgroup (compile time only)
; SGPRBlocks: 1
; VGPRBlocks: 1
; NumSGPRsForWavesPerEU: 12
; NumVGPRsForWavesPerEU: 8
; Occupancy: 10
; WaveLimiterHint : 0
; COMPUTE_PGM_RSRC2:SCRATCH_EN: 0
; COMPUTE_PGM_RSRC2:USER_SGPR: 6
; COMPUTE_PGM_RSRC2:TRAP_HANDLER: 0
; COMPUTE_PGM_RSRC2:TGID_X_EN: 1
; COMPUTE_PGM_RSRC2:TGID_Y_EN: 0
; COMPUTE_PGM_RSRC2:TGID_Z_EN: 0
; COMPUTE_PGM_RSRC2:TIDIG_COMP_CNT: 0
	.section	.text._Z26warp_inclusive_scan_kernelIN10test_utils16custom_test_typeIiEELj64ELj4EENSt9enable_ifIXsr10test_utilsE35device_test_enabled_for_warp_size_vIXT1_EEEvE4typeEPT_S7_,"axG",@progbits,_Z26warp_inclusive_scan_kernelIN10test_utils16custom_test_typeIiEELj64ELj4EENSt9enable_ifIXsr10test_utilsE35device_test_enabled_for_warp_size_vIXT1_EEEvE4typeEPT_S7_,comdat
	.protected	_Z26warp_inclusive_scan_kernelIN10test_utils16custom_test_typeIiEELj64ELj4EENSt9enable_ifIXsr10test_utilsE35device_test_enabled_for_warp_size_vIXT1_EEEvE4typeEPT_S7_ ; -- Begin function _Z26warp_inclusive_scan_kernelIN10test_utils16custom_test_typeIiEELj64ELj4EENSt9enable_ifIXsr10test_utilsE35device_test_enabled_for_warp_size_vIXT1_EEEvE4typeEPT_S7_
	.globl	_Z26warp_inclusive_scan_kernelIN10test_utils16custom_test_typeIiEELj64ELj4EENSt9enable_ifIXsr10test_utilsE35device_test_enabled_for_warp_size_vIXT1_EEEvE4typeEPT_S7_
	.p2align	8
	.type	_Z26warp_inclusive_scan_kernelIN10test_utils16custom_test_typeIiEELj64ELj4EENSt9enable_ifIXsr10test_utilsE35device_test_enabled_for_warp_size_vIXT1_EEEvE4typeEPT_S7_,@function
_Z26warp_inclusive_scan_kernelIN10test_utils16custom_test_typeIiEELj64ELj4EENSt9enable_ifIXsr10test_utilsE35device_test_enabled_for_warp_size_vIXT1_EEEvE4typeEPT_S7_: ; @_Z26warp_inclusive_scan_kernelIN10test_utils16custom_test_typeIiEELj64ELj4EENSt9enable_ifIXsr10test_utilsE35device_test_enabled_for_warp_size_vIXT1_EEEvE4typeEPT_S7_
; %bb.0:
	s_load_dword s7, s[4:5], 0x1c
	s_load_dwordx4 s[0:3], s[4:5], 0x0
	v_mov_b32_e32 v1, 0
	v_mbcnt_lo_u32_b32 v4, -1, 0
	v_mbcnt_hi_u32_b32 v4, -1, v4
	s_waitcnt lgkmcnt(0)
	s_and_b32 s4, s7, 0xffff
	s_mul_i32 s6, s6, s4
	v_add_u32_e32 v0, s6, v0
	v_lshlrev_b64 v[0:1], 3, v[0:1]
	v_mov_b32_e32 v3, s1
	v_add_co_u32_e32 v2, vcc, s0, v0
	v_addc_co_u32_e32 v3, vcc, v3, v1, vcc
	global_load_dwordx2 v[2:3], v[2:3], off
	v_and_b32_e32 v4, 3, v4
	v_cmp_eq_u32_e32 vcc, 0, v4
	v_mov_b32_e32 v5, s3
	s_waitcnt vmcnt(0)
	v_mov_b32_dpp v6, v2 row_shr:1 row_mask:0xf bank_mask:0xf
	v_mov_b32_dpp v7, v3 row_shr:1 row_mask:0xf bank_mask:0xf
	v_cndmask_b32_e64 v6, v6, 0, vcc
	v_cndmask_b32_e64 v7, v7, 0, vcc
	v_add_u32_e32 v2, v6, v2
	v_add_u32_e32 v3, v7, v3
	v_cmp_lt_u32_e32 vcc, 1, v4
	v_mov_b32_dpp v6, v2 row_shr:2 row_mask:0xf bank_mask:0xf
	v_mov_b32_dpp v7, v3 row_shr:2 row_mask:0xf bank_mask:0xf
	v_cndmask_b32_e32 v4, 0, v6, vcc
	v_cndmask_b32_e32 v6, 0, v7, vcc
	v_add_co_u32_e32 v0, vcc, s2, v0
	v_add_u32_e32 v2, v4, v2
	v_add_u32_e32 v3, v6, v3
	v_addc_co_u32_e32 v1, vcc, v5, v1, vcc
	global_store_dwordx2 v[0:1], v[2:3], off
	s_endpgm
	.section	.rodata,"a",@progbits
	.p2align	6, 0x0
	.amdhsa_kernel _Z26warp_inclusive_scan_kernelIN10test_utils16custom_test_typeIiEELj64ELj4EENSt9enable_ifIXsr10test_utilsE35device_test_enabled_for_warp_size_vIXT1_EEEvE4typeEPT_S7_
		.amdhsa_group_segment_fixed_size 0
		.amdhsa_private_segment_fixed_size 0
		.amdhsa_kernarg_size 272
		.amdhsa_user_sgpr_count 6
		.amdhsa_user_sgpr_private_segment_buffer 1
		.amdhsa_user_sgpr_dispatch_ptr 0
		.amdhsa_user_sgpr_queue_ptr 0
		.amdhsa_user_sgpr_kernarg_segment_ptr 1
		.amdhsa_user_sgpr_dispatch_id 0
		.amdhsa_user_sgpr_flat_scratch_init 0
		.amdhsa_user_sgpr_private_segment_size 0
		.amdhsa_uses_dynamic_stack 0
		.amdhsa_system_sgpr_private_segment_wavefront_offset 0
		.amdhsa_system_sgpr_workgroup_id_x 1
		.amdhsa_system_sgpr_workgroup_id_y 0
		.amdhsa_system_sgpr_workgroup_id_z 0
		.amdhsa_system_sgpr_workgroup_info 0
		.amdhsa_system_vgpr_workitem_id 0
		.amdhsa_next_free_vgpr 8
		.amdhsa_next_free_sgpr 8
		.amdhsa_reserve_vcc 1
		.amdhsa_reserve_flat_scratch 0
		.amdhsa_float_round_mode_32 0
		.amdhsa_float_round_mode_16_64 0
		.amdhsa_float_denorm_mode_32 3
		.amdhsa_float_denorm_mode_16_64 3
		.amdhsa_dx10_clamp 1
		.amdhsa_ieee_mode 1
		.amdhsa_fp16_overflow 0
		.amdhsa_exception_fp_ieee_invalid_op 0
		.amdhsa_exception_fp_denorm_src 0
		.amdhsa_exception_fp_ieee_div_zero 0
		.amdhsa_exception_fp_ieee_overflow 0
		.amdhsa_exception_fp_ieee_underflow 0
		.amdhsa_exception_fp_ieee_inexact 0
		.amdhsa_exception_int_div_zero 0
	.end_amdhsa_kernel
	.section	.text._Z26warp_inclusive_scan_kernelIN10test_utils16custom_test_typeIiEELj64ELj4EENSt9enable_ifIXsr10test_utilsE35device_test_enabled_for_warp_size_vIXT1_EEEvE4typeEPT_S7_,"axG",@progbits,_Z26warp_inclusive_scan_kernelIN10test_utils16custom_test_typeIiEELj64ELj4EENSt9enable_ifIXsr10test_utilsE35device_test_enabled_for_warp_size_vIXT1_EEEvE4typeEPT_S7_,comdat
.Lfunc_end333:
	.size	_Z26warp_inclusive_scan_kernelIN10test_utils16custom_test_typeIiEELj64ELj4EENSt9enable_ifIXsr10test_utilsE35device_test_enabled_for_warp_size_vIXT1_EEEvE4typeEPT_S7_, .Lfunc_end333-_Z26warp_inclusive_scan_kernelIN10test_utils16custom_test_typeIiEELj64ELj4EENSt9enable_ifIXsr10test_utilsE35device_test_enabled_for_warp_size_vIXT1_EEEvE4typeEPT_S7_
                                        ; -- End function
	.set _Z26warp_inclusive_scan_kernelIN10test_utils16custom_test_typeIiEELj64ELj4EENSt9enable_ifIXsr10test_utilsE35device_test_enabled_for_warp_size_vIXT1_EEEvE4typeEPT_S7_.num_vgpr, 8
	.set _Z26warp_inclusive_scan_kernelIN10test_utils16custom_test_typeIiEELj64ELj4EENSt9enable_ifIXsr10test_utilsE35device_test_enabled_for_warp_size_vIXT1_EEEvE4typeEPT_S7_.num_agpr, 0
	.set _Z26warp_inclusive_scan_kernelIN10test_utils16custom_test_typeIiEELj64ELj4EENSt9enable_ifIXsr10test_utilsE35device_test_enabled_for_warp_size_vIXT1_EEEvE4typeEPT_S7_.numbered_sgpr, 8
	.set _Z26warp_inclusive_scan_kernelIN10test_utils16custom_test_typeIiEELj64ELj4EENSt9enable_ifIXsr10test_utilsE35device_test_enabled_for_warp_size_vIXT1_EEEvE4typeEPT_S7_.num_named_barrier, 0
	.set _Z26warp_inclusive_scan_kernelIN10test_utils16custom_test_typeIiEELj64ELj4EENSt9enable_ifIXsr10test_utilsE35device_test_enabled_for_warp_size_vIXT1_EEEvE4typeEPT_S7_.private_seg_size, 0
	.set _Z26warp_inclusive_scan_kernelIN10test_utils16custom_test_typeIiEELj64ELj4EENSt9enable_ifIXsr10test_utilsE35device_test_enabled_for_warp_size_vIXT1_EEEvE4typeEPT_S7_.uses_vcc, 1
	.set _Z26warp_inclusive_scan_kernelIN10test_utils16custom_test_typeIiEELj64ELj4EENSt9enable_ifIXsr10test_utilsE35device_test_enabled_for_warp_size_vIXT1_EEEvE4typeEPT_S7_.uses_flat_scratch, 0
	.set _Z26warp_inclusive_scan_kernelIN10test_utils16custom_test_typeIiEELj64ELj4EENSt9enable_ifIXsr10test_utilsE35device_test_enabled_for_warp_size_vIXT1_EEEvE4typeEPT_S7_.has_dyn_sized_stack, 0
	.set _Z26warp_inclusive_scan_kernelIN10test_utils16custom_test_typeIiEELj64ELj4EENSt9enable_ifIXsr10test_utilsE35device_test_enabled_for_warp_size_vIXT1_EEEvE4typeEPT_S7_.has_recursion, 0
	.set _Z26warp_inclusive_scan_kernelIN10test_utils16custom_test_typeIiEELj64ELj4EENSt9enable_ifIXsr10test_utilsE35device_test_enabled_for_warp_size_vIXT1_EEEvE4typeEPT_S7_.has_indirect_call, 0
	.section	.AMDGPU.csdata,"",@progbits
; Kernel info:
; codeLenInByte = 196
; TotalNumSgprs: 12
; NumVgprs: 8
; ScratchSize: 0
; MemoryBound: 0
; FloatMode: 240
; IeeeMode: 1
; LDSByteSize: 0 bytes/workgroup (compile time only)
; SGPRBlocks: 1
; VGPRBlocks: 1
; NumSGPRsForWavesPerEU: 12
; NumVGPRsForWavesPerEU: 8
; Occupancy: 10
; WaveLimiterHint : 0
; COMPUTE_PGM_RSRC2:SCRATCH_EN: 0
; COMPUTE_PGM_RSRC2:USER_SGPR: 6
; COMPUTE_PGM_RSRC2:TRAP_HANDLER: 0
; COMPUTE_PGM_RSRC2:TGID_X_EN: 1
; COMPUTE_PGM_RSRC2:TGID_Y_EN: 0
; COMPUTE_PGM_RSRC2:TGID_Z_EN: 0
; COMPUTE_PGM_RSRC2:TIDIG_COMP_CNT: 0
	.section	.text._Z26warp_inclusive_scan_kernelIN10test_utils16custom_test_typeIiEELj32ELj2EENSt9enable_ifIXsr10test_utilsE35device_test_enabled_for_warp_size_vIXT1_EEEvE4typeEPT_S7_,"axG",@progbits,_Z26warp_inclusive_scan_kernelIN10test_utils16custom_test_typeIiEELj32ELj2EENSt9enable_ifIXsr10test_utilsE35device_test_enabled_for_warp_size_vIXT1_EEEvE4typeEPT_S7_,comdat
	.protected	_Z26warp_inclusive_scan_kernelIN10test_utils16custom_test_typeIiEELj32ELj2EENSt9enable_ifIXsr10test_utilsE35device_test_enabled_for_warp_size_vIXT1_EEEvE4typeEPT_S7_ ; -- Begin function _Z26warp_inclusive_scan_kernelIN10test_utils16custom_test_typeIiEELj32ELj2EENSt9enable_ifIXsr10test_utilsE35device_test_enabled_for_warp_size_vIXT1_EEEvE4typeEPT_S7_
	.globl	_Z26warp_inclusive_scan_kernelIN10test_utils16custom_test_typeIiEELj32ELj2EENSt9enable_ifIXsr10test_utilsE35device_test_enabled_for_warp_size_vIXT1_EEEvE4typeEPT_S7_
	.p2align	8
	.type	_Z26warp_inclusive_scan_kernelIN10test_utils16custom_test_typeIiEELj32ELj2EENSt9enable_ifIXsr10test_utilsE35device_test_enabled_for_warp_size_vIXT1_EEEvE4typeEPT_S7_,@function
_Z26warp_inclusive_scan_kernelIN10test_utils16custom_test_typeIiEELj32ELj2EENSt9enable_ifIXsr10test_utilsE35device_test_enabled_for_warp_size_vIXT1_EEEvE4typeEPT_S7_: ; @_Z26warp_inclusive_scan_kernelIN10test_utils16custom_test_typeIiEELj32ELj2EENSt9enable_ifIXsr10test_utilsE35device_test_enabled_for_warp_size_vIXT1_EEEvE4typeEPT_S7_
; %bb.0:
	s_load_dword s7, s[4:5], 0x1c
	s_load_dwordx4 s[0:3], s[4:5], 0x0
	v_mov_b32_e32 v1, 0
	v_mbcnt_lo_u32_b32 v4, -1, 0
	v_mbcnt_hi_u32_b32 v4, -1, v4
	s_waitcnt lgkmcnt(0)
	s_and_b32 s4, s7, 0xffff
	s_mul_i32 s6, s6, s4
	v_add_u32_e32 v0, s6, v0
	v_lshlrev_b64 v[0:1], 3, v[0:1]
	v_mov_b32_e32 v3, s1
	v_add_co_u32_e32 v2, vcc, s0, v0
	v_addc_co_u32_e32 v3, vcc, v3, v1, vcc
	global_load_dwordx2 v[2:3], v[2:3], off
	v_bfe_i32 v4, v4, 0, 1
	v_mov_b32_e32 v5, s3
	v_add_co_u32_e32 v0, vcc, s2, v0
	v_addc_co_u32_e32 v1, vcc, v5, v1, vcc
	s_waitcnt vmcnt(0)
	v_mov_b32_dpp v6, v2 row_shr:1 row_mask:0xf bank_mask:0xf
	v_mov_b32_dpp v7, v3 row_shr:1 row_mask:0xf bank_mask:0xf
	v_and_b32_e32 v6, v4, v6
	v_and_b32_e32 v4, v4, v7
	v_add_u32_e32 v2, v6, v2
	v_add_u32_e32 v3, v4, v3
	global_store_dwordx2 v[0:1], v[2:3], off
	s_endpgm
	.section	.rodata,"a",@progbits
	.p2align	6, 0x0
	.amdhsa_kernel _Z26warp_inclusive_scan_kernelIN10test_utils16custom_test_typeIiEELj32ELj2EENSt9enable_ifIXsr10test_utilsE35device_test_enabled_for_warp_size_vIXT1_EEEvE4typeEPT_S7_
		.amdhsa_group_segment_fixed_size 0
		.amdhsa_private_segment_fixed_size 0
		.amdhsa_kernarg_size 272
		.amdhsa_user_sgpr_count 6
		.amdhsa_user_sgpr_private_segment_buffer 1
		.amdhsa_user_sgpr_dispatch_ptr 0
		.amdhsa_user_sgpr_queue_ptr 0
		.amdhsa_user_sgpr_kernarg_segment_ptr 1
		.amdhsa_user_sgpr_dispatch_id 0
		.amdhsa_user_sgpr_flat_scratch_init 0
		.amdhsa_user_sgpr_private_segment_size 0
		.amdhsa_uses_dynamic_stack 0
		.amdhsa_system_sgpr_private_segment_wavefront_offset 0
		.amdhsa_system_sgpr_workgroup_id_x 1
		.amdhsa_system_sgpr_workgroup_id_y 0
		.amdhsa_system_sgpr_workgroup_id_z 0
		.amdhsa_system_sgpr_workgroup_info 0
		.amdhsa_system_vgpr_workitem_id 0
		.amdhsa_next_free_vgpr 8
		.amdhsa_next_free_sgpr 8
		.amdhsa_reserve_vcc 1
		.amdhsa_reserve_flat_scratch 0
		.amdhsa_float_round_mode_32 0
		.amdhsa_float_round_mode_16_64 0
		.amdhsa_float_denorm_mode_32 3
		.amdhsa_float_denorm_mode_16_64 3
		.amdhsa_dx10_clamp 1
		.amdhsa_ieee_mode 1
		.amdhsa_fp16_overflow 0
		.amdhsa_exception_fp_ieee_invalid_op 0
		.amdhsa_exception_fp_denorm_src 0
		.amdhsa_exception_fp_ieee_div_zero 0
		.amdhsa_exception_fp_ieee_overflow 0
		.amdhsa_exception_fp_ieee_underflow 0
		.amdhsa_exception_fp_ieee_inexact 0
		.amdhsa_exception_int_div_zero 0
	.end_amdhsa_kernel
	.section	.text._Z26warp_inclusive_scan_kernelIN10test_utils16custom_test_typeIiEELj32ELj2EENSt9enable_ifIXsr10test_utilsE35device_test_enabled_for_warp_size_vIXT1_EEEvE4typeEPT_S7_,"axG",@progbits,_Z26warp_inclusive_scan_kernelIN10test_utils16custom_test_typeIiEELj32ELj2EENSt9enable_ifIXsr10test_utilsE35device_test_enabled_for_warp_size_vIXT1_EEEvE4typeEPT_S7_,comdat
.Lfunc_end334:
	.size	_Z26warp_inclusive_scan_kernelIN10test_utils16custom_test_typeIiEELj32ELj2EENSt9enable_ifIXsr10test_utilsE35device_test_enabled_for_warp_size_vIXT1_EEEvE4typeEPT_S7_, .Lfunc_end334-_Z26warp_inclusive_scan_kernelIN10test_utils16custom_test_typeIiEELj32ELj2EENSt9enable_ifIXsr10test_utilsE35device_test_enabled_for_warp_size_vIXT1_EEEvE4typeEPT_S7_
                                        ; -- End function
	.set _Z26warp_inclusive_scan_kernelIN10test_utils16custom_test_typeIiEELj32ELj2EENSt9enable_ifIXsr10test_utilsE35device_test_enabled_for_warp_size_vIXT1_EEEvE4typeEPT_S7_.num_vgpr, 8
	.set _Z26warp_inclusive_scan_kernelIN10test_utils16custom_test_typeIiEELj32ELj2EENSt9enable_ifIXsr10test_utilsE35device_test_enabled_for_warp_size_vIXT1_EEEvE4typeEPT_S7_.num_agpr, 0
	.set _Z26warp_inclusive_scan_kernelIN10test_utils16custom_test_typeIiEELj32ELj2EENSt9enable_ifIXsr10test_utilsE35device_test_enabled_for_warp_size_vIXT1_EEEvE4typeEPT_S7_.numbered_sgpr, 8
	.set _Z26warp_inclusive_scan_kernelIN10test_utils16custom_test_typeIiEELj32ELj2EENSt9enable_ifIXsr10test_utilsE35device_test_enabled_for_warp_size_vIXT1_EEEvE4typeEPT_S7_.num_named_barrier, 0
	.set _Z26warp_inclusive_scan_kernelIN10test_utils16custom_test_typeIiEELj32ELj2EENSt9enable_ifIXsr10test_utilsE35device_test_enabled_for_warp_size_vIXT1_EEEvE4typeEPT_S7_.private_seg_size, 0
	.set _Z26warp_inclusive_scan_kernelIN10test_utils16custom_test_typeIiEELj32ELj2EENSt9enable_ifIXsr10test_utilsE35device_test_enabled_for_warp_size_vIXT1_EEEvE4typeEPT_S7_.uses_vcc, 1
	.set _Z26warp_inclusive_scan_kernelIN10test_utils16custom_test_typeIiEELj32ELj2EENSt9enable_ifIXsr10test_utilsE35device_test_enabled_for_warp_size_vIXT1_EEEvE4typeEPT_S7_.uses_flat_scratch, 0
	.set _Z26warp_inclusive_scan_kernelIN10test_utils16custom_test_typeIiEELj32ELj2EENSt9enable_ifIXsr10test_utilsE35device_test_enabled_for_warp_size_vIXT1_EEEvE4typeEPT_S7_.has_dyn_sized_stack, 0
	.set _Z26warp_inclusive_scan_kernelIN10test_utils16custom_test_typeIiEELj32ELj2EENSt9enable_ifIXsr10test_utilsE35device_test_enabled_for_warp_size_vIXT1_EEEvE4typeEPT_S7_.has_recursion, 0
	.set _Z26warp_inclusive_scan_kernelIN10test_utils16custom_test_typeIiEELj32ELj2EENSt9enable_ifIXsr10test_utilsE35device_test_enabled_for_warp_size_vIXT1_EEEvE4typeEPT_S7_.has_indirect_call, 0
	.section	.AMDGPU.csdata,"",@progbits
; Kernel info:
; codeLenInByte = 152
; TotalNumSgprs: 12
; NumVgprs: 8
; ScratchSize: 0
; MemoryBound: 0
; FloatMode: 240
; IeeeMode: 1
; LDSByteSize: 0 bytes/workgroup (compile time only)
; SGPRBlocks: 1
; VGPRBlocks: 1
; NumSGPRsForWavesPerEU: 12
; NumVGPRsForWavesPerEU: 8
; Occupancy: 10
; WaveLimiterHint : 0
; COMPUTE_PGM_RSRC2:SCRATCH_EN: 0
; COMPUTE_PGM_RSRC2:USER_SGPR: 6
; COMPUTE_PGM_RSRC2:TRAP_HANDLER: 0
; COMPUTE_PGM_RSRC2:TGID_X_EN: 1
; COMPUTE_PGM_RSRC2:TGID_Y_EN: 0
; COMPUTE_PGM_RSRC2:TGID_Z_EN: 0
; COMPUTE_PGM_RSRC2:TIDIG_COMP_CNT: 0
	.section	.text._Z26warp_inclusive_scan_kernelIN10test_utils16custom_test_typeIiEELj64ELj2EENSt9enable_ifIXsr10test_utilsE35device_test_enabled_for_warp_size_vIXT1_EEEvE4typeEPT_S7_,"axG",@progbits,_Z26warp_inclusive_scan_kernelIN10test_utils16custom_test_typeIiEELj64ELj2EENSt9enable_ifIXsr10test_utilsE35device_test_enabled_for_warp_size_vIXT1_EEEvE4typeEPT_S7_,comdat
	.protected	_Z26warp_inclusive_scan_kernelIN10test_utils16custom_test_typeIiEELj64ELj2EENSt9enable_ifIXsr10test_utilsE35device_test_enabled_for_warp_size_vIXT1_EEEvE4typeEPT_S7_ ; -- Begin function _Z26warp_inclusive_scan_kernelIN10test_utils16custom_test_typeIiEELj64ELj2EENSt9enable_ifIXsr10test_utilsE35device_test_enabled_for_warp_size_vIXT1_EEEvE4typeEPT_S7_
	.globl	_Z26warp_inclusive_scan_kernelIN10test_utils16custom_test_typeIiEELj64ELj2EENSt9enable_ifIXsr10test_utilsE35device_test_enabled_for_warp_size_vIXT1_EEEvE4typeEPT_S7_
	.p2align	8
	.type	_Z26warp_inclusive_scan_kernelIN10test_utils16custom_test_typeIiEELj64ELj2EENSt9enable_ifIXsr10test_utilsE35device_test_enabled_for_warp_size_vIXT1_EEEvE4typeEPT_S7_,@function
_Z26warp_inclusive_scan_kernelIN10test_utils16custom_test_typeIiEELj64ELj2EENSt9enable_ifIXsr10test_utilsE35device_test_enabled_for_warp_size_vIXT1_EEEvE4typeEPT_S7_: ; @_Z26warp_inclusive_scan_kernelIN10test_utils16custom_test_typeIiEELj64ELj2EENSt9enable_ifIXsr10test_utilsE35device_test_enabled_for_warp_size_vIXT1_EEEvE4typeEPT_S7_
; %bb.0:
	s_load_dword s7, s[4:5], 0x1c
	s_load_dwordx4 s[0:3], s[4:5], 0x0
	v_mov_b32_e32 v1, 0
	v_mbcnt_lo_u32_b32 v4, -1, 0
	v_mbcnt_hi_u32_b32 v4, -1, v4
	s_waitcnt lgkmcnt(0)
	s_and_b32 s4, s7, 0xffff
	s_mul_i32 s6, s6, s4
	v_add_u32_e32 v0, s6, v0
	v_lshlrev_b64 v[0:1], 3, v[0:1]
	v_mov_b32_e32 v3, s1
	v_add_co_u32_e32 v2, vcc, s0, v0
	v_addc_co_u32_e32 v3, vcc, v3, v1, vcc
	global_load_dwordx2 v[2:3], v[2:3], off
	v_bfe_i32 v4, v4, 0, 1
	v_mov_b32_e32 v5, s3
	v_add_co_u32_e32 v0, vcc, s2, v0
	v_addc_co_u32_e32 v1, vcc, v5, v1, vcc
	s_waitcnt vmcnt(0)
	v_mov_b32_dpp v6, v2 row_shr:1 row_mask:0xf bank_mask:0xf
	v_mov_b32_dpp v7, v3 row_shr:1 row_mask:0xf bank_mask:0xf
	v_and_b32_e32 v6, v4, v6
	v_and_b32_e32 v4, v4, v7
	v_add_u32_e32 v2, v6, v2
	v_add_u32_e32 v3, v4, v3
	global_store_dwordx2 v[0:1], v[2:3], off
	s_endpgm
	.section	.rodata,"a",@progbits
	.p2align	6, 0x0
	.amdhsa_kernel _Z26warp_inclusive_scan_kernelIN10test_utils16custom_test_typeIiEELj64ELj2EENSt9enable_ifIXsr10test_utilsE35device_test_enabled_for_warp_size_vIXT1_EEEvE4typeEPT_S7_
		.amdhsa_group_segment_fixed_size 0
		.amdhsa_private_segment_fixed_size 0
		.amdhsa_kernarg_size 272
		.amdhsa_user_sgpr_count 6
		.amdhsa_user_sgpr_private_segment_buffer 1
		.amdhsa_user_sgpr_dispatch_ptr 0
		.amdhsa_user_sgpr_queue_ptr 0
		.amdhsa_user_sgpr_kernarg_segment_ptr 1
		.amdhsa_user_sgpr_dispatch_id 0
		.amdhsa_user_sgpr_flat_scratch_init 0
		.amdhsa_user_sgpr_private_segment_size 0
		.amdhsa_uses_dynamic_stack 0
		.amdhsa_system_sgpr_private_segment_wavefront_offset 0
		.amdhsa_system_sgpr_workgroup_id_x 1
		.amdhsa_system_sgpr_workgroup_id_y 0
		.amdhsa_system_sgpr_workgroup_id_z 0
		.amdhsa_system_sgpr_workgroup_info 0
		.amdhsa_system_vgpr_workitem_id 0
		.amdhsa_next_free_vgpr 8
		.amdhsa_next_free_sgpr 8
		.amdhsa_reserve_vcc 1
		.amdhsa_reserve_flat_scratch 0
		.amdhsa_float_round_mode_32 0
		.amdhsa_float_round_mode_16_64 0
		.amdhsa_float_denorm_mode_32 3
		.amdhsa_float_denorm_mode_16_64 3
		.amdhsa_dx10_clamp 1
		.amdhsa_ieee_mode 1
		.amdhsa_fp16_overflow 0
		.amdhsa_exception_fp_ieee_invalid_op 0
		.amdhsa_exception_fp_denorm_src 0
		.amdhsa_exception_fp_ieee_div_zero 0
		.amdhsa_exception_fp_ieee_overflow 0
		.amdhsa_exception_fp_ieee_underflow 0
		.amdhsa_exception_fp_ieee_inexact 0
		.amdhsa_exception_int_div_zero 0
	.end_amdhsa_kernel
	.section	.text._Z26warp_inclusive_scan_kernelIN10test_utils16custom_test_typeIiEELj64ELj2EENSt9enable_ifIXsr10test_utilsE35device_test_enabled_for_warp_size_vIXT1_EEEvE4typeEPT_S7_,"axG",@progbits,_Z26warp_inclusive_scan_kernelIN10test_utils16custom_test_typeIiEELj64ELj2EENSt9enable_ifIXsr10test_utilsE35device_test_enabled_for_warp_size_vIXT1_EEEvE4typeEPT_S7_,comdat
.Lfunc_end335:
	.size	_Z26warp_inclusive_scan_kernelIN10test_utils16custom_test_typeIiEELj64ELj2EENSt9enable_ifIXsr10test_utilsE35device_test_enabled_for_warp_size_vIXT1_EEEvE4typeEPT_S7_, .Lfunc_end335-_Z26warp_inclusive_scan_kernelIN10test_utils16custom_test_typeIiEELj64ELj2EENSt9enable_ifIXsr10test_utilsE35device_test_enabled_for_warp_size_vIXT1_EEEvE4typeEPT_S7_
                                        ; -- End function
	.set _Z26warp_inclusive_scan_kernelIN10test_utils16custom_test_typeIiEELj64ELj2EENSt9enable_ifIXsr10test_utilsE35device_test_enabled_for_warp_size_vIXT1_EEEvE4typeEPT_S7_.num_vgpr, 8
	.set _Z26warp_inclusive_scan_kernelIN10test_utils16custom_test_typeIiEELj64ELj2EENSt9enable_ifIXsr10test_utilsE35device_test_enabled_for_warp_size_vIXT1_EEEvE4typeEPT_S7_.num_agpr, 0
	.set _Z26warp_inclusive_scan_kernelIN10test_utils16custom_test_typeIiEELj64ELj2EENSt9enable_ifIXsr10test_utilsE35device_test_enabled_for_warp_size_vIXT1_EEEvE4typeEPT_S7_.numbered_sgpr, 8
	.set _Z26warp_inclusive_scan_kernelIN10test_utils16custom_test_typeIiEELj64ELj2EENSt9enable_ifIXsr10test_utilsE35device_test_enabled_for_warp_size_vIXT1_EEEvE4typeEPT_S7_.num_named_barrier, 0
	.set _Z26warp_inclusive_scan_kernelIN10test_utils16custom_test_typeIiEELj64ELj2EENSt9enable_ifIXsr10test_utilsE35device_test_enabled_for_warp_size_vIXT1_EEEvE4typeEPT_S7_.private_seg_size, 0
	.set _Z26warp_inclusive_scan_kernelIN10test_utils16custom_test_typeIiEELj64ELj2EENSt9enable_ifIXsr10test_utilsE35device_test_enabled_for_warp_size_vIXT1_EEEvE4typeEPT_S7_.uses_vcc, 1
	.set _Z26warp_inclusive_scan_kernelIN10test_utils16custom_test_typeIiEELj64ELj2EENSt9enable_ifIXsr10test_utilsE35device_test_enabled_for_warp_size_vIXT1_EEEvE4typeEPT_S7_.uses_flat_scratch, 0
	.set _Z26warp_inclusive_scan_kernelIN10test_utils16custom_test_typeIiEELj64ELj2EENSt9enable_ifIXsr10test_utilsE35device_test_enabled_for_warp_size_vIXT1_EEEvE4typeEPT_S7_.has_dyn_sized_stack, 0
	.set _Z26warp_inclusive_scan_kernelIN10test_utils16custom_test_typeIiEELj64ELj2EENSt9enable_ifIXsr10test_utilsE35device_test_enabled_for_warp_size_vIXT1_EEEvE4typeEPT_S7_.has_recursion, 0
	.set _Z26warp_inclusive_scan_kernelIN10test_utils16custom_test_typeIiEELj64ELj2EENSt9enable_ifIXsr10test_utilsE35device_test_enabled_for_warp_size_vIXT1_EEEvE4typeEPT_S7_.has_indirect_call, 0
	.section	.AMDGPU.csdata,"",@progbits
; Kernel info:
; codeLenInByte = 152
; TotalNumSgprs: 12
; NumVgprs: 8
; ScratchSize: 0
; MemoryBound: 0
; FloatMode: 240
; IeeeMode: 1
; LDSByteSize: 0 bytes/workgroup (compile time only)
; SGPRBlocks: 1
; VGPRBlocks: 1
; NumSGPRsForWavesPerEU: 12
; NumVGPRsForWavesPerEU: 8
; Occupancy: 10
; WaveLimiterHint : 0
; COMPUTE_PGM_RSRC2:SCRATCH_EN: 0
; COMPUTE_PGM_RSRC2:USER_SGPR: 6
; COMPUTE_PGM_RSRC2:TRAP_HANDLER: 0
; COMPUTE_PGM_RSRC2:TGID_X_EN: 1
; COMPUTE_PGM_RSRC2:TGID_Y_EN: 0
; COMPUTE_PGM_RSRC2:TGID_Z_EN: 0
; COMPUTE_PGM_RSRC2:TIDIG_COMP_CNT: 0
	.section	.AMDGPU.gpr_maximums,"",@progbits
	.set amdgpu.max_num_vgpr, 0
	.set amdgpu.max_num_agpr, 0
	.set amdgpu.max_num_sgpr, 0
	.section	.AMDGPU.csdata,"",@progbits
	.type	__hip_cuid_7c45a23a88d25c28,@object ; @__hip_cuid_7c45a23a88d25c28
	.section	.bss,"aw",@nobits
	.globl	__hip_cuid_7c45a23a88d25c28
__hip_cuid_7c45a23a88d25c28:
	.byte	0                               ; 0x0
	.size	__hip_cuid_7c45a23a88d25c28, 1

	.ident	"AMD clang version 22.0.0git (https://github.com/RadeonOpenCompute/llvm-project roc-7.2.4 26084 f58b06dce1f9c15707c5f808fd002e18c2accf7e)"
	.section	".note.GNU-stack","",@progbits
	.addrsig
	.addrsig_sym __hip_cuid_7c45a23a88d25c28
	.amdgpu_metadata
---
amdhsa.kernels:
  - .args:
      - .address_space:  global
        .offset:         0
        .size:           8
        .value_kind:     global_buffer
      - .address_space:  global
        .offset:         8
        .size:           8
        .value_kind:     global_buffer
      - .offset:         16
        .size:           4
        .value_kind:     hidden_block_count_x
      - .offset:         20
        .size:           4
        .value_kind:     hidden_block_count_y
      - .offset:         24
        .size:           4
        .value_kind:     hidden_block_count_z
      - .offset:         28
        .size:           2
        .value_kind:     hidden_group_size_x
      - .offset:         30
        .size:           2
        .value_kind:     hidden_group_size_y
      - .offset:         32
        .size:           2
        .value_kind:     hidden_group_size_z
      - .offset:         34
        .size:           2
        .value_kind:     hidden_remainder_x
      - .offset:         36
        .size:           2
        .value_kind:     hidden_remainder_y
      - .offset:         38
        .size:           2
        .value_kind:     hidden_remainder_z
      - .offset:         56
        .size:           8
        .value_kind:     hidden_global_offset_x
      - .offset:         64
        .size:           8
        .value_kind:     hidden_global_offset_y
      - .offset:         72
        .size:           8
        .value_kind:     hidden_global_offset_z
      - .offset:         80
        .size:           2
        .value_kind:     hidden_grid_dims
    .group_segment_fixed_size: 244
    .kernarg_segment_align: 8
    .kernarg_segment_size: 272
    .language:       OpenCL C
    .language_version:
      - 2
      - 0
    .max_flat_workgroup_size: 1
    .name:           _Z26warp_inclusive_scan_kernelIfLj1ELj61EENSt9enable_ifIXsr10test_utilsE35device_test_enabled_for_warp_size_vIXT1_EEEvE4typeEPT_S4_
    .private_segment_fixed_size: 0
    .sgpr_count:     14
    .sgpr_spill_count: 0
    .symbol:         _Z26warp_inclusive_scan_kernelIfLj1ELj61EENSt9enable_ifIXsr10test_utilsE35device_test_enabled_for_warp_size_vIXT1_EEEvE4typeEPT_S4_.kd
    .uniform_work_group_size: 1
    .uses_dynamic_stack: false
    .vgpr_count:     3
    .vgpr_spill_count: 0
    .wavefront_size: 64
  - .args:
      - .address_space:  global
        .offset:         0
        .size:           8
        .value_kind:     global_buffer
      - .address_space:  global
        .offset:         8
        .size:           8
        .value_kind:     global_buffer
      - .offset:         16
        .size:           4
        .value_kind:     hidden_block_count_x
      - .offset:         20
        .size:           4
        .value_kind:     hidden_block_count_y
      - .offset:         24
        .size:           4
        .value_kind:     hidden_block_count_z
      - .offset:         28
        .size:           2
        .value_kind:     hidden_group_size_x
      - .offset:         30
        .size:           2
        .value_kind:     hidden_group_size_y
      - .offset:         32
        .size:           2
        .value_kind:     hidden_group_size_z
      - .offset:         34
        .size:           2
        .value_kind:     hidden_remainder_x
      - .offset:         36
        .size:           2
        .value_kind:     hidden_remainder_y
      - .offset:         38
        .size:           2
        .value_kind:     hidden_remainder_z
      - .offset:         56
        .size:           8
        .value_kind:     hidden_global_offset_x
      - .offset:         64
        .size:           8
        .value_kind:     hidden_global_offset_y
      - .offset:         72
        .size:           8
        .value_kind:     hidden_global_offset_z
      - .offset:         80
        .size:           2
        .value_kind:     hidden_grid_dims
    .group_segment_fixed_size: 244
    .kernarg_segment_align: 8
    .kernarg_segment_size: 272
    .language:       OpenCL C
    .language_version:
      - 2
      - 0
    .max_flat_workgroup_size: 61
    .name:           _Z26warp_inclusive_scan_kernelIfLj61ELj61EENSt9enable_ifIXsr10test_utilsE35device_test_enabled_for_warp_size_vIXT1_EEEvE4typeEPT_S4_
    .private_segment_fixed_size: 0
    .sgpr_count:     12
    .sgpr_spill_count: 0
    .symbol:         _Z26warp_inclusive_scan_kernelIfLj61ELj61EENSt9enable_ifIXsr10test_utilsE35device_test_enabled_for_warp_size_vIXT1_EEEvE4typeEPT_S4_.kd
    .uniform_work_group_size: 1
    .uses_dynamic_stack: false
    .vgpr_count:     6
    .vgpr_spill_count: 0
    .wavefront_size: 64
  - .args:
      - .address_space:  global
        .offset:         0
        .size:           8
        .value_kind:     global_buffer
      - .address_space:  global
        .offset:         8
        .size:           8
        .value_kind:     global_buffer
      - .offset:         16
        .size:           4
        .value_kind:     hidden_block_count_x
      - .offset:         20
        .size:           4
        .value_kind:     hidden_block_count_y
      - .offset:         24
        .size:           4
        .value_kind:     hidden_block_count_z
      - .offset:         28
        .size:           2
        .value_kind:     hidden_group_size_x
      - .offset:         30
        .size:           2
        .value_kind:     hidden_group_size_y
      - .offset:         32
        .size:           2
        .value_kind:     hidden_group_size_z
      - .offset:         34
        .size:           2
        .value_kind:     hidden_remainder_x
      - .offset:         36
        .size:           2
        .value_kind:     hidden_remainder_y
      - .offset:         38
        .size:           2
        .value_kind:     hidden_remainder_z
      - .offset:         56
        .size:           8
        .value_kind:     hidden_global_offset_x
      - .offset:         64
        .size:           8
        .value_kind:     hidden_global_offset_y
      - .offset:         72
        .size:           8
        .value_kind:     hidden_global_offset_z
      - .offset:         80
        .size:           2
        .value_kind:     hidden_grid_dims
    .group_segment_fixed_size: 148
    .kernarg_segment_align: 8
    .kernarg_segment_size: 272
    .language:       OpenCL C
    .language_version:
      - 2
      - 0
    .max_flat_workgroup_size: 1
    .name:           _Z26warp_inclusive_scan_kernelIfLj1ELj37EENSt9enable_ifIXsr10test_utilsE35device_test_enabled_for_warp_size_vIXT1_EEEvE4typeEPT_S4_
    .private_segment_fixed_size: 0
    .sgpr_count:     14
    .sgpr_spill_count: 0
    .symbol:         _Z26warp_inclusive_scan_kernelIfLj1ELj37EENSt9enable_ifIXsr10test_utilsE35device_test_enabled_for_warp_size_vIXT1_EEEvE4typeEPT_S4_.kd
    .uniform_work_group_size: 1
    .uses_dynamic_stack: false
    .vgpr_count:     3
    .vgpr_spill_count: 0
    .wavefront_size: 64
  - .args:
      - .address_space:  global
        .offset:         0
        .size:           8
        .value_kind:     global_buffer
      - .address_space:  global
        .offset:         8
        .size:           8
        .value_kind:     global_buffer
      - .offset:         16
        .size:           4
        .value_kind:     hidden_block_count_x
      - .offset:         20
        .size:           4
        .value_kind:     hidden_block_count_y
      - .offset:         24
        .size:           4
        .value_kind:     hidden_block_count_z
      - .offset:         28
        .size:           2
        .value_kind:     hidden_group_size_x
      - .offset:         30
        .size:           2
        .value_kind:     hidden_group_size_y
      - .offset:         32
        .size:           2
        .value_kind:     hidden_group_size_z
      - .offset:         34
        .size:           2
        .value_kind:     hidden_remainder_x
      - .offset:         36
        .size:           2
        .value_kind:     hidden_remainder_y
      - .offset:         38
        .size:           2
        .value_kind:     hidden_remainder_z
      - .offset:         56
        .size:           8
        .value_kind:     hidden_global_offset_x
      - .offset:         64
        .size:           8
        .value_kind:     hidden_global_offset_y
      - .offset:         72
        .size:           8
        .value_kind:     hidden_global_offset_z
      - .offset:         80
        .size:           2
        .value_kind:     hidden_grid_dims
    .group_segment_fixed_size: 148
    .kernarg_segment_align: 8
    .kernarg_segment_size: 272
    .language:       OpenCL C
    .language_version:
      - 2
      - 0
    .max_flat_workgroup_size: 37
    .name:           _Z26warp_inclusive_scan_kernelIfLj37ELj37EENSt9enable_ifIXsr10test_utilsE35device_test_enabled_for_warp_size_vIXT1_EEEvE4typeEPT_S4_
    .private_segment_fixed_size: 0
    .sgpr_count:     12
    .sgpr_spill_count: 0
    .symbol:         _Z26warp_inclusive_scan_kernelIfLj37ELj37EENSt9enable_ifIXsr10test_utilsE35device_test_enabled_for_warp_size_vIXT1_EEEvE4typeEPT_S4_.kd
    .uniform_work_group_size: 1
    .uses_dynamic_stack: false
    .vgpr_count:     6
    .vgpr_spill_count: 0
    .wavefront_size: 64
  - .args:
      - .address_space:  global
        .offset:         0
        .size:           8
        .value_kind:     global_buffer
      - .address_space:  global
        .offset:         8
        .size:           8
        .value_kind:     global_buffer
      - .offset:         16
        .size:           4
        .value_kind:     hidden_block_count_x
      - .offset:         20
        .size:           4
        .value_kind:     hidden_block_count_y
      - .offset:         24
        .size:           4
        .value_kind:     hidden_block_count_z
      - .offset:         28
        .size:           2
        .value_kind:     hidden_group_size_x
      - .offset:         30
        .size:           2
        .value_kind:     hidden_group_size_y
      - .offset:         32
        .size:           2
        .value_kind:     hidden_group_size_z
      - .offset:         34
        .size:           2
        .value_kind:     hidden_remainder_x
      - .offset:         36
        .size:           2
        .value_kind:     hidden_remainder_y
      - .offset:         38
        .size:           2
        .value_kind:     hidden_remainder_z
      - .offset:         56
        .size:           8
        .value_kind:     hidden_global_offset_x
      - .offset:         64
        .size:           8
        .value_kind:     hidden_global_offset_y
      - .offset:         72
        .size:           8
        .value_kind:     hidden_global_offset_z
      - .offset:         80
        .size:           2
        .value_kind:     hidden_grid_dims
    .group_segment_fixed_size: 120
    .kernarg_segment_align: 8
    .kernarg_segment_size: 272
    .language:       OpenCL C
    .language_version:
      - 2
      - 0
    .max_flat_workgroup_size: 30
    .name:           _Z26warp_inclusive_scan_kernelIfLj30ELj15EENSt9enable_ifIXsr10test_utilsE35device_test_enabled_for_warp_size_vIXT1_EEEvE4typeEPT_S4_
    .private_segment_fixed_size: 0
    .sgpr_count:     12
    .sgpr_spill_count: 0
    .symbol:         _Z26warp_inclusive_scan_kernelIfLj30ELj15EENSt9enable_ifIXsr10test_utilsE35device_test_enabled_for_warp_size_vIXT1_EEEvE4typeEPT_S4_.kd
    .uniform_work_group_size: 1
    .uses_dynamic_stack: false
    .vgpr_count:     6
    .vgpr_spill_count: 0
    .wavefront_size: 64
  - .args:
      - .address_space:  global
        .offset:         0
        .size:           8
        .value_kind:     global_buffer
      - .address_space:  global
        .offset:         8
        .size:           8
        .value_kind:     global_buffer
      - .offset:         16
        .size:           4
        .value_kind:     hidden_block_count_x
      - .offset:         20
        .size:           4
        .value_kind:     hidden_block_count_y
      - .offset:         24
        .size:           4
        .value_kind:     hidden_block_count_z
      - .offset:         28
        .size:           2
        .value_kind:     hidden_group_size_x
      - .offset:         30
        .size:           2
        .value_kind:     hidden_group_size_y
      - .offset:         32
        .size:           2
        .value_kind:     hidden_group_size_z
      - .offset:         34
        .size:           2
        .value_kind:     hidden_remainder_x
      - .offset:         36
        .size:           2
        .value_kind:     hidden_remainder_y
      - .offset:         38
        .size:           2
        .value_kind:     hidden_remainder_z
      - .offset:         56
        .size:           8
        .value_kind:     hidden_global_offset_x
      - .offset:         64
        .size:           8
        .value_kind:     hidden_global_offset_y
      - .offset:         72
        .size:           8
        .value_kind:     hidden_global_offset_z
      - .offset:         80
        .size:           2
        .value_kind:     hidden_grid_dims
    .group_segment_fixed_size: 240
    .kernarg_segment_align: 8
    .kernarg_segment_size: 272
    .language:       OpenCL C
    .language_version:
      - 2
      - 0
    .max_flat_workgroup_size: 60
    .name:           _Z26warp_inclusive_scan_kernelIfLj60ELj15EENSt9enable_ifIXsr10test_utilsE35device_test_enabled_for_warp_size_vIXT1_EEEvE4typeEPT_S4_
    .private_segment_fixed_size: 0
    .sgpr_count:     12
    .sgpr_spill_count: 0
    .symbol:         _Z26warp_inclusive_scan_kernelIfLj60ELj15EENSt9enable_ifIXsr10test_utilsE35device_test_enabled_for_warp_size_vIXT1_EEEvE4typeEPT_S4_.kd
    .uniform_work_group_size: 1
    .uses_dynamic_stack: false
    .vgpr_count:     6
    .vgpr_spill_count: 0
    .wavefront_size: 64
  - .args:
      - .address_space:  global
        .offset:         0
        .size:           8
        .value_kind:     global_buffer
      - .address_space:  global
        .offset:         8
        .size:           8
        .value_kind:     global_buffer
      - .offset:         16
        .size:           4
        .value_kind:     hidden_block_count_x
      - .offset:         20
        .size:           4
        .value_kind:     hidden_block_count_y
      - .offset:         24
        .size:           4
        .value_kind:     hidden_block_count_z
      - .offset:         28
        .size:           2
        .value_kind:     hidden_group_size_x
      - .offset:         30
        .size:           2
        .value_kind:     hidden_group_size_y
      - .offset:         32
        .size:           2
        .value_kind:     hidden_group_size_z
      - .offset:         34
        .size:           2
        .value_kind:     hidden_remainder_x
      - .offset:         36
        .size:           2
        .value_kind:     hidden_remainder_y
      - .offset:         38
        .size:           2
        .value_kind:     hidden_remainder_z
      - .offset:         56
        .size:           8
        .value_kind:     hidden_global_offset_x
      - .offset:         64
        .size:           8
        .value_kind:     hidden_global_offset_y
      - .offset:         72
        .size:           8
        .value_kind:     hidden_global_offset_z
      - .offset:         80
        .size:           2
        .value_kind:     hidden_grid_dims
    .group_segment_fixed_size: 112
    .kernarg_segment_align: 8
    .kernarg_segment_size: 272
    .language:       OpenCL C
    .language_version:
      - 2
      - 0
    .max_flat_workgroup_size: 28
    .name:           _Z26warp_inclusive_scan_kernelIfLj28ELj7EENSt9enable_ifIXsr10test_utilsE35device_test_enabled_for_warp_size_vIXT1_EEEvE4typeEPT_S4_
    .private_segment_fixed_size: 0
    .sgpr_count:     12
    .sgpr_spill_count: 0
    .symbol:         _Z26warp_inclusive_scan_kernelIfLj28ELj7EENSt9enable_ifIXsr10test_utilsE35device_test_enabled_for_warp_size_vIXT1_EEEvE4typeEPT_S4_.kd
    .uniform_work_group_size: 1
    .uses_dynamic_stack: false
    .vgpr_count:     6
    .vgpr_spill_count: 0
    .wavefront_size: 64
  - .args:
      - .address_space:  global
        .offset:         0
        .size:           8
        .value_kind:     global_buffer
      - .address_space:  global
        .offset:         8
        .size:           8
        .value_kind:     global_buffer
      - .offset:         16
        .size:           4
        .value_kind:     hidden_block_count_x
      - .offset:         20
        .size:           4
        .value_kind:     hidden_block_count_y
      - .offset:         24
        .size:           4
        .value_kind:     hidden_block_count_z
      - .offset:         28
        .size:           2
        .value_kind:     hidden_group_size_x
      - .offset:         30
        .size:           2
        .value_kind:     hidden_group_size_y
      - .offset:         32
        .size:           2
        .value_kind:     hidden_group_size_z
      - .offset:         34
        .size:           2
        .value_kind:     hidden_remainder_x
      - .offset:         36
        .size:           2
        .value_kind:     hidden_remainder_y
      - .offset:         38
        .size:           2
        .value_kind:     hidden_remainder_z
      - .offset:         56
        .size:           8
        .value_kind:     hidden_global_offset_x
      - .offset:         64
        .size:           8
        .value_kind:     hidden_global_offset_y
      - .offset:         72
        .size:           8
        .value_kind:     hidden_global_offset_z
      - .offset:         80
        .size:           2
        .value_kind:     hidden_grid_dims
    .group_segment_fixed_size: 252
    .kernarg_segment_align: 8
    .kernarg_segment_size: 272
    .language:       OpenCL C
    .language_version:
      - 2
      - 0
    .max_flat_workgroup_size: 63
    .name:           _Z26warp_inclusive_scan_kernelIfLj63ELj7EENSt9enable_ifIXsr10test_utilsE35device_test_enabled_for_warp_size_vIXT1_EEEvE4typeEPT_S4_
    .private_segment_fixed_size: 0
    .sgpr_count:     12
    .sgpr_spill_count: 0
    .symbol:         _Z26warp_inclusive_scan_kernelIfLj63ELj7EENSt9enable_ifIXsr10test_utilsE35device_test_enabled_for_warp_size_vIXT1_EEEvE4typeEPT_S4_.kd
    .uniform_work_group_size: 1
    .uses_dynamic_stack: false
    .vgpr_count:     6
    .vgpr_spill_count: 0
    .wavefront_size: 64
  - .args:
      - .address_space:  global
        .offset:         0
        .size:           8
        .value_kind:     global_buffer
      - .address_space:  global
        .offset:         8
        .size:           8
        .value_kind:     global_buffer
      - .offset:         16
        .size:           4
        .value_kind:     hidden_block_count_x
      - .offset:         20
        .size:           4
        .value_kind:     hidden_block_count_y
      - .offset:         24
        .size:           4
        .value_kind:     hidden_block_count_z
      - .offset:         28
        .size:           2
        .value_kind:     hidden_group_size_x
      - .offset:         30
        .size:           2
        .value_kind:     hidden_group_size_y
      - .offset:         32
        .size:           2
        .value_kind:     hidden_group_size_z
      - .offset:         34
        .size:           2
        .value_kind:     hidden_remainder_x
      - .offset:         36
        .size:           2
        .value_kind:     hidden_remainder_y
      - .offset:         38
        .size:           2
        .value_kind:     hidden_remainder_z
      - .offset:         56
        .size:           8
        .value_kind:     hidden_global_offset_x
      - .offset:         64
        .size:           8
        .value_kind:     hidden_global_offset_y
      - .offset:         72
        .size:           8
        .value_kind:     hidden_global_offset_z
      - .offset:         80
        .size:           2
        .value_kind:     hidden_grid_dims
    .group_segment_fixed_size: 120
    .kernarg_segment_align: 8
    .kernarg_segment_size: 272
    .language:       OpenCL C
    .language_version:
      - 2
      - 0
    .max_flat_workgroup_size: 30
    .name:           _Z26warp_inclusive_scan_kernelIfLj30ELj3EENSt9enable_ifIXsr10test_utilsE35device_test_enabled_for_warp_size_vIXT1_EEEvE4typeEPT_S4_
    .private_segment_fixed_size: 0
    .sgpr_count:     12
    .sgpr_spill_count: 0
    .symbol:         _Z26warp_inclusive_scan_kernelIfLj30ELj3EENSt9enable_ifIXsr10test_utilsE35device_test_enabled_for_warp_size_vIXT1_EEEvE4typeEPT_S4_.kd
    .uniform_work_group_size: 1
    .uses_dynamic_stack: false
    .vgpr_count:     7
    .vgpr_spill_count: 0
    .wavefront_size: 64
  - .args:
      - .address_space:  global
        .offset:         0
        .size:           8
        .value_kind:     global_buffer
      - .address_space:  global
        .offset:         8
        .size:           8
        .value_kind:     global_buffer
      - .offset:         16
        .size:           4
        .value_kind:     hidden_block_count_x
      - .offset:         20
        .size:           4
        .value_kind:     hidden_block_count_y
      - .offset:         24
        .size:           4
        .value_kind:     hidden_block_count_z
      - .offset:         28
        .size:           2
        .value_kind:     hidden_group_size_x
      - .offset:         30
        .size:           2
        .value_kind:     hidden_group_size_y
      - .offset:         32
        .size:           2
        .value_kind:     hidden_group_size_z
      - .offset:         34
        .size:           2
        .value_kind:     hidden_remainder_x
      - .offset:         36
        .size:           2
        .value_kind:     hidden_remainder_y
      - .offset:         38
        .size:           2
        .value_kind:     hidden_remainder_z
      - .offset:         56
        .size:           8
        .value_kind:     hidden_global_offset_x
      - .offset:         64
        .size:           8
        .value_kind:     hidden_global_offset_y
      - .offset:         72
        .size:           8
        .value_kind:     hidden_global_offset_z
      - .offset:         80
        .size:           2
        .value_kind:     hidden_grid_dims
    .group_segment_fixed_size: 252
    .kernarg_segment_align: 8
    .kernarg_segment_size: 272
    .language:       OpenCL C
    .language_version:
      - 2
      - 0
    .max_flat_workgroup_size: 63
    .name:           _Z26warp_inclusive_scan_kernelIfLj63ELj3EENSt9enable_ifIXsr10test_utilsE35device_test_enabled_for_warp_size_vIXT1_EEEvE4typeEPT_S4_
    .private_segment_fixed_size: 0
    .sgpr_count:     12
    .sgpr_spill_count: 0
    .symbol:         _Z26warp_inclusive_scan_kernelIfLj63ELj3EENSt9enable_ifIXsr10test_utilsE35device_test_enabled_for_warp_size_vIXT1_EEEvE4typeEPT_S4_.kd
    .uniform_work_group_size: 1
    .uses_dynamic_stack: false
    .vgpr_count:     7
    .vgpr_spill_count: 0
    .wavefront_size: 64
  - .args:
      - .address_space:  global
        .offset:         0
        .size:           8
        .value_kind:     global_buffer
      - .address_space:  global
        .offset:         8
        .size:           8
        .value_kind:     global_buffer
      - .offset:         16
        .size:           4
        .value_kind:     hidden_block_count_x
      - .offset:         20
        .size:           4
        .value_kind:     hidden_block_count_y
      - .offset:         24
        .size:           4
        .value_kind:     hidden_block_count_z
      - .offset:         28
        .size:           2
        .value_kind:     hidden_group_size_x
      - .offset:         30
        .size:           2
        .value_kind:     hidden_group_size_y
      - .offset:         32
        .size:           2
        .value_kind:     hidden_group_size_z
      - .offset:         34
        .size:           2
        .value_kind:     hidden_remainder_x
      - .offset:         36
        .size:           2
        .value_kind:     hidden_remainder_y
      - .offset:         38
        .size:           2
        .value_kind:     hidden_remainder_z
      - .offset:         56
        .size:           8
        .value_kind:     hidden_global_offset_x
      - .offset:         64
        .size:           8
        .value_kind:     hidden_global_offset_y
      - .offset:         72
        .size:           8
        .value_kind:     hidden_global_offset_z
      - .offset:         80
        .size:           2
        .value_kind:     hidden_grid_dims
    .group_segment_fixed_size: 244
    .kernarg_segment_align: 8
    .kernarg_segment_size: 272
    .language:       OpenCL C
    .language_version:
      - 2
      - 0
    .max_flat_workgroup_size: 1
    .name:           _Z26warp_inclusive_scan_kernelIiLj1ELj61EENSt9enable_ifIXsr10test_utilsE35device_test_enabled_for_warp_size_vIXT1_EEEvE4typeEPT_S4_
    .private_segment_fixed_size: 0
    .sgpr_count:     14
    .sgpr_spill_count: 0
    .symbol:         _Z26warp_inclusive_scan_kernelIiLj1ELj61EENSt9enable_ifIXsr10test_utilsE35device_test_enabled_for_warp_size_vIXT1_EEEvE4typeEPT_S4_.kd
    .uniform_work_group_size: 1
    .uses_dynamic_stack: false
    .vgpr_count:     3
    .vgpr_spill_count: 0
    .wavefront_size: 64
  - .args:
      - .address_space:  global
        .offset:         0
        .size:           8
        .value_kind:     global_buffer
      - .address_space:  global
        .offset:         8
        .size:           8
        .value_kind:     global_buffer
      - .offset:         16
        .size:           4
        .value_kind:     hidden_block_count_x
      - .offset:         20
        .size:           4
        .value_kind:     hidden_block_count_y
      - .offset:         24
        .size:           4
        .value_kind:     hidden_block_count_z
      - .offset:         28
        .size:           2
        .value_kind:     hidden_group_size_x
      - .offset:         30
        .size:           2
        .value_kind:     hidden_group_size_y
      - .offset:         32
        .size:           2
        .value_kind:     hidden_group_size_z
      - .offset:         34
        .size:           2
        .value_kind:     hidden_remainder_x
      - .offset:         36
        .size:           2
        .value_kind:     hidden_remainder_y
      - .offset:         38
        .size:           2
        .value_kind:     hidden_remainder_z
      - .offset:         56
        .size:           8
        .value_kind:     hidden_global_offset_x
      - .offset:         64
        .size:           8
        .value_kind:     hidden_global_offset_y
      - .offset:         72
        .size:           8
        .value_kind:     hidden_global_offset_z
      - .offset:         80
        .size:           2
        .value_kind:     hidden_grid_dims
    .group_segment_fixed_size: 244
    .kernarg_segment_align: 8
    .kernarg_segment_size: 272
    .language:       OpenCL C
    .language_version:
      - 2
      - 0
    .max_flat_workgroup_size: 61
    .name:           _Z26warp_inclusive_scan_kernelIiLj61ELj61EENSt9enable_ifIXsr10test_utilsE35device_test_enabled_for_warp_size_vIXT1_EEEvE4typeEPT_S4_
    .private_segment_fixed_size: 0
    .sgpr_count:     12
    .sgpr_spill_count: 0
    .symbol:         _Z26warp_inclusive_scan_kernelIiLj61ELj61EENSt9enable_ifIXsr10test_utilsE35device_test_enabled_for_warp_size_vIXT1_EEEvE4typeEPT_S4_.kd
    .uniform_work_group_size: 1
    .uses_dynamic_stack: false
    .vgpr_count:     6
    .vgpr_spill_count: 0
    .wavefront_size: 64
  - .args:
      - .address_space:  global
        .offset:         0
        .size:           8
        .value_kind:     global_buffer
      - .address_space:  global
        .offset:         8
        .size:           8
        .value_kind:     global_buffer
      - .offset:         16
        .size:           4
        .value_kind:     hidden_block_count_x
      - .offset:         20
        .size:           4
        .value_kind:     hidden_block_count_y
      - .offset:         24
        .size:           4
        .value_kind:     hidden_block_count_z
      - .offset:         28
        .size:           2
        .value_kind:     hidden_group_size_x
      - .offset:         30
        .size:           2
        .value_kind:     hidden_group_size_y
      - .offset:         32
        .size:           2
        .value_kind:     hidden_group_size_z
      - .offset:         34
        .size:           2
        .value_kind:     hidden_remainder_x
      - .offset:         36
        .size:           2
        .value_kind:     hidden_remainder_y
      - .offset:         38
        .size:           2
        .value_kind:     hidden_remainder_z
      - .offset:         56
        .size:           8
        .value_kind:     hidden_global_offset_x
      - .offset:         64
        .size:           8
        .value_kind:     hidden_global_offset_y
      - .offset:         72
        .size:           8
        .value_kind:     hidden_global_offset_z
      - .offset:         80
        .size:           2
        .value_kind:     hidden_grid_dims
    .group_segment_fixed_size: 148
    .kernarg_segment_align: 8
    .kernarg_segment_size: 272
    .language:       OpenCL C
    .language_version:
      - 2
      - 0
    .max_flat_workgroup_size: 1
    .name:           _Z26warp_inclusive_scan_kernelIiLj1ELj37EENSt9enable_ifIXsr10test_utilsE35device_test_enabled_for_warp_size_vIXT1_EEEvE4typeEPT_S4_
    .private_segment_fixed_size: 0
    .sgpr_count:     14
    .sgpr_spill_count: 0
    .symbol:         _Z26warp_inclusive_scan_kernelIiLj1ELj37EENSt9enable_ifIXsr10test_utilsE35device_test_enabled_for_warp_size_vIXT1_EEEvE4typeEPT_S4_.kd
    .uniform_work_group_size: 1
    .uses_dynamic_stack: false
    .vgpr_count:     3
    .vgpr_spill_count: 0
    .wavefront_size: 64
  - .args:
      - .address_space:  global
        .offset:         0
        .size:           8
        .value_kind:     global_buffer
      - .address_space:  global
        .offset:         8
        .size:           8
        .value_kind:     global_buffer
      - .offset:         16
        .size:           4
        .value_kind:     hidden_block_count_x
      - .offset:         20
        .size:           4
        .value_kind:     hidden_block_count_y
      - .offset:         24
        .size:           4
        .value_kind:     hidden_block_count_z
      - .offset:         28
        .size:           2
        .value_kind:     hidden_group_size_x
      - .offset:         30
        .size:           2
        .value_kind:     hidden_group_size_y
      - .offset:         32
        .size:           2
        .value_kind:     hidden_group_size_z
      - .offset:         34
        .size:           2
        .value_kind:     hidden_remainder_x
      - .offset:         36
        .size:           2
        .value_kind:     hidden_remainder_y
      - .offset:         38
        .size:           2
        .value_kind:     hidden_remainder_z
      - .offset:         56
        .size:           8
        .value_kind:     hidden_global_offset_x
      - .offset:         64
        .size:           8
        .value_kind:     hidden_global_offset_y
      - .offset:         72
        .size:           8
        .value_kind:     hidden_global_offset_z
      - .offset:         80
        .size:           2
        .value_kind:     hidden_grid_dims
    .group_segment_fixed_size: 148
    .kernarg_segment_align: 8
    .kernarg_segment_size: 272
    .language:       OpenCL C
    .language_version:
      - 2
      - 0
    .max_flat_workgroup_size: 37
    .name:           _Z26warp_inclusive_scan_kernelIiLj37ELj37EENSt9enable_ifIXsr10test_utilsE35device_test_enabled_for_warp_size_vIXT1_EEEvE4typeEPT_S4_
    .private_segment_fixed_size: 0
    .sgpr_count:     12
    .sgpr_spill_count: 0
    .symbol:         _Z26warp_inclusive_scan_kernelIiLj37ELj37EENSt9enable_ifIXsr10test_utilsE35device_test_enabled_for_warp_size_vIXT1_EEEvE4typeEPT_S4_.kd
    .uniform_work_group_size: 1
    .uses_dynamic_stack: false
    .vgpr_count:     6
    .vgpr_spill_count: 0
    .wavefront_size: 64
  - .args:
      - .address_space:  global
        .offset:         0
        .size:           8
        .value_kind:     global_buffer
      - .address_space:  global
        .offset:         8
        .size:           8
        .value_kind:     global_buffer
      - .offset:         16
        .size:           4
        .value_kind:     hidden_block_count_x
      - .offset:         20
        .size:           4
        .value_kind:     hidden_block_count_y
      - .offset:         24
        .size:           4
        .value_kind:     hidden_block_count_z
      - .offset:         28
        .size:           2
        .value_kind:     hidden_group_size_x
      - .offset:         30
        .size:           2
        .value_kind:     hidden_group_size_y
      - .offset:         32
        .size:           2
        .value_kind:     hidden_group_size_z
      - .offset:         34
        .size:           2
        .value_kind:     hidden_remainder_x
      - .offset:         36
        .size:           2
        .value_kind:     hidden_remainder_y
      - .offset:         38
        .size:           2
        .value_kind:     hidden_remainder_z
      - .offset:         56
        .size:           8
        .value_kind:     hidden_global_offset_x
      - .offset:         64
        .size:           8
        .value_kind:     hidden_global_offset_y
      - .offset:         72
        .size:           8
        .value_kind:     hidden_global_offset_z
      - .offset:         80
        .size:           2
        .value_kind:     hidden_grid_dims
    .group_segment_fixed_size: 120
    .kernarg_segment_align: 8
    .kernarg_segment_size: 272
    .language:       OpenCL C
    .language_version:
      - 2
      - 0
    .max_flat_workgroup_size: 30
    .name:           _Z26warp_inclusive_scan_kernelIiLj30ELj15EENSt9enable_ifIXsr10test_utilsE35device_test_enabled_for_warp_size_vIXT1_EEEvE4typeEPT_S4_
    .private_segment_fixed_size: 0
    .sgpr_count:     12
    .sgpr_spill_count: 0
    .symbol:         _Z26warp_inclusive_scan_kernelIiLj30ELj15EENSt9enable_ifIXsr10test_utilsE35device_test_enabled_for_warp_size_vIXT1_EEEvE4typeEPT_S4_.kd
    .uniform_work_group_size: 1
    .uses_dynamic_stack: false
    .vgpr_count:     6
    .vgpr_spill_count: 0
    .wavefront_size: 64
  - .args:
      - .address_space:  global
        .offset:         0
        .size:           8
        .value_kind:     global_buffer
      - .address_space:  global
        .offset:         8
        .size:           8
        .value_kind:     global_buffer
      - .offset:         16
        .size:           4
        .value_kind:     hidden_block_count_x
      - .offset:         20
        .size:           4
        .value_kind:     hidden_block_count_y
      - .offset:         24
        .size:           4
        .value_kind:     hidden_block_count_z
      - .offset:         28
        .size:           2
        .value_kind:     hidden_group_size_x
      - .offset:         30
        .size:           2
        .value_kind:     hidden_group_size_y
      - .offset:         32
        .size:           2
        .value_kind:     hidden_group_size_z
      - .offset:         34
        .size:           2
        .value_kind:     hidden_remainder_x
      - .offset:         36
        .size:           2
        .value_kind:     hidden_remainder_y
      - .offset:         38
        .size:           2
        .value_kind:     hidden_remainder_z
      - .offset:         56
        .size:           8
        .value_kind:     hidden_global_offset_x
      - .offset:         64
        .size:           8
        .value_kind:     hidden_global_offset_y
      - .offset:         72
        .size:           8
        .value_kind:     hidden_global_offset_z
      - .offset:         80
        .size:           2
        .value_kind:     hidden_grid_dims
    .group_segment_fixed_size: 240
    .kernarg_segment_align: 8
    .kernarg_segment_size: 272
    .language:       OpenCL C
    .language_version:
      - 2
      - 0
    .max_flat_workgroup_size: 60
    .name:           _Z26warp_inclusive_scan_kernelIiLj60ELj15EENSt9enable_ifIXsr10test_utilsE35device_test_enabled_for_warp_size_vIXT1_EEEvE4typeEPT_S4_
    .private_segment_fixed_size: 0
    .sgpr_count:     12
    .sgpr_spill_count: 0
    .symbol:         _Z26warp_inclusive_scan_kernelIiLj60ELj15EENSt9enable_ifIXsr10test_utilsE35device_test_enabled_for_warp_size_vIXT1_EEEvE4typeEPT_S4_.kd
    .uniform_work_group_size: 1
    .uses_dynamic_stack: false
    .vgpr_count:     6
    .vgpr_spill_count: 0
    .wavefront_size: 64
  - .args:
      - .address_space:  global
        .offset:         0
        .size:           8
        .value_kind:     global_buffer
      - .address_space:  global
        .offset:         8
        .size:           8
        .value_kind:     global_buffer
      - .offset:         16
        .size:           4
        .value_kind:     hidden_block_count_x
      - .offset:         20
        .size:           4
        .value_kind:     hidden_block_count_y
      - .offset:         24
        .size:           4
        .value_kind:     hidden_block_count_z
      - .offset:         28
        .size:           2
        .value_kind:     hidden_group_size_x
      - .offset:         30
        .size:           2
        .value_kind:     hidden_group_size_y
      - .offset:         32
        .size:           2
        .value_kind:     hidden_group_size_z
      - .offset:         34
        .size:           2
        .value_kind:     hidden_remainder_x
      - .offset:         36
        .size:           2
        .value_kind:     hidden_remainder_y
      - .offset:         38
        .size:           2
        .value_kind:     hidden_remainder_z
      - .offset:         56
        .size:           8
        .value_kind:     hidden_global_offset_x
      - .offset:         64
        .size:           8
        .value_kind:     hidden_global_offset_y
      - .offset:         72
        .size:           8
        .value_kind:     hidden_global_offset_z
      - .offset:         80
        .size:           2
        .value_kind:     hidden_grid_dims
    .group_segment_fixed_size: 112
    .kernarg_segment_align: 8
    .kernarg_segment_size: 272
    .language:       OpenCL C
    .language_version:
      - 2
      - 0
    .max_flat_workgroup_size: 28
    .name:           _Z26warp_inclusive_scan_kernelIiLj28ELj7EENSt9enable_ifIXsr10test_utilsE35device_test_enabled_for_warp_size_vIXT1_EEEvE4typeEPT_S4_
    .private_segment_fixed_size: 0
    .sgpr_count:     12
    .sgpr_spill_count: 0
    .symbol:         _Z26warp_inclusive_scan_kernelIiLj28ELj7EENSt9enable_ifIXsr10test_utilsE35device_test_enabled_for_warp_size_vIXT1_EEEvE4typeEPT_S4_.kd
    .uniform_work_group_size: 1
    .uses_dynamic_stack: false
    .vgpr_count:     6
    .vgpr_spill_count: 0
    .wavefront_size: 64
  - .args:
      - .address_space:  global
        .offset:         0
        .size:           8
        .value_kind:     global_buffer
      - .address_space:  global
        .offset:         8
        .size:           8
        .value_kind:     global_buffer
      - .offset:         16
        .size:           4
        .value_kind:     hidden_block_count_x
      - .offset:         20
        .size:           4
        .value_kind:     hidden_block_count_y
      - .offset:         24
        .size:           4
        .value_kind:     hidden_block_count_z
      - .offset:         28
        .size:           2
        .value_kind:     hidden_group_size_x
      - .offset:         30
        .size:           2
        .value_kind:     hidden_group_size_y
      - .offset:         32
        .size:           2
        .value_kind:     hidden_group_size_z
      - .offset:         34
        .size:           2
        .value_kind:     hidden_remainder_x
      - .offset:         36
        .size:           2
        .value_kind:     hidden_remainder_y
      - .offset:         38
        .size:           2
        .value_kind:     hidden_remainder_z
      - .offset:         56
        .size:           8
        .value_kind:     hidden_global_offset_x
      - .offset:         64
        .size:           8
        .value_kind:     hidden_global_offset_y
      - .offset:         72
        .size:           8
        .value_kind:     hidden_global_offset_z
      - .offset:         80
        .size:           2
        .value_kind:     hidden_grid_dims
    .group_segment_fixed_size: 252
    .kernarg_segment_align: 8
    .kernarg_segment_size: 272
    .language:       OpenCL C
    .language_version:
      - 2
      - 0
    .max_flat_workgroup_size: 63
    .name:           _Z26warp_inclusive_scan_kernelIiLj63ELj7EENSt9enable_ifIXsr10test_utilsE35device_test_enabled_for_warp_size_vIXT1_EEEvE4typeEPT_S4_
    .private_segment_fixed_size: 0
    .sgpr_count:     12
    .sgpr_spill_count: 0
    .symbol:         _Z26warp_inclusive_scan_kernelIiLj63ELj7EENSt9enable_ifIXsr10test_utilsE35device_test_enabled_for_warp_size_vIXT1_EEEvE4typeEPT_S4_.kd
    .uniform_work_group_size: 1
    .uses_dynamic_stack: false
    .vgpr_count:     6
    .vgpr_spill_count: 0
    .wavefront_size: 64
  - .args:
      - .address_space:  global
        .offset:         0
        .size:           8
        .value_kind:     global_buffer
      - .address_space:  global
        .offset:         8
        .size:           8
        .value_kind:     global_buffer
      - .offset:         16
        .size:           4
        .value_kind:     hidden_block_count_x
      - .offset:         20
        .size:           4
        .value_kind:     hidden_block_count_y
      - .offset:         24
        .size:           4
        .value_kind:     hidden_block_count_z
      - .offset:         28
        .size:           2
        .value_kind:     hidden_group_size_x
      - .offset:         30
        .size:           2
        .value_kind:     hidden_group_size_y
      - .offset:         32
        .size:           2
        .value_kind:     hidden_group_size_z
      - .offset:         34
        .size:           2
        .value_kind:     hidden_remainder_x
      - .offset:         36
        .size:           2
        .value_kind:     hidden_remainder_y
      - .offset:         38
        .size:           2
        .value_kind:     hidden_remainder_z
      - .offset:         56
        .size:           8
        .value_kind:     hidden_global_offset_x
      - .offset:         64
        .size:           8
        .value_kind:     hidden_global_offset_y
      - .offset:         72
        .size:           8
        .value_kind:     hidden_global_offset_z
      - .offset:         80
        .size:           2
        .value_kind:     hidden_grid_dims
    .group_segment_fixed_size: 120
    .kernarg_segment_align: 8
    .kernarg_segment_size: 272
    .language:       OpenCL C
    .language_version:
      - 2
      - 0
    .max_flat_workgroup_size: 30
    .name:           _Z26warp_inclusive_scan_kernelIiLj30ELj3EENSt9enable_ifIXsr10test_utilsE35device_test_enabled_for_warp_size_vIXT1_EEEvE4typeEPT_S4_
    .private_segment_fixed_size: 0
    .sgpr_count:     12
    .sgpr_spill_count: 0
    .symbol:         _Z26warp_inclusive_scan_kernelIiLj30ELj3EENSt9enable_ifIXsr10test_utilsE35device_test_enabled_for_warp_size_vIXT1_EEEvE4typeEPT_S4_.kd
    .uniform_work_group_size: 1
    .uses_dynamic_stack: false
    .vgpr_count:     7
    .vgpr_spill_count: 0
    .wavefront_size: 64
  - .args:
      - .address_space:  global
        .offset:         0
        .size:           8
        .value_kind:     global_buffer
      - .address_space:  global
        .offset:         8
        .size:           8
        .value_kind:     global_buffer
      - .offset:         16
        .size:           4
        .value_kind:     hidden_block_count_x
      - .offset:         20
        .size:           4
        .value_kind:     hidden_block_count_y
      - .offset:         24
        .size:           4
        .value_kind:     hidden_block_count_z
      - .offset:         28
        .size:           2
        .value_kind:     hidden_group_size_x
      - .offset:         30
        .size:           2
        .value_kind:     hidden_group_size_y
      - .offset:         32
        .size:           2
        .value_kind:     hidden_group_size_z
      - .offset:         34
        .size:           2
        .value_kind:     hidden_remainder_x
      - .offset:         36
        .size:           2
        .value_kind:     hidden_remainder_y
      - .offset:         38
        .size:           2
        .value_kind:     hidden_remainder_z
      - .offset:         56
        .size:           8
        .value_kind:     hidden_global_offset_x
      - .offset:         64
        .size:           8
        .value_kind:     hidden_global_offset_y
      - .offset:         72
        .size:           8
        .value_kind:     hidden_global_offset_z
      - .offset:         80
        .size:           2
        .value_kind:     hidden_grid_dims
    .group_segment_fixed_size: 252
    .kernarg_segment_align: 8
    .kernarg_segment_size: 272
    .language:       OpenCL C
    .language_version:
      - 2
      - 0
    .max_flat_workgroup_size: 63
    .name:           _Z26warp_inclusive_scan_kernelIiLj63ELj3EENSt9enable_ifIXsr10test_utilsE35device_test_enabled_for_warp_size_vIXT1_EEEvE4typeEPT_S4_
    .private_segment_fixed_size: 0
    .sgpr_count:     12
    .sgpr_spill_count: 0
    .symbol:         _Z26warp_inclusive_scan_kernelIiLj63ELj3EENSt9enable_ifIXsr10test_utilsE35device_test_enabled_for_warp_size_vIXT1_EEEvE4typeEPT_S4_.kd
    .uniform_work_group_size: 1
    .uses_dynamic_stack: false
    .vgpr_count:     7
    .vgpr_spill_count: 0
    .wavefront_size: 64
  - .args:
      - .address_space:  global
        .offset:         0
        .size:           8
        .value_kind:     global_buffer
      - .address_space:  global
        .offset:         8
        .size:           8
        .value_kind:     global_buffer
      - .offset:         16
        .size:           4
        .value_kind:     hidden_block_count_x
      - .offset:         20
        .size:           4
        .value_kind:     hidden_block_count_y
      - .offset:         24
        .size:           4
        .value_kind:     hidden_block_count_z
      - .offset:         28
        .size:           2
        .value_kind:     hidden_group_size_x
      - .offset:         30
        .size:           2
        .value_kind:     hidden_group_size_y
      - .offset:         32
        .size:           2
        .value_kind:     hidden_group_size_z
      - .offset:         34
        .size:           2
        .value_kind:     hidden_remainder_x
      - .offset:         36
        .size:           2
        .value_kind:     hidden_remainder_y
      - .offset:         38
        .size:           2
        .value_kind:     hidden_remainder_z
      - .offset:         56
        .size:           8
        .value_kind:     hidden_global_offset_x
      - .offset:         64
        .size:           8
        .value_kind:     hidden_global_offset_y
      - .offset:         72
        .size:           8
        .value_kind:     hidden_global_offset_z
      - .offset:         80
        .size:           2
        .value_kind:     hidden_grid_dims
    .group_segment_fixed_size: 0
    .kernarg_segment_align: 8
    .kernarg_segment_size: 272
    .language:       OpenCL C
    .language_version:
      - 2
      - 0
    .max_flat_workgroup_size: 256
    .name:           _Z26warp_inclusive_scan_kernelI12hip_bfloat16Lj256ELj64EENSt9enable_ifIXsr10test_utilsE35device_test_enabled_for_warp_size_vIXT1_EEEvE4typeEPT_S5_
    .private_segment_fixed_size: 0
    .sgpr_count:     19
    .sgpr_spill_count: 0
    .symbol:         _Z26warp_inclusive_scan_kernelI12hip_bfloat16Lj256ELj64EENSt9enable_ifIXsr10test_utilsE35device_test_enabled_for_warp_size_vIXT1_EEEvE4typeEPT_S5_.kd
    .uniform_work_group_size: 1
    .uses_dynamic_stack: false
    .vgpr_count:     13
    .vgpr_spill_count: 0
    .wavefront_size: 64
  - .args:
      - .address_space:  global
        .offset:         0
        .size:           8
        .value_kind:     global_buffer
      - .address_space:  global
        .offset:         8
        .size:           8
        .value_kind:     global_buffer
      - .offset:         16
        .size:           4
        .value_kind:     hidden_block_count_x
      - .offset:         20
        .size:           4
        .value_kind:     hidden_block_count_y
      - .offset:         24
        .size:           4
        .value_kind:     hidden_block_count_z
      - .offset:         28
        .size:           2
        .value_kind:     hidden_group_size_x
      - .offset:         30
        .size:           2
        .value_kind:     hidden_group_size_y
      - .offset:         32
        .size:           2
        .value_kind:     hidden_group_size_z
      - .offset:         34
        .size:           2
        .value_kind:     hidden_remainder_x
      - .offset:         36
        .size:           2
        .value_kind:     hidden_remainder_y
      - .offset:         38
        .size:           2
        .value_kind:     hidden_remainder_z
      - .offset:         56
        .size:           8
        .value_kind:     hidden_global_offset_x
      - .offset:         64
        .size:           8
        .value_kind:     hidden_global_offset_y
      - .offset:         72
        .size:           8
        .value_kind:     hidden_global_offset_z
      - .offset:         80
        .size:           2
        .value_kind:     hidden_grid_dims
    .group_segment_fixed_size: 0
    .kernarg_segment_align: 8
    .kernarg_segment_size: 272
    .language:       OpenCL C
    .language_version:
      - 2
      - 0
    .max_flat_workgroup_size: 128
    .name:           _Z26warp_inclusive_scan_kernelI12hip_bfloat16Lj128ELj32EENSt9enable_ifIXsr10test_utilsE35device_test_enabled_for_warp_size_vIXT1_EEEvE4typeEPT_S5_
    .private_segment_fixed_size: 0
    .sgpr_count:     17
    .sgpr_spill_count: 0
    .symbol:         _Z26warp_inclusive_scan_kernelI12hip_bfloat16Lj128ELj32EENSt9enable_ifIXsr10test_utilsE35device_test_enabled_for_warp_size_vIXT1_EEEvE4typeEPT_S5_.kd
    .uniform_work_group_size: 1
    .uses_dynamic_stack: false
    .vgpr_count:     13
    .vgpr_spill_count: 0
    .wavefront_size: 64
  - .args:
      - .address_space:  global
        .offset:         0
        .size:           8
        .value_kind:     global_buffer
      - .address_space:  global
        .offset:         8
        .size:           8
        .value_kind:     global_buffer
      - .offset:         16
        .size:           4
        .value_kind:     hidden_block_count_x
      - .offset:         20
        .size:           4
        .value_kind:     hidden_block_count_y
      - .offset:         24
        .size:           4
        .value_kind:     hidden_block_count_z
      - .offset:         28
        .size:           2
        .value_kind:     hidden_group_size_x
      - .offset:         30
        .size:           2
        .value_kind:     hidden_group_size_y
      - .offset:         32
        .size:           2
        .value_kind:     hidden_group_size_z
      - .offset:         34
        .size:           2
        .value_kind:     hidden_remainder_x
      - .offset:         36
        .size:           2
        .value_kind:     hidden_remainder_y
      - .offset:         38
        .size:           2
        .value_kind:     hidden_remainder_z
      - .offset:         56
        .size:           8
        .value_kind:     hidden_global_offset_x
      - .offset:         64
        .size:           8
        .value_kind:     hidden_global_offset_y
      - .offset:         72
        .size:           8
        .value_kind:     hidden_global_offset_z
      - .offset:         80
        .size:           2
        .value_kind:     hidden_grid_dims
    .group_segment_fixed_size: 0
    .kernarg_segment_align: 8
    .kernarg_segment_size: 272
    .language:       OpenCL C
    .language_version:
      - 2
      - 0
    .max_flat_workgroup_size: 64
    .name:           _Z26warp_inclusive_scan_kernelI12hip_bfloat16Lj64ELj16EENSt9enable_ifIXsr10test_utilsE35device_test_enabled_for_warp_size_vIXT1_EEEvE4typeEPT_S5_
    .private_segment_fixed_size: 0
    .sgpr_count:     16
    .sgpr_spill_count: 0
    .symbol:         _Z26warp_inclusive_scan_kernelI12hip_bfloat16Lj64ELj16EENSt9enable_ifIXsr10test_utilsE35device_test_enabled_for_warp_size_vIXT1_EEEvE4typeEPT_S5_.kd
    .uniform_work_group_size: 1
    .uses_dynamic_stack: false
    .vgpr_count:     11
    .vgpr_spill_count: 0
    .wavefront_size: 64
  - .args:
      - .address_space:  global
        .offset:         0
        .size:           8
        .value_kind:     global_buffer
      - .address_space:  global
        .offset:         8
        .size:           8
        .value_kind:     global_buffer
      - .offset:         16
        .size:           4
        .value_kind:     hidden_block_count_x
      - .offset:         20
        .size:           4
        .value_kind:     hidden_block_count_y
      - .offset:         24
        .size:           4
        .value_kind:     hidden_block_count_z
      - .offset:         28
        .size:           2
        .value_kind:     hidden_group_size_x
      - .offset:         30
        .size:           2
        .value_kind:     hidden_group_size_y
      - .offset:         32
        .size:           2
        .value_kind:     hidden_group_size_z
      - .offset:         34
        .size:           2
        .value_kind:     hidden_remainder_x
      - .offset:         36
        .size:           2
        .value_kind:     hidden_remainder_y
      - .offset:         38
        .size:           2
        .value_kind:     hidden_remainder_z
      - .offset:         56
        .size:           8
        .value_kind:     hidden_global_offset_x
      - .offset:         64
        .size:           8
        .value_kind:     hidden_global_offset_y
      - .offset:         72
        .size:           8
        .value_kind:     hidden_global_offset_z
      - .offset:         80
        .size:           2
        .value_kind:     hidden_grid_dims
    .group_segment_fixed_size: 0
    .kernarg_segment_align: 8
    .kernarg_segment_size: 272
    .language:       OpenCL C
    .language_version:
      - 2
      - 0
    .max_flat_workgroup_size: 32
    .name:           _Z26warp_inclusive_scan_kernelI12hip_bfloat16Lj32ELj8EENSt9enable_ifIXsr10test_utilsE35device_test_enabled_for_warp_size_vIXT1_EEEvE4typeEPT_S5_
    .private_segment_fixed_size: 0
    .sgpr_count:     16
    .sgpr_spill_count: 0
    .symbol:         _Z26warp_inclusive_scan_kernelI12hip_bfloat16Lj32ELj8EENSt9enable_ifIXsr10test_utilsE35device_test_enabled_for_warp_size_vIXT1_EEEvE4typeEPT_S5_.kd
    .uniform_work_group_size: 1
    .uses_dynamic_stack: false
    .vgpr_count:     10
    .vgpr_spill_count: 0
    .wavefront_size: 64
  - .args:
      - .address_space:  global
        .offset:         0
        .size:           8
        .value_kind:     global_buffer
      - .address_space:  global
        .offset:         8
        .size:           8
        .value_kind:     global_buffer
      - .offset:         16
        .size:           4
        .value_kind:     hidden_block_count_x
      - .offset:         20
        .size:           4
        .value_kind:     hidden_block_count_y
      - .offset:         24
        .size:           4
        .value_kind:     hidden_block_count_z
      - .offset:         28
        .size:           2
        .value_kind:     hidden_group_size_x
      - .offset:         30
        .size:           2
        .value_kind:     hidden_group_size_y
      - .offset:         32
        .size:           2
        .value_kind:     hidden_group_size_z
      - .offset:         34
        .size:           2
        .value_kind:     hidden_remainder_x
      - .offset:         36
        .size:           2
        .value_kind:     hidden_remainder_y
      - .offset:         38
        .size:           2
        .value_kind:     hidden_remainder_z
      - .offset:         56
        .size:           8
        .value_kind:     hidden_global_offset_x
      - .offset:         64
        .size:           8
        .value_kind:     hidden_global_offset_y
      - .offset:         72
        .size:           8
        .value_kind:     hidden_global_offset_z
      - .offset:         80
        .size:           2
        .value_kind:     hidden_grid_dims
    .group_segment_fixed_size: 0
    .kernarg_segment_align: 8
    .kernarg_segment_size: 272
    .language:       OpenCL C
    .language_version:
      - 2
      - 0
    .max_flat_workgroup_size: 64
    .name:           _Z26warp_inclusive_scan_kernelI12hip_bfloat16Lj64ELj8EENSt9enable_ifIXsr10test_utilsE35device_test_enabled_for_warp_size_vIXT1_EEEvE4typeEPT_S5_
    .private_segment_fixed_size: 0
    .sgpr_count:     16
    .sgpr_spill_count: 0
    .symbol:         _Z26warp_inclusive_scan_kernelI12hip_bfloat16Lj64ELj8EENSt9enable_ifIXsr10test_utilsE35device_test_enabled_for_warp_size_vIXT1_EEEvE4typeEPT_S5_.kd
    .uniform_work_group_size: 1
    .uses_dynamic_stack: false
    .vgpr_count:     10
    .vgpr_spill_count: 0
    .wavefront_size: 64
  - .args:
      - .address_space:  global
        .offset:         0
        .size:           8
        .value_kind:     global_buffer
      - .address_space:  global
        .offset:         8
        .size:           8
        .value_kind:     global_buffer
      - .offset:         16
        .size:           4
        .value_kind:     hidden_block_count_x
      - .offset:         20
        .size:           4
        .value_kind:     hidden_block_count_y
      - .offset:         24
        .size:           4
        .value_kind:     hidden_block_count_z
      - .offset:         28
        .size:           2
        .value_kind:     hidden_group_size_x
      - .offset:         30
        .size:           2
        .value_kind:     hidden_group_size_y
      - .offset:         32
        .size:           2
        .value_kind:     hidden_group_size_z
      - .offset:         34
        .size:           2
        .value_kind:     hidden_remainder_x
      - .offset:         36
        .size:           2
        .value_kind:     hidden_remainder_y
      - .offset:         38
        .size:           2
        .value_kind:     hidden_remainder_z
      - .offset:         56
        .size:           8
        .value_kind:     hidden_global_offset_x
      - .offset:         64
        .size:           8
        .value_kind:     hidden_global_offset_y
      - .offset:         72
        .size:           8
        .value_kind:     hidden_global_offset_z
      - .offset:         80
        .size:           2
        .value_kind:     hidden_grid_dims
    .group_segment_fixed_size: 0
    .kernarg_segment_align: 8
    .kernarg_segment_size: 272
    .language:       OpenCL C
    .language_version:
      - 2
      - 0
    .max_flat_workgroup_size: 32
    .name:           _Z26warp_inclusive_scan_kernelI12hip_bfloat16Lj32ELj4EENSt9enable_ifIXsr10test_utilsE35device_test_enabled_for_warp_size_vIXT1_EEEvE4typeEPT_S5_
    .private_segment_fixed_size: 0
    .sgpr_count:     12
    .sgpr_spill_count: 0
    .symbol:         _Z26warp_inclusive_scan_kernelI12hip_bfloat16Lj32ELj4EENSt9enable_ifIXsr10test_utilsE35device_test_enabled_for_warp_size_vIXT1_EEEvE4typeEPT_S5_.kd
    .uniform_work_group_size: 1
    .uses_dynamic_stack: false
    .vgpr_count:     8
    .vgpr_spill_count: 0
    .wavefront_size: 64
  - .args:
      - .address_space:  global
        .offset:         0
        .size:           8
        .value_kind:     global_buffer
      - .address_space:  global
        .offset:         8
        .size:           8
        .value_kind:     global_buffer
      - .offset:         16
        .size:           4
        .value_kind:     hidden_block_count_x
      - .offset:         20
        .size:           4
        .value_kind:     hidden_block_count_y
      - .offset:         24
        .size:           4
        .value_kind:     hidden_block_count_z
      - .offset:         28
        .size:           2
        .value_kind:     hidden_group_size_x
      - .offset:         30
        .size:           2
        .value_kind:     hidden_group_size_y
      - .offset:         32
        .size:           2
        .value_kind:     hidden_group_size_z
      - .offset:         34
        .size:           2
        .value_kind:     hidden_remainder_x
      - .offset:         36
        .size:           2
        .value_kind:     hidden_remainder_y
      - .offset:         38
        .size:           2
        .value_kind:     hidden_remainder_z
      - .offset:         56
        .size:           8
        .value_kind:     hidden_global_offset_x
      - .offset:         64
        .size:           8
        .value_kind:     hidden_global_offset_y
      - .offset:         72
        .size:           8
        .value_kind:     hidden_global_offset_z
      - .offset:         80
        .size:           2
        .value_kind:     hidden_grid_dims
    .group_segment_fixed_size: 0
    .kernarg_segment_align: 8
    .kernarg_segment_size: 272
    .language:       OpenCL C
    .language_version:
      - 2
      - 0
    .max_flat_workgroup_size: 64
    .name:           _Z26warp_inclusive_scan_kernelI12hip_bfloat16Lj64ELj4EENSt9enable_ifIXsr10test_utilsE35device_test_enabled_for_warp_size_vIXT1_EEEvE4typeEPT_S5_
    .private_segment_fixed_size: 0
    .sgpr_count:     12
    .sgpr_spill_count: 0
    .symbol:         _Z26warp_inclusive_scan_kernelI12hip_bfloat16Lj64ELj4EENSt9enable_ifIXsr10test_utilsE35device_test_enabled_for_warp_size_vIXT1_EEEvE4typeEPT_S5_.kd
    .uniform_work_group_size: 1
    .uses_dynamic_stack: false
    .vgpr_count:     8
    .vgpr_spill_count: 0
    .wavefront_size: 64
  - .args:
      - .address_space:  global
        .offset:         0
        .size:           8
        .value_kind:     global_buffer
      - .address_space:  global
        .offset:         8
        .size:           8
        .value_kind:     global_buffer
      - .offset:         16
        .size:           4
        .value_kind:     hidden_block_count_x
      - .offset:         20
        .size:           4
        .value_kind:     hidden_block_count_y
      - .offset:         24
        .size:           4
        .value_kind:     hidden_block_count_z
      - .offset:         28
        .size:           2
        .value_kind:     hidden_group_size_x
      - .offset:         30
        .size:           2
        .value_kind:     hidden_group_size_y
      - .offset:         32
        .size:           2
        .value_kind:     hidden_group_size_z
      - .offset:         34
        .size:           2
        .value_kind:     hidden_remainder_x
      - .offset:         36
        .size:           2
        .value_kind:     hidden_remainder_y
      - .offset:         38
        .size:           2
        .value_kind:     hidden_remainder_z
      - .offset:         56
        .size:           8
        .value_kind:     hidden_global_offset_x
      - .offset:         64
        .size:           8
        .value_kind:     hidden_global_offset_y
      - .offset:         72
        .size:           8
        .value_kind:     hidden_global_offset_z
      - .offset:         80
        .size:           2
        .value_kind:     hidden_grid_dims
    .group_segment_fixed_size: 0
    .kernarg_segment_align: 8
    .kernarg_segment_size: 272
    .language:       OpenCL C
    .language_version:
      - 2
      - 0
    .max_flat_workgroup_size: 32
    .name:           _Z26warp_inclusive_scan_kernelI12hip_bfloat16Lj32ELj2EENSt9enable_ifIXsr10test_utilsE35device_test_enabled_for_warp_size_vIXT1_EEEvE4typeEPT_S5_
    .private_segment_fixed_size: 0
    .sgpr_count:     12
    .sgpr_spill_count: 0
    .symbol:         _Z26warp_inclusive_scan_kernelI12hip_bfloat16Lj32ELj2EENSt9enable_ifIXsr10test_utilsE35device_test_enabled_for_warp_size_vIXT1_EEEvE4typeEPT_S5_.kd
    .uniform_work_group_size: 1
    .uses_dynamic_stack: false
    .vgpr_count:     6
    .vgpr_spill_count: 0
    .wavefront_size: 64
  - .args:
      - .address_space:  global
        .offset:         0
        .size:           8
        .value_kind:     global_buffer
      - .address_space:  global
        .offset:         8
        .size:           8
        .value_kind:     global_buffer
      - .offset:         16
        .size:           4
        .value_kind:     hidden_block_count_x
      - .offset:         20
        .size:           4
        .value_kind:     hidden_block_count_y
      - .offset:         24
        .size:           4
        .value_kind:     hidden_block_count_z
      - .offset:         28
        .size:           2
        .value_kind:     hidden_group_size_x
      - .offset:         30
        .size:           2
        .value_kind:     hidden_group_size_y
      - .offset:         32
        .size:           2
        .value_kind:     hidden_group_size_z
      - .offset:         34
        .size:           2
        .value_kind:     hidden_remainder_x
      - .offset:         36
        .size:           2
        .value_kind:     hidden_remainder_y
      - .offset:         38
        .size:           2
        .value_kind:     hidden_remainder_z
      - .offset:         56
        .size:           8
        .value_kind:     hidden_global_offset_x
      - .offset:         64
        .size:           8
        .value_kind:     hidden_global_offset_y
      - .offset:         72
        .size:           8
        .value_kind:     hidden_global_offset_z
      - .offset:         80
        .size:           2
        .value_kind:     hidden_grid_dims
    .group_segment_fixed_size: 0
    .kernarg_segment_align: 8
    .kernarg_segment_size: 272
    .language:       OpenCL C
    .language_version:
      - 2
      - 0
    .max_flat_workgroup_size: 64
    .name:           _Z26warp_inclusive_scan_kernelI12hip_bfloat16Lj64ELj2EENSt9enable_ifIXsr10test_utilsE35device_test_enabled_for_warp_size_vIXT1_EEEvE4typeEPT_S5_
    .private_segment_fixed_size: 0
    .sgpr_count:     12
    .sgpr_spill_count: 0
    .symbol:         _Z26warp_inclusive_scan_kernelI12hip_bfloat16Lj64ELj2EENSt9enable_ifIXsr10test_utilsE35device_test_enabled_for_warp_size_vIXT1_EEEvE4typeEPT_S5_.kd
    .uniform_work_group_size: 1
    .uses_dynamic_stack: false
    .vgpr_count:     6
    .vgpr_spill_count: 0
    .wavefront_size: 64
  - .args:
      - .address_space:  global
        .offset:         0
        .size:           8
        .value_kind:     global_buffer
      - .address_space:  global
        .offset:         8
        .size:           8
        .value_kind:     global_buffer
      - .offset:         16
        .size:           4
        .value_kind:     hidden_block_count_x
      - .offset:         20
        .size:           4
        .value_kind:     hidden_block_count_y
      - .offset:         24
        .size:           4
        .value_kind:     hidden_block_count_z
      - .offset:         28
        .size:           2
        .value_kind:     hidden_group_size_x
      - .offset:         30
        .size:           2
        .value_kind:     hidden_group_size_y
      - .offset:         32
        .size:           2
        .value_kind:     hidden_group_size_z
      - .offset:         34
        .size:           2
        .value_kind:     hidden_remainder_x
      - .offset:         36
        .size:           2
        .value_kind:     hidden_remainder_y
      - .offset:         38
        .size:           2
        .value_kind:     hidden_remainder_z
      - .offset:         56
        .size:           8
        .value_kind:     hidden_global_offset_x
      - .offset:         64
        .size:           8
        .value_kind:     hidden_global_offset_y
      - .offset:         72
        .size:           8
        .value_kind:     hidden_global_offset_z
      - .offset:         80
        .size:           2
        .value_kind:     hidden_grid_dims
    .group_segment_fixed_size: 0
    .kernarg_segment_align: 8
    .kernarg_segment_size: 272
    .language:       OpenCL C
    .language_version:
      - 2
      - 0
    .max_flat_workgroup_size: 256
    .name:           _Z26warp_inclusive_scan_kernelI6__halfLj256ELj64EENSt9enable_ifIXsr10test_utilsE35device_test_enabled_for_warp_size_vIXT1_EEEvE4typeEPT_S5_
    .private_segment_fixed_size: 0
    .sgpr_count:     12
    .sgpr_spill_count: 0
    .symbol:         _Z26warp_inclusive_scan_kernelI6__halfLj256ELj64EENSt9enable_ifIXsr10test_utilsE35device_test_enabled_for_warp_size_vIXT1_EEEvE4typeEPT_S5_.kd
    .uniform_work_group_size: 1
    .uses_dynamic_stack: false
    .vgpr_count:     8
    .vgpr_spill_count: 0
    .wavefront_size: 64
  - .args:
      - .address_space:  global
        .offset:         0
        .size:           8
        .value_kind:     global_buffer
      - .address_space:  global
        .offset:         8
        .size:           8
        .value_kind:     global_buffer
      - .offset:         16
        .size:           4
        .value_kind:     hidden_block_count_x
      - .offset:         20
        .size:           4
        .value_kind:     hidden_block_count_y
      - .offset:         24
        .size:           4
        .value_kind:     hidden_block_count_z
      - .offset:         28
        .size:           2
        .value_kind:     hidden_group_size_x
      - .offset:         30
        .size:           2
        .value_kind:     hidden_group_size_y
      - .offset:         32
        .size:           2
        .value_kind:     hidden_group_size_z
      - .offset:         34
        .size:           2
        .value_kind:     hidden_remainder_x
      - .offset:         36
        .size:           2
        .value_kind:     hidden_remainder_y
      - .offset:         38
        .size:           2
        .value_kind:     hidden_remainder_z
      - .offset:         56
        .size:           8
        .value_kind:     hidden_global_offset_x
      - .offset:         64
        .size:           8
        .value_kind:     hidden_global_offset_y
      - .offset:         72
        .size:           8
        .value_kind:     hidden_global_offset_z
      - .offset:         80
        .size:           2
        .value_kind:     hidden_grid_dims
    .group_segment_fixed_size: 0
    .kernarg_segment_align: 8
    .kernarg_segment_size: 272
    .language:       OpenCL C
    .language_version:
      - 2
      - 0
    .max_flat_workgroup_size: 128
    .name:           _Z26warp_inclusive_scan_kernelI6__halfLj128ELj32EENSt9enable_ifIXsr10test_utilsE35device_test_enabled_for_warp_size_vIXT1_EEEvE4typeEPT_S5_
    .private_segment_fixed_size: 0
    .sgpr_count:     12
    .sgpr_spill_count: 0
    .symbol:         _Z26warp_inclusive_scan_kernelI6__halfLj128ELj32EENSt9enable_ifIXsr10test_utilsE35device_test_enabled_for_warp_size_vIXT1_EEEvE4typeEPT_S5_.kd
    .uniform_work_group_size: 1
    .uses_dynamic_stack: false
    .vgpr_count:     7
    .vgpr_spill_count: 0
    .wavefront_size: 64
  - .args:
      - .address_space:  global
        .offset:         0
        .size:           8
        .value_kind:     global_buffer
      - .address_space:  global
        .offset:         8
        .size:           8
        .value_kind:     global_buffer
      - .offset:         16
        .size:           4
        .value_kind:     hidden_block_count_x
      - .offset:         20
        .size:           4
        .value_kind:     hidden_block_count_y
      - .offset:         24
        .size:           4
        .value_kind:     hidden_block_count_z
      - .offset:         28
        .size:           2
        .value_kind:     hidden_group_size_x
      - .offset:         30
        .size:           2
        .value_kind:     hidden_group_size_y
      - .offset:         32
        .size:           2
        .value_kind:     hidden_group_size_z
      - .offset:         34
        .size:           2
        .value_kind:     hidden_remainder_x
      - .offset:         36
        .size:           2
        .value_kind:     hidden_remainder_y
      - .offset:         38
        .size:           2
        .value_kind:     hidden_remainder_z
      - .offset:         56
        .size:           8
        .value_kind:     hidden_global_offset_x
      - .offset:         64
        .size:           8
        .value_kind:     hidden_global_offset_y
      - .offset:         72
        .size:           8
        .value_kind:     hidden_global_offset_z
      - .offset:         80
        .size:           2
        .value_kind:     hidden_grid_dims
    .group_segment_fixed_size: 0
    .kernarg_segment_align: 8
    .kernarg_segment_size: 272
    .language:       OpenCL C
    .language_version:
      - 2
      - 0
    .max_flat_workgroup_size: 64
    .name:           _Z26warp_inclusive_scan_kernelI6__halfLj64ELj16EENSt9enable_ifIXsr10test_utilsE35device_test_enabled_for_warp_size_vIXT1_EEEvE4typeEPT_S5_
    .private_segment_fixed_size: 0
    .sgpr_count:     12
    .sgpr_spill_count: 0
    .symbol:         _Z26warp_inclusive_scan_kernelI6__halfLj64ELj16EENSt9enable_ifIXsr10test_utilsE35device_test_enabled_for_warp_size_vIXT1_EEEvE4typeEPT_S5_.kd
    .uniform_work_group_size: 1
    .uses_dynamic_stack: false
    .vgpr_count:     6
    .vgpr_spill_count: 0
    .wavefront_size: 64
  - .args:
      - .address_space:  global
        .offset:         0
        .size:           8
        .value_kind:     global_buffer
      - .address_space:  global
        .offset:         8
        .size:           8
        .value_kind:     global_buffer
      - .offset:         16
        .size:           4
        .value_kind:     hidden_block_count_x
      - .offset:         20
        .size:           4
        .value_kind:     hidden_block_count_y
      - .offset:         24
        .size:           4
        .value_kind:     hidden_block_count_z
      - .offset:         28
        .size:           2
        .value_kind:     hidden_group_size_x
      - .offset:         30
        .size:           2
        .value_kind:     hidden_group_size_y
      - .offset:         32
        .size:           2
        .value_kind:     hidden_group_size_z
      - .offset:         34
        .size:           2
        .value_kind:     hidden_remainder_x
      - .offset:         36
        .size:           2
        .value_kind:     hidden_remainder_y
      - .offset:         38
        .size:           2
        .value_kind:     hidden_remainder_z
      - .offset:         56
        .size:           8
        .value_kind:     hidden_global_offset_x
      - .offset:         64
        .size:           8
        .value_kind:     hidden_global_offset_y
      - .offset:         72
        .size:           8
        .value_kind:     hidden_global_offset_z
      - .offset:         80
        .size:           2
        .value_kind:     hidden_grid_dims
    .group_segment_fixed_size: 0
    .kernarg_segment_align: 8
    .kernarg_segment_size: 272
    .language:       OpenCL C
    .language_version:
      - 2
      - 0
    .max_flat_workgroup_size: 32
    .name:           _Z26warp_inclusive_scan_kernelI6__halfLj32ELj8EENSt9enable_ifIXsr10test_utilsE35device_test_enabled_for_warp_size_vIXT1_EEEvE4typeEPT_S5_
    .private_segment_fixed_size: 0
    .sgpr_count:     12
    .sgpr_spill_count: 0
    .symbol:         _Z26warp_inclusive_scan_kernelI6__halfLj32ELj8EENSt9enable_ifIXsr10test_utilsE35device_test_enabled_for_warp_size_vIXT1_EEEvE4typeEPT_S5_.kd
    .uniform_work_group_size: 1
    .uses_dynamic_stack: false
    .vgpr_count:     6
    .vgpr_spill_count: 0
    .wavefront_size: 64
  - .args:
      - .address_space:  global
        .offset:         0
        .size:           8
        .value_kind:     global_buffer
      - .address_space:  global
        .offset:         8
        .size:           8
        .value_kind:     global_buffer
      - .offset:         16
        .size:           4
        .value_kind:     hidden_block_count_x
      - .offset:         20
        .size:           4
        .value_kind:     hidden_block_count_y
      - .offset:         24
        .size:           4
        .value_kind:     hidden_block_count_z
      - .offset:         28
        .size:           2
        .value_kind:     hidden_group_size_x
      - .offset:         30
        .size:           2
        .value_kind:     hidden_group_size_y
      - .offset:         32
        .size:           2
        .value_kind:     hidden_group_size_z
      - .offset:         34
        .size:           2
        .value_kind:     hidden_remainder_x
      - .offset:         36
        .size:           2
        .value_kind:     hidden_remainder_y
      - .offset:         38
        .size:           2
        .value_kind:     hidden_remainder_z
      - .offset:         56
        .size:           8
        .value_kind:     hidden_global_offset_x
      - .offset:         64
        .size:           8
        .value_kind:     hidden_global_offset_y
      - .offset:         72
        .size:           8
        .value_kind:     hidden_global_offset_z
      - .offset:         80
        .size:           2
        .value_kind:     hidden_grid_dims
    .group_segment_fixed_size: 0
    .kernarg_segment_align: 8
    .kernarg_segment_size: 272
    .language:       OpenCL C
    .language_version:
      - 2
      - 0
    .max_flat_workgroup_size: 64
    .name:           _Z26warp_inclusive_scan_kernelI6__halfLj64ELj8EENSt9enable_ifIXsr10test_utilsE35device_test_enabled_for_warp_size_vIXT1_EEEvE4typeEPT_S5_
    .private_segment_fixed_size: 0
    .sgpr_count:     12
    .sgpr_spill_count: 0
    .symbol:         _Z26warp_inclusive_scan_kernelI6__halfLj64ELj8EENSt9enable_ifIXsr10test_utilsE35device_test_enabled_for_warp_size_vIXT1_EEEvE4typeEPT_S5_.kd
    .uniform_work_group_size: 1
    .uses_dynamic_stack: false
    .vgpr_count:     6
    .vgpr_spill_count: 0
    .wavefront_size: 64
  - .args:
      - .address_space:  global
        .offset:         0
        .size:           8
        .value_kind:     global_buffer
      - .address_space:  global
        .offset:         8
        .size:           8
        .value_kind:     global_buffer
      - .offset:         16
        .size:           4
        .value_kind:     hidden_block_count_x
      - .offset:         20
        .size:           4
        .value_kind:     hidden_block_count_y
      - .offset:         24
        .size:           4
        .value_kind:     hidden_block_count_z
      - .offset:         28
        .size:           2
        .value_kind:     hidden_group_size_x
      - .offset:         30
        .size:           2
        .value_kind:     hidden_group_size_y
      - .offset:         32
        .size:           2
        .value_kind:     hidden_group_size_z
      - .offset:         34
        .size:           2
        .value_kind:     hidden_remainder_x
      - .offset:         36
        .size:           2
        .value_kind:     hidden_remainder_y
      - .offset:         38
        .size:           2
        .value_kind:     hidden_remainder_z
      - .offset:         56
        .size:           8
        .value_kind:     hidden_global_offset_x
      - .offset:         64
        .size:           8
        .value_kind:     hidden_global_offset_y
      - .offset:         72
        .size:           8
        .value_kind:     hidden_global_offset_z
      - .offset:         80
        .size:           2
        .value_kind:     hidden_grid_dims
    .group_segment_fixed_size: 0
    .kernarg_segment_align: 8
    .kernarg_segment_size: 272
    .language:       OpenCL C
    .language_version:
      - 2
      - 0
    .max_flat_workgroup_size: 32
    .name:           _Z26warp_inclusive_scan_kernelI6__halfLj32ELj4EENSt9enable_ifIXsr10test_utilsE35device_test_enabled_for_warp_size_vIXT1_EEEvE4typeEPT_S5_
    .private_segment_fixed_size: 0
    .sgpr_count:     12
    .sgpr_spill_count: 0
    .symbol:         _Z26warp_inclusive_scan_kernelI6__halfLj32ELj4EENSt9enable_ifIXsr10test_utilsE35device_test_enabled_for_warp_size_vIXT1_EEEvE4typeEPT_S5_.kd
    .uniform_work_group_size: 1
    .uses_dynamic_stack: false
    .vgpr_count:     6
    .vgpr_spill_count: 0
    .wavefront_size: 64
  - .args:
      - .address_space:  global
        .offset:         0
        .size:           8
        .value_kind:     global_buffer
      - .address_space:  global
        .offset:         8
        .size:           8
        .value_kind:     global_buffer
      - .offset:         16
        .size:           4
        .value_kind:     hidden_block_count_x
      - .offset:         20
        .size:           4
        .value_kind:     hidden_block_count_y
      - .offset:         24
        .size:           4
        .value_kind:     hidden_block_count_z
      - .offset:         28
        .size:           2
        .value_kind:     hidden_group_size_x
      - .offset:         30
        .size:           2
        .value_kind:     hidden_group_size_y
      - .offset:         32
        .size:           2
        .value_kind:     hidden_group_size_z
      - .offset:         34
        .size:           2
        .value_kind:     hidden_remainder_x
      - .offset:         36
        .size:           2
        .value_kind:     hidden_remainder_y
      - .offset:         38
        .size:           2
        .value_kind:     hidden_remainder_z
      - .offset:         56
        .size:           8
        .value_kind:     hidden_global_offset_x
      - .offset:         64
        .size:           8
        .value_kind:     hidden_global_offset_y
      - .offset:         72
        .size:           8
        .value_kind:     hidden_global_offset_z
      - .offset:         80
        .size:           2
        .value_kind:     hidden_grid_dims
    .group_segment_fixed_size: 0
    .kernarg_segment_align: 8
    .kernarg_segment_size: 272
    .language:       OpenCL C
    .language_version:
      - 2
      - 0
    .max_flat_workgroup_size: 64
    .name:           _Z26warp_inclusive_scan_kernelI6__halfLj64ELj4EENSt9enable_ifIXsr10test_utilsE35device_test_enabled_for_warp_size_vIXT1_EEEvE4typeEPT_S5_
    .private_segment_fixed_size: 0
    .sgpr_count:     12
    .sgpr_spill_count: 0
    .symbol:         _Z26warp_inclusive_scan_kernelI6__halfLj64ELj4EENSt9enable_ifIXsr10test_utilsE35device_test_enabled_for_warp_size_vIXT1_EEEvE4typeEPT_S5_.kd
    .uniform_work_group_size: 1
    .uses_dynamic_stack: false
    .vgpr_count:     6
    .vgpr_spill_count: 0
    .wavefront_size: 64
  - .args:
      - .address_space:  global
        .offset:         0
        .size:           8
        .value_kind:     global_buffer
      - .address_space:  global
        .offset:         8
        .size:           8
        .value_kind:     global_buffer
      - .offset:         16
        .size:           4
        .value_kind:     hidden_block_count_x
      - .offset:         20
        .size:           4
        .value_kind:     hidden_block_count_y
      - .offset:         24
        .size:           4
        .value_kind:     hidden_block_count_z
      - .offset:         28
        .size:           2
        .value_kind:     hidden_group_size_x
      - .offset:         30
        .size:           2
        .value_kind:     hidden_group_size_y
      - .offset:         32
        .size:           2
        .value_kind:     hidden_group_size_z
      - .offset:         34
        .size:           2
        .value_kind:     hidden_remainder_x
      - .offset:         36
        .size:           2
        .value_kind:     hidden_remainder_y
      - .offset:         38
        .size:           2
        .value_kind:     hidden_remainder_z
      - .offset:         56
        .size:           8
        .value_kind:     hidden_global_offset_x
      - .offset:         64
        .size:           8
        .value_kind:     hidden_global_offset_y
      - .offset:         72
        .size:           8
        .value_kind:     hidden_global_offset_z
      - .offset:         80
        .size:           2
        .value_kind:     hidden_grid_dims
    .group_segment_fixed_size: 0
    .kernarg_segment_align: 8
    .kernarg_segment_size: 272
    .language:       OpenCL C
    .language_version:
      - 2
      - 0
    .max_flat_workgroup_size: 32
    .name:           _Z26warp_inclusive_scan_kernelI6__halfLj32ELj2EENSt9enable_ifIXsr10test_utilsE35device_test_enabled_for_warp_size_vIXT1_EEEvE4typeEPT_S5_
    .private_segment_fixed_size: 0
    .sgpr_count:     12
    .sgpr_spill_count: 0
    .symbol:         _Z26warp_inclusive_scan_kernelI6__halfLj32ELj2EENSt9enable_ifIXsr10test_utilsE35device_test_enabled_for_warp_size_vIXT1_EEEvE4typeEPT_S5_.kd
    .uniform_work_group_size: 1
    .uses_dynamic_stack: false
    .vgpr_count:     5
    .vgpr_spill_count: 0
    .wavefront_size: 64
  - .args:
      - .address_space:  global
        .offset:         0
        .size:           8
        .value_kind:     global_buffer
      - .address_space:  global
        .offset:         8
        .size:           8
        .value_kind:     global_buffer
      - .offset:         16
        .size:           4
        .value_kind:     hidden_block_count_x
      - .offset:         20
        .size:           4
        .value_kind:     hidden_block_count_y
      - .offset:         24
        .size:           4
        .value_kind:     hidden_block_count_z
      - .offset:         28
        .size:           2
        .value_kind:     hidden_group_size_x
      - .offset:         30
        .size:           2
        .value_kind:     hidden_group_size_y
      - .offset:         32
        .size:           2
        .value_kind:     hidden_group_size_z
      - .offset:         34
        .size:           2
        .value_kind:     hidden_remainder_x
      - .offset:         36
        .size:           2
        .value_kind:     hidden_remainder_y
      - .offset:         38
        .size:           2
        .value_kind:     hidden_remainder_z
      - .offset:         56
        .size:           8
        .value_kind:     hidden_global_offset_x
      - .offset:         64
        .size:           8
        .value_kind:     hidden_global_offset_y
      - .offset:         72
        .size:           8
        .value_kind:     hidden_global_offset_z
      - .offset:         80
        .size:           2
        .value_kind:     hidden_grid_dims
    .group_segment_fixed_size: 0
    .kernarg_segment_align: 8
    .kernarg_segment_size: 272
    .language:       OpenCL C
    .language_version:
      - 2
      - 0
    .max_flat_workgroup_size: 64
    .name:           _Z26warp_inclusive_scan_kernelI6__halfLj64ELj2EENSt9enable_ifIXsr10test_utilsE35device_test_enabled_for_warp_size_vIXT1_EEEvE4typeEPT_S5_
    .private_segment_fixed_size: 0
    .sgpr_count:     12
    .sgpr_spill_count: 0
    .symbol:         _Z26warp_inclusive_scan_kernelI6__halfLj64ELj2EENSt9enable_ifIXsr10test_utilsE35device_test_enabled_for_warp_size_vIXT1_EEEvE4typeEPT_S5_.kd
    .uniform_work_group_size: 1
    .uses_dynamic_stack: false
    .vgpr_count:     5
    .vgpr_spill_count: 0
    .wavefront_size: 64
  - .args:
      - .address_space:  global
        .offset:         0
        .size:           8
        .value_kind:     global_buffer
      - .address_space:  global
        .offset:         8
        .size:           8
        .value_kind:     global_buffer
      - .offset:         16
        .size:           4
        .value_kind:     hidden_block_count_x
      - .offset:         20
        .size:           4
        .value_kind:     hidden_block_count_y
      - .offset:         24
        .size:           4
        .value_kind:     hidden_block_count_z
      - .offset:         28
        .size:           2
        .value_kind:     hidden_group_size_x
      - .offset:         30
        .size:           2
        .value_kind:     hidden_group_size_y
      - .offset:         32
        .size:           2
        .value_kind:     hidden_group_size_z
      - .offset:         34
        .size:           2
        .value_kind:     hidden_remainder_x
      - .offset:         36
        .size:           2
        .value_kind:     hidden_remainder_y
      - .offset:         38
        .size:           2
        .value_kind:     hidden_remainder_z
      - .offset:         56
        .size:           8
        .value_kind:     hidden_global_offset_x
      - .offset:         64
        .size:           8
        .value_kind:     hidden_global_offset_y
      - .offset:         72
        .size:           8
        .value_kind:     hidden_global_offset_z
      - .offset:         80
        .size:           2
        .value_kind:     hidden_grid_dims
    .group_segment_fixed_size: 0
    .kernarg_segment_align: 8
    .kernarg_segment_size: 272
    .language:       OpenCL C
    .language_version:
      - 2
      - 0
    .max_flat_workgroup_size: 256
    .name:           _Z26warp_inclusive_scan_kernelIfLj256ELj64EENSt9enable_ifIXsr10test_utilsE35device_test_enabled_for_warp_size_vIXT1_EEEvE4typeEPT_S4_
    .private_segment_fixed_size: 0
    .sgpr_count:     12
    .sgpr_spill_count: 0
    .symbol:         _Z26warp_inclusive_scan_kernelIfLj256ELj64EENSt9enable_ifIXsr10test_utilsE35device_test_enabled_for_warp_size_vIXT1_EEEvE4typeEPT_S4_.kd
    .uniform_work_group_size: 1
    .uses_dynamic_stack: false
    .vgpr_count:     8
    .vgpr_spill_count: 0
    .wavefront_size: 64
  - .args:
      - .address_space:  global
        .offset:         0
        .size:           8
        .value_kind:     global_buffer
      - .address_space:  global
        .offset:         8
        .size:           8
        .value_kind:     global_buffer
      - .offset:         16
        .size:           4
        .value_kind:     hidden_block_count_x
      - .offset:         20
        .size:           4
        .value_kind:     hidden_block_count_y
      - .offset:         24
        .size:           4
        .value_kind:     hidden_block_count_z
      - .offset:         28
        .size:           2
        .value_kind:     hidden_group_size_x
      - .offset:         30
        .size:           2
        .value_kind:     hidden_group_size_y
      - .offset:         32
        .size:           2
        .value_kind:     hidden_group_size_z
      - .offset:         34
        .size:           2
        .value_kind:     hidden_remainder_x
      - .offset:         36
        .size:           2
        .value_kind:     hidden_remainder_y
      - .offset:         38
        .size:           2
        .value_kind:     hidden_remainder_z
      - .offset:         56
        .size:           8
        .value_kind:     hidden_global_offset_x
      - .offset:         64
        .size:           8
        .value_kind:     hidden_global_offset_y
      - .offset:         72
        .size:           8
        .value_kind:     hidden_global_offset_z
      - .offset:         80
        .size:           2
        .value_kind:     hidden_grid_dims
    .group_segment_fixed_size: 0
    .kernarg_segment_align: 8
    .kernarg_segment_size: 272
    .language:       OpenCL C
    .language_version:
      - 2
      - 0
    .max_flat_workgroup_size: 128
    .name:           _Z26warp_inclusive_scan_kernelIfLj128ELj32EENSt9enable_ifIXsr10test_utilsE35device_test_enabled_for_warp_size_vIXT1_EEEvE4typeEPT_S4_
    .private_segment_fixed_size: 0
    .sgpr_count:     12
    .sgpr_spill_count: 0
    .symbol:         _Z26warp_inclusive_scan_kernelIfLj128ELj32EENSt9enable_ifIXsr10test_utilsE35device_test_enabled_for_warp_size_vIXT1_EEEvE4typeEPT_S4_.kd
    .uniform_work_group_size: 1
    .uses_dynamic_stack: false
    .vgpr_count:     7
    .vgpr_spill_count: 0
    .wavefront_size: 64
  - .args:
      - .address_space:  global
        .offset:         0
        .size:           8
        .value_kind:     global_buffer
      - .address_space:  global
        .offset:         8
        .size:           8
        .value_kind:     global_buffer
      - .offset:         16
        .size:           4
        .value_kind:     hidden_block_count_x
      - .offset:         20
        .size:           4
        .value_kind:     hidden_block_count_y
      - .offset:         24
        .size:           4
        .value_kind:     hidden_block_count_z
      - .offset:         28
        .size:           2
        .value_kind:     hidden_group_size_x
      - .offset:         30
        .size:           2
        .value_kind:     hidden_group_size_y
      - .offset:         32
        .size:           2
        .value_kind:     hidden_group_size_z
      - .offset:         34
        .size:           2
        .value_kind:     hidden_remainder_x
      - .offset:         36
        .size:           2
        .value_kind:     hidden_remainder_y
      - .offset:         38
        .size:           2
        .value_kind:     hidden_remainder_z
      - .offset:         56
        .size:           8
        .value_kind:     hidden_global_offset_x
      - .offset:         64
        .size:           8
        .value_kind:     hidden_global_offset_y
      - .offset:         72
        .size:           8
        .value_kind:     hidden_global_offset_z
      - .offset:         80
        .size:           2
        .value_kind:     hidden_grid_dims
    .group_segment_fixed_size: 0
    .kernarg_segment_align: 8
    .kernarg_segment_size: 272
    .language:       OpenCL C
    .language_version:
      - 2
      - 0
    .max_flat_workgroup_size: 64
    .name:           _Z26warp_inclusive_scan_kernelIfLj64ELj16EENSt9enable_ifIXsr10test_utilsE35device_test_enabled_for_warp_size_vIXT1_EEEvE4typeEPT_S4_
    .private_segment_fixed_size: 0
    .sgpr_count:     12
    .sgpr_spill_count: 0
    .symbol:         _Z26warp_inclusive_scan_kernelIfLj64ELj16EENSt9enable_ifIXsr10test_utilsE35device_test_enabled_for_warp_size_vIXT1_EEEvE4typeEPT_S4_.kd
    .uniform_work_group_size: 1
    .uses_dynamic_stack: false
    .vgpr_count:     6
    .vgpr_spill_count: 0
    .wavefront_size: 64
  - .args:
      - .address_space:  global
        .offset:         0
        .size:           8
        .value_kind:     global_buffer
      - .address_space:  global
        .offset:         8
        .size:           8
        .value_kind:     global_buffer
      - .offset:         16
        .size:           4
        .value_kind:     hidden_block_count_x
      - .offset:         20
        .size:           4
        .value_kind:     hidden_block_count_y
      - .offset:         24
        .size:           4
        .value_kind:     hidden_block_count_z
      - .offset:         28
        .size:           2
        .value_kind:     hidden_group_size_x
      - .offset:         30
        .size:           2
        .value_kind:     hidden_group_size_y
      - .offset:         32
        .size:           2
        .value_kind:     hidden_group_size_z
      - .offset:         34
        .size:           2
        .value_kind:     hidden_remainder_x
      - .offset:         36
        .size:           2
        .value_kind:     hidden_remainder_y
      - .offset:         38
        .size:           2
        .value_kind:     hidden_remainder_z
      - .offset:         56
        .size:           8
        .value_kind:     hidden_global_offset_x
      - .offset:         64
        .size:           8
        .value_kind:     hidden_global_offset_y
      - .offset:         72
        .size:           8
        .value_kind:     hidden_global_offset_z
      - .offset:         80
        .size:           2
        .value_kind:     hidden_grid_dims
    .group_segment_fixed_size: 0
    .kernarg_segment_align: 8
    .kernarg_segment_size: 272
    .language:       OpenCL C
    .language_version:
      - 2
      - 0
    .max_flat_workgroup_size: 32
    .name:           _Z26warp_inclusive_scan_kernelIfLj32ELj8EENSt9enable_ifIXsr10test_utilsE35device_test_enabled_for_warp_size_vIXT1_EEEvE4typeEPT_S4_
    .private_segment_fixed_size: 0
    .sgpr_count:     12
    .sgpr_spill_count: 0
    .symbol:         _Z26warp_inclusive_scan_kernelIfLj32ELj8EENSt9enable_ifIXsr10test_utilsE35device_test_enabled_for_warp_size_vIXT1_EEEvE4typeEPT_S4_.kd
    .uniform_work_group_size: 1
    .uses_dynamic_stack: false
    .vgpr_count:     6
    .vgpr_spill_count: 0
    .wavefront_size: 64
  - .args:
      - .address_space:  global
        .offset:         0
        .size:           8
        .value_kind:     global_buffer
      - .address_space:  global
        .offset:         8
        .size:           8
        .value_kind:     global_buffer
      - .offset:         16
        .size:           4
        .value_kind:     hidden_block_count_x
      - .offset:         20
        .size:           4
        .value_kind:     hidden_block_count_y
      - .offset:         24
        .size:           4
        .value_kind:     hidden_block_count_z
      - .offset:         28
        .size:           2
        .value_kind:     hidden_group_size_x
      - .offset:         30
        .size:           2
        .value_kind:     hidden_group_size_y
      - .offset:         32
        .size:           2
        .value_kind:     hidden_group_size_z
      - .offset:         34
        .size:           2
        .value_kind:     hidden_remainder_x
      - .offset:         36
        .size:           2
        .value_kind:     hidden_remainder_y
      - .offset:         38
        .size:           2
        .value_kind:     hidden_remainder_z
      - .offset:         56
        .size:           8
        .value_kind:     hidden_global_offset_x
      - .offset:         64
        .size:           8
        .value_kind:     hidden_global_offset_y
      - .offset:         72
        .size:           8
        .value_kind:     hidden_global_offset_z
      - .offset:         80
        .size:           2
        .value_kind:     hidden_grid_dims
    .group_segment_fixed_size: 0
    .kernarg_segment_align: 8
    .kernarg_segment_size: 272
    .language:       OpenCL C
    .language_version:
      - 2
      - 0
    .max_flat_workgroup_size: 64
    .name:           _Z26warp_inclusive_scan_kernelIfLj64ELj8EENSt9enable_ifIXsr10test_utilsE35device_test_enabled_for_warp_size_vIXT1_EEEvE4typeEPT_S4_
    .private_segment_fixed_size: 0
    .sgpr_count:     12
    .sgpr_spill_count: 0
    .symbol:         _Z26warp_inclusive_scan_kernelIfLj64ELj8EENSt9enable_ifIXsr10test_utilsE35device_test_enabled_for_warp_size_vIXT1_EEEvE4typeEPT_S4_.kd
    .uniform_work_group_size: 1
    .uses_dynamic_stack: false
    .vgpr_count:     6
    .vgpr_spill_count: 0
    .wavefront_size: 64
  - .args:
      - .address_space:  global
        .offset:         0
        .size:           8
        .value_kind:     global_buffer
      - .address_space:  global
        .offset:         8
        .size:           8
        .value_kind:     global_buffer
      - .offset:         16
        .size:           4
        .value_kind:     hidden_block_count_x
      - .offset:         20
        .size:           4
        .value_kind:     hidden_block_count_y
      - .offset:         24
        .size:           4
        .value_kind:     hidden_block_count_z
      - .offset:         28
        .size:           2
        .value_kind:     hidden_group_size_x
      - .offset:         30
        .size:           2
        .value_kind:     hidden_group_size_y
      - .offset:         32
        .size:           2
        .value_kind:     hidden_group_size_z
      - .offset:         34
        .size:           2
        .value_kind:     hidden_remainder_x
      - .offset:         36
        .size:           2
        .value_kind:     hidden_remainder_y
      - .offset:         38
        .size:           2
        .value_kind:     hidden_remainder_z
      - .offset:         56
        .size:           8
        .value_kind:     hidden_global_offset_x
      - .offset:         64
        .size:           8
        .value_kind:     hidden_global_offset_y
      - .offset:         72
        .size:           8
        .value_kind:     hidden_global_offset_z
      - .offset:         80
        .size:           2
        .value_kind:     hidden_grid_dims
    .group_segment_fixed_size: 0
    .kernarg_segment_align: 8
    .kernarg_segment_size: 272
    .language:       OpenCL C
    .language_version:
      - 2
      - 0
    .max_flat_workgroup_size: 32
    .name:           _Z26warp_inclusive_scan_kernelIfLj32ELj4EENSt9enable_ifIXsr10test_utilsE35device_test_enabled_for_warp_size_vIXT1_EEEvE4typeEPT_S4_
    .private_segment_fixed_size: 0
    .sgpr_count:     12
    .sgpr_spill_count: 0
    .symbol:         _Z26warp_inclusive_scan_kernelIfLj32ELj4EENSt9enable_ifIXsr10test_utilsE35device_test_enabled_for_warp_size_vIXT1_EEEvE4typeEPT_S4_.kd
    .uniform_work_group_size: 1
    .uses_dynamic_stack: false
    .vgpr_count:     6
    .vgpr_spill_count: 0
    .wavefront_size: 64
  - .args:
      - .address_space:  global
        .offset:         0
        .size:           8
        .value_kind:     global_buffer
      - .address_space:  global
        .offset:         8
        .size:           8
        .value_kind:     global_buffer
      - .offset:         16
        .size:           4
        .value_kind:     hidden_block_count_x
      - .offset:         20
        .size:           4
        .value_kind:     hidden_block_count_y
      - .offset:         24
        .size:           4
        .value_kind:     hidden_block_count_z
      - .offset:         28
        .size:           2
        .value_kind:     hidden_group_size_x
      - .offset:         30
        .size:           2
        .value_kind:     hidden_group_size_y
      - .offset:         32
        .size:           2
        .value_kind:     hidden_group_size_z
      - .offset:         34
        .size:           2
        .value_kind:     hidden_remainder_x
      - .offset:         36
        .size:           2
        .value_kind:     hidden_remainder_y
      - .offset:         38
        .size:           2
        .value_kind:     hidden_remainder_z
      - .offset:         56
        .size:           8
        .value_kind:     hidden_global_offset_x
      - .offset:         64
        .size:           8
        .value_kind:     hidden_global_offset_y
      - .offset:         72
        .size:           8
        .value_kind:     hidden_global_offset_z
      - .offset:         80
        .size:           2
        .value_kind:     hidden_grid_dims
    .group_segment_fixed_size: 0
    .kernarg_segment_align: 8
    .kernarg_segment_size: 272
    .language:       OpenCL C
    .language_version:
      - 2
      - 0
    .max_flat_workgroup_size: 64
    .name:           _Z26warp_inclusive_scan_kernelIfLj64ELj4EENSt9enable_ifIXsr10test_utilsE35device_test_enabled_for_warp_size_vIXT1_EEEvE4typeEPT_S4_
    .private_segment_fixed_size: 0
    .sgpr_count:     12
    .sgpr_spill_count: 0
    .symbol:         _Z26warp_inclusive_scan_kernelIfLj64ELj4EENSt9enable_ifIXsr10test_utilsE35device_test_enabled_for_warp_size_vIXT1_EEEvE4typeEPT_S4_.kd
    .uniform_work_group_size: 1
    .uses_dynamic_stack: false
    .vgpr_count:     6
    .vgpr_spill_count: 0
    .wavefront_size: 64
  - .args:
      - .address_space:  global
        .offset:         0
        .size:           8
        .value_kind:     global_buffer
      - .address_space:  global
        .offset:         8
        .size:           8
        .value_kind:     global_buffer
      - .offset:         16
        .size:           4
        .value_kind:     hidden_block_count_x
      - .offset:         20
        .size:           4
        .value_kind:     hidden_block_count_y
      - .offset:         24
        .size:           4
        .value_kind:     hidden_block_count_z
      - .offset:         28
        .size:           2
        .value_kind:     hidden_group_size_x
      - .offset:         30
        .size:           2
        .value_kind:     hidden_group_size_y
      - .offset:         32
        .size:           2
        .value_kind:     hidden_group_size_z
      - .offset:         34
        .size:           2
        .value_kind:     hidden_remainder_x
      - .offset:         36
        .size:           2
        .value_kind:     hidden_remainder_y
      - .offset:         38
        .size:           2
        .value_kind:     hidden_remainder_z
      - .offset:         56
        .size:           8
        .value_kind:     hidden_global_offset_x
      - .offset:         64
        .size:           8
        .value_kind:     hidden_global_offset_y
      - .offset:         72
        .size:           8
        .value_kind:     hidden_global_offset_z
      - .offset:         80
        .size:           2
        .value_kind:     hidden_grid_dims
    .group_segment_fixed_size: 0
    .kernarg_segment_align: 8
    .kernarg_segment_size: 272
    .language:       OpenCL C
    .language_version:
      - 2
      - 0
    .max_flat_workgroup_size: 32
    .name:           _Z26warp_inclusive_scan_kernelIfLj32ELj2EENSt9enable_ifIXsr10test_utilsE35device_test_enabled_for_warp_size_vIXT1_EEEvE4typeEPT_S4_
    .private_segment_fixed_size: 0
    .sgpr_count:     12
    .sgpr_spill_count: 0
    .symbol:         _Z26warp_inclusive_scan_kernelIfLj32ELj2EENSt9enable_ifIXsr10test_utilsE35device_test_enabled_for_warp_size_vIXT1_EEEvE4typeEPT_S4_.kd
    .uniform_work_group_size: 1
    .uses_dynamic_stack: false
    .vgpr_count:     6
    .vgpr_spill_count: 0
    .wavefront_size: 64
  - .args:
      - .address_space:  global
        .offset:         0
        .size:           8
        .value_kind:     global_buffer
      - .address_space:  global
        .offset:         8
        .size:           8
        .value_kind:     global_buffer
      - .offset:         16
        .size:           4
        .value_kind:     hidden_block_count_x
      - .offset:         20
        .size:           4
        .value_kind:     hidden_block_count_y
      - .offset:         24
        .size:           4
        .value_kind:     hidden_block_count_z
      - .offset:         28
        .size:           2
        .value_kind:     hidden_group_size_x
      - .offset:         30
        .size:           2
        .value_kind:     hidden_group_size_y
      - .offset:         32
        .size:           2
        .value_kind:     hidden_group_size_z
      - .offset:         34
        .size:           2
        .value_kind:     hidden_remainder_x
      - .offset:         36
        .size:           2
        .value_kind:     hidden_remainder_y
      - .offset:         38
        .size:           2
        .value_kind:     hidden_remainder_z
      - .offset:         56
        .size:           8
        .value_kind:     hidden_global_offset_x
      - .offset:         64
        .size:           8
        .value_kind:     hidden_global_offset_y
      - .offset:         72
        .size:           8
        .value_kind:     hidden_global_offset_z
      - .offset:         80
        .size:           2
        .value_kind:     hidden_grid_dims
    .group_segment_fixed_size: 0
    .kernarg_segment_align: 8
    .kernarg_segment_size: 272
    .language:       OpenCL C
    .language_version:
      - 2
      - 0
    .max_flat_workgroup_size: 64
    .name:           _Z26warp_inclusive_scan_kernelIfLj64ELj2EENSt9enable_ifIXsr10test_utilsE35device_test_enabled_for_warp_size_vIXT1_EEEvE4typeEPT_S4_
    .private_segment_fixed_size: 0
    .sgpr_count:     12
    .sgpr_spill_count: 0
    .symbol:         _Z26warp_inclusive_scan_kernelIfLj64ELj2EENSt9enable_ifIXsr10test_utilsE35device_test_enabled_for_warp_size_vIXT1_EEEvE4typeEPT_S4_.kd
    .uniform_work_group_size: 1
    .uses_dynamic_stack: false
    .vgpr_count:     6
    .vgpr_spill_count: 0
    .wavefront_size: 64
  - .args:
      - .address_space:  global
        .offset:         0
        .size:           8
        .value_kind:     global_buffer
      - .address_space:  global
        .offset:         8
        .size:           8
        .value_kind:     global_buffer
      - .offset:         16
        .size:           4
        .value_kind:     hidden_block_count_x
      - .offset:         20
        .size:           4
        .value_kind:     hidden_block_count_y
      - .offset:         24
        .size:           4
        .value_kind:     hidden_block_count_z
      - .offset:         28
        .size:           2
        .value_kind:     hidden_group_size_x
      - .offset:         30
        .size:           2
        .value_kind:     hidden_group_size_y
      - .offset:         32
        .size:           2
        .value_kind:     hidden_group_size_z
      - .offset:         34
        .size:           2
        .value_kind:     hidden_remainder_x
      - .offset:         36
        .size:           2
        .value_kind:     hidden_remainder_y
      - .offset:         38
        .size:           2
        .value_kind:     hidden_remainder_z
      - .offset:         56
        .size:           8
        .value_kind:     hidden_global_offset_x
      - .offset:         64
        .size:           8
        .value_kind:     hidden_global_offset_y
      - .offset:         72
        .size:           8
        .value_kind:     hidden_global_offset_z
      - .offset:         80
        .size:           2
        .value_kind:     hidden_grid_dims
    .group_segment_fixed_size: 0
    .kernarg_segment_align: 8
    .kernarg_segment_size: 272
    .language:       OpenCL C
    .language_version:
      - 2
      - 0
    .max_flat_workgroup_size: 256
    .name:           _Z26warp_inclusive_scan_kernelIiLj256ELj64EENSt9enable_ifIXsr10test_utilsE35device_test_enabled_for_warp_size_vIXT1_EEEvE4typeEPT_S4_
    .private_segment_fixed_size: 0
    .sgpr_count:     12
    .sgpr_spill_count: 0
    .symbol:         _Z26warp_inclusive_scan_kernelIiLj256ELj64EENSt9enable_ifIXsr10test_utilsE35device_test_enabled_for_warp_size_vIXT1_EEEvE4typeEPT_S4_.kd
    .uniform_work_group_size: 1
    .uses_dynamic_stack: false
    .vgpr_count:     8
    .vgpr_spill_count: 0
    .wavefront_size: 64
  - .args:
      - .address_space:  global
        .offset:         0
        .size:           8
        .value_kind:     global_buffer
      - .address_space:  global
        .offset:         8
        .size:           8
        .value_kind:     global_buffer
      - .offset:         16
        .size:           4
        .value_kind:     hidden_block_count_x
      - .offset:         20
        .size:           4
        .value_kind:     hidden_block_count_y
      - .offset:         24
        .size:           4
        .value_kind:     hidden_block_count_z
      - .offset:         28
        .size:           2
        .value_kind:     hidden_group_size_x
      - .offset:         30
        .size:           2
        .value_kind:     hidden_group_size_y
      - .offset:         32
        .size:           2
        .value_kind:     hidden_group_size_z
      - .offset:         34
        .size:           2
        .value_kind:     hidden_remainder_x
      - .offset:         36
        .size:           2
        .value_kind:     hidden_remainder_y
      - .offset:         38
        .size:           2
        .value_kind:     hidden_remainder_z
      - .offset:         56
        .size:           8
        .value_kind:     hidden_global_offset_x
      - .offset:         64
        .size:           8
        .value_kind:     hidden_global_offset_y
      - .offset:         72
        .size:           8
        .value_kind:     hidden_global_offset_z
      - .offset:         80
        .size:           2
        .value_kind:     hidden_grid_dims
    .group_segment_fixed_size: 0
    .kernarg_segment_align: 8
    .kernarg_segment_size: 272
    .language:       OpenCL C
    .language_version:
      - 2
      - 0
    .max_flat_workgroup_size: 128
    .name:           _Z26warp_inclusive_scan_kernelIiLj128ELj32EENSt9enable_ifIXsr10test_utilsE35device_test_enabled_for_warp_size_vIXT1_EEEvE4typeEPT_S4_
    .private_segment_fixed_size: 0
    .sgpr_count:     12
    .sgpr_spill_count: 0
    .symbol:         _Z26warp_inclusive_scan_kernelIiLj128ELj32EENSt9enable_ifIXsr10test_utilsE35device_test_enabled_for_warp_size_vIXT1_EEEvE4typeEPT_S4_.kd
    .uniform_work_group_size: 1
    .uses_dynamic_stack: false
    .vgpr_count:     7
    .vgpr_spill_count: 0
    .wavefront_size: 64
  - .args:
      - .address_space:  global
        .offset:         0
        .size:           8
        .value_kind:     global_buffer
      - .address_space:  global
        .offset:         8
        .size:           8
        .value_kind:     global_buffer
      - .offset:         16
        .size:           4
        .value_kind:     hidden_block_count_x
      - .offset:         20
        .size:           4
        .value_kind:     hidden_block_count_y
      - .offset:         24
        .size:           4
        .value_kind:     hidden_block_count_z
      - .offset:         28
        .size:           2
        .value_kind:     hidden_group_size_x
      - .offset:         30
        .size:           2
        .value_kind:     hidden_group_size_y
      - .offset:         32
        .size:           2
        .value_kind:     hidden_group_size_z
      - .offset:         34
        .size:           2
        .value_kind:     hidden_remainder_x
      - .offset:         36
        .size:           2
        .value_kind:     hidden_remainder_y
      - .offset:         38
        .size:           2
        .value_kind:     hidden_remainder_z
      - .offset:         56
        .size:           8
        .value_kind:     hidden_global_offset_x
      - .offset:         64
        .size:           8
        .value_kind:     hidden_global_offset_y
      - .offset:         72
        .size:           8
        .value_kind:     hidden_global_offset_z
      - .offset:         80
        .size:           2
        .value_kind:     hidden_grid_dims
    .group_segment_fixed_size: 0
    .kernarg_segment_align: 8
    .kernarg_segment_size: 272
    .language:       OpenCL C
    .language_version:
      - 2
      - 0
    .max_flat_workgroup_size: 64
    .name:           _Z26warp_inclusive_scan_kernelIiLj64ELj16EENSt9enable_ifIXsr10test_utilsE35device_test_enabled_for_warp_size_vIXT1_EEEvE4typeEPT_S4_
    .private_segment_fixed_size: 0
    .sgpr_count:     12
    .sgpr_spill_count: 0
    .symbol:         _Z26warp_inclusive_scan_kernelIiLj64ELj16EENSt9enable_ifIXsr10test_utilsE35device_test_enabled_for_warp_size_vIXT1_EEEvE4typeEPT_S4_.kd
    .uniform_work_group_size: 1
    .uses_dynamic_stack: false
    .vgpr_count:     6
    .vgpr_spill_count: 0
    .wavefront_size: 64
  - .args:
      - .address_space:  global
        .offset:         0
        .size:           8
        .value_kind:     global_buffer
      - .address_space:  global
        .offset:         8
        .size:           8
        .value_kind:     global_buffer
      - .offset:         16
        .size:           4
        .value_kind:     hidden_block_count_x
      - .offset:         20
        .size:           4
        .value_kind:     hidden_block_count_y
      - .offset:         24
        .size:           4
        .value_kind:     hidden_block_count_z
      - .offset:         28
        .size:           2
        .value_kind:     hidden_group_size_x
      - .offset:         30
        .size:           2
        .value_kind:     hidden_group_size_y
      - .offset:         32
        .size:           2
        .value_kind:     hidden_group_size_z
      - .offset:         34
        .size:           2
        .value_kind:     hidden_remainder_x
      - .offset:         36
        .size:           2
        .value_kind:     hidden_remainder_y
      - .offset:         38
        .size:           2
        .value_kind:     hidden_remainder_z
      - .offset:         56
        .size:           8
        .value_kind:     hidden_global_offset_x
      - .offset:         64
        .size:           8
        .value_kind:     hidden_global_offset_y
      - .offset:         72
        .size:           8
        .value_kind:     hidden_global_offset_z
      - .offset:         80
        .size:           2
        .value_kind:     hidden_grid_dims
    .group_segment_fixed_size: 0
    .kernarg_segment_align: 8
    .kernarg_segment_size: 272
    .language:       OpenCL C
    .language_version:
      - 2
      - 0
    .max_flat_workgroup_size: 32
    .name:           _Z26warp_inclusive_scan_kernelIiLj32ELj8EENSt9enable_ifIXsr10test_utilsE35device_test_enabled_for_warp_size_vIXT1_EEEvE4typeEPT_S4_
    .private_segment_fixed_size: 0
    .sgpr_count:     12
    .sgpr_spill_count: 0
    .symbol:         _Z26warp_inclusive_scan_kernelIiLj32ELj8EENSt9enable_ifIXsr10test_utilsE35device_test_enabled_for_warp_size_vIXT1_EEEvE4typeEPT_S4_.kd
    .uniform_work_group_size: 1
    .uses_dynamic_stack: false
    .vgpr_count:     6
    .vgpr_spill_count: 0
    .wavefront_size: 64
  - .args:
      - .address_space:  global
        .offset:         0
        .size:           8
        .value_kind:     global_buffer
      - .address_space:  global
        .offset:         8
        .size:           8
        .value_kind:     global_buffer
      - .offset:         16
        .size:           4
        .value_kind:     hidden_block_count_x
      - .offset:         20
        .size:           4
        .value_kind:     hidden_block_count_y
      - .offset:         24
        .size:           4
        .value_kind:     hidden_block_count_z
      - .offset:         28
        .size:           2
        .value_kind:     hidden_group_size_x
      - .offset:         30
        .size:           2
        .value_kind:     hidden_group_size_y
      - .offset:         32
        .size:           2
        .value_kind:     hidden_group_size_z
      - .offset:         34
        .size:           2
        .value_kind:     hidden_remainder_x
      - .offset:         36
        .size:           2
        .value_kind:     hidden_remainder_y
      - .offset:         38
        .size:           2
        .value_kind:     hidden_remainder_z
      - .offset:         56
        .size:           8
        .value_kind:     hidden_global_offset_x
      - .offset:         64
        .size:           8
        .value_kind:     hidden_global_offset_y
      - .offset:         72
        .size:           8
        .value_kind:     hidden_global_offset_z
      - .offset:         80
        .size:           2
        .value_kind:     hidden_grid_dims
    .group_segment_fixed_size: 0
    .kernarg_segment_align: 8
    .kernarg_segment_size: 272
    .language:       OpenCL C
    .language_version:
      - 2
      - 0
    .max_flat_workgroup_size: 64
    .name:           _Z26warp_inclusive_scan_kernelIiLj64ELj8EENSt9enable_ifIXsr10test_utilsE35device_test_enabled_for_warp_size_vIXT1_EEEvE4typeEPT_S4_
    .private_segment_fixed_size: 0
    .sgpr_count:     12
    .sgpr_spill_count: 0
    .symbol:         _Z26warp_inclusive_scan_kernelIiLj64ELj8EENSt9enable_ifIXsr10test_utilsE35device_test_enabled_for_warp_size_vIXT1_EEEvE4typeEPT_S4_.kd
    .uniform_work_group_size: 1
    .uses_dynamic_stack: false
    .vgpr_count:     6
    .vgpr_spill_count: 0
    .wavefront_size: 64
  - .args:
      - .address_space:  global
        .offset:         0
        .size:           8
        .value_kind:     global_buffer
      - .address_space:  global
        .offset:         8
        .size:           8
        .value_kind:     global_buffer
      - .offset:         16
        .size:           4
        .value_kind:     hidden_block_count_x
      - .offset:         20
        .size:           4
        .value_kind:     hidden_block_count_y
      - .offset:         24
        .size:           4
        .value_kind:     hidden_block_count_z
      - .offset:         28
        .size:           2
        .value_kind:     hidden_group_size_x
      - .offset:         30
        .size:           2
        .value_kind:     hidden_group_size_y
      - .offset:         32
        .size:           2
        .value_kind:     hidden_group_size_z
      - .offset:         34
        .size:           2
        .value_kind:     hidden_remainder_x
      - .offset:         36
        .size:           2
        .value_kind:     hidden_remainder_y
      - .offset:         38
        .size:           2
        .value_kind:     hidden_remainder_z
      - .offset:         56
        .size:           8
        .value_kind:     hidden_global_offset_x
      - .offset:         64
        .size:           8
        .value_kind:     hidden_global_offset_y
      - .offset:         72
        .size:           8
        .value_kind:     hidden_global_offset_z
      - .offset:         80
        .size:           2
        .value_kind:     hidden_grid_dims
    .group_segment_fixed_size: 0
    .kernarg_segment_align: 8
    .kernarg_segment_size: 272
    .language:       OpenCL C
    .language_version:
      - 2
      - 0
    .max_flat_workgroup_size: 32
    .name:           _Z26warp_inclusive_scan_kernelIiLj32ELj4EENSt9enable_ifIXsr10test_utilsE35device_test_enabled_for_warp_size_vIXT1_EEEvE4typeEPT_S4_
    .private_segment_fixed_size: 0
    .sgpr_count:     12
    .sgpr_spill_count: 0
    .symbol:         _Z26warp_inclusive_scan_kernelIiLj32ELj4EENSt9enable_ifIXsr10test_utilsE35device_test_enabled_for_warp_size_vIXT1_EEEvE4typeEPT_S4_.kd
    .uniform_work_group_size: 1
    .uses_dynamic_stack: false
    .vgpr_count:     6
    .vgpr_spill_count: 0
    .wavefront_size: 64
  - .args:
      - .address_space:  global
        .offset:         0
        .size:           8
        .value_kind:     global_buffer
      - .address_space:  global
        .offset:         8
        .size:           8
        .value_kind:     global_buffer
      - .offset:         16
        .size:           4
        .value_kind:     hidden_block_count_x
      - .offset:         20
        .size:           4
        .value_kind:     hidden_block_count_y
      - .offset:         24
        .size:           4
        .value_kind:     hidden_block_count_z
      - .offset:         28
        .size:           2
        .value_kind:     hidden_group_size_x
      - .offset:         30
        .size:           2
        .value_kind:     hidden_group_size_y
      - .offset:         32
        .size:           2
        .value_kind:     hidden_group_size_z
      - .offset:         34
        .size:           2
        .value_kind:     hidden_remainder_x
      - .offset:         36
        .size:           2
        .value_kind:     hidden_remainder_y
      - .offset:         38
        .size:           2
        .value_kind:     hidden_remainder_z
      - .offset:         56
        .size:           8
        .value_kind:     hidden_global_offset_x
      - .offset:         64
        .size:           8
        .value_kind:     hidden_global_offset_y
      - .offset:         72
        .size:           8
        .value_kind:     hidden_global_offset_z
      - .offset:         80
        .size:           2
        .value_kind:     hidden_grid_dims
    .group_segment_fixed_size: 0
    .kernarg_segment_align: 8
    .kernarg_segment_size: 272
    .language:       OpenCL C
    .language_version:
      - 2
      - 0
    .max_flat_workgroup_size: 64
    .name:           _Z26warp_inclusive_scan_kernelIiLj64ELj4EENSt9enable_ifIXsr10test_utilsE35device_test_enabled_for_warp_size_vIXT1_EEEvE4typeEPT_S4_
    .private_segment_fixed_size: 0
    .sgpr_count:     12
    .sgpr_spill_count: 0
    .symbol:         _Z26warp_inclusive_scan_kernelIiLj64ELj4EENSt9enable_ifIXsr10test_utilsE35device_test_enabled_for_warp_size_vIXT1_EEEvE4typeEPT_S4_.kd
    .uniform_work_group_size: 1
    .uses_dynamic_stack: false
    .vgpr_count:     6
    .vgpr_spill_count: 0
    .wavefront_size: 64
  - .args:
      - .address_space:  global
        .offset:         0
        .size:           8
        .value_kind:     global_buffer
      - .address_space:  global
        .offset:         8
        .size:           8
        .value_kind:     global_buffer
      - .offset:         16
        .size:           4
        .value_kind:     hidden_block_count_x
      - .offset:         20
        .size:           4
        .value_kind:     hidden_block_count_y
      - .offset:         24
        .size:           4
        .value_kind:     hidden_block_count_z
      - .offset:         28
        .size:           2
        .value_kind:     hidden_group_size_x
      - .offset:         30
        .size:           2
        .value_kind:     hidden_group_size_y
      - .offset:         32
        .size:           2
        .value_kind:     hidden_group_size_z
      - .offset:         34
        .size:           2
        .value_kind:     hidden_remainder_x
      - .offset:         36
        .size:           2
        .value_kind:     hidden_remainder_y
      - .offset:         38
        .size:           2
        .value_kind:     hidden_remainder_z
      - .offset:         56
        .size:           8
        .value_kind:     hidden_global_offset_x
      - .offset:         64
        .size:           8
        .value_kind:     hidden_global_offset_y
      - .offset:         72
        .size:           8
        .value_kind:     hidden_global_offset_z
      - .offset:         80
        .size:           2
        .value_kind:     hidden_grid_dims
    .group_segment_fixed_size: 0
    .kernarg_segment_align: 8
    .kernarg_segment_size: 272
    .language:       OpenCL C
    .language_version:
      - 2
      - 0
    .max_flat_workgroup_size: 32
    .name:           _Z26warp_inclusive_scan_kernelIiLj32ELj2EENSt9enable_ifIXsr10test_utilsE35device_test_enabled_for_warp_size_vIXT1_EEEvE4typeEPT_S4_
    .private_segment_fixed_size: 0
    .sgpr_count:     12
    .sgpr_spill_count: 0
    .symbol:         _Z26warp_inclusive_scan_kernelIiLj32ELj2EENSt9enable_ifIXsr10test_utilsE35device_test_enabled_for_warp_size_vIXT1_EEEvE4typeEPT_S4_.kd
    .uniform_work_group_size: 1
    .uses_dynamic_stack: false
    .vgpr_count:     6
    .vgpr_spill_count: 0
    .wavefront_size: 64
  - .args:
      - .address_space:  global
        .offset:         0
        .size:           8
        .value_kind:     global_buffer
      - .address_space:  global
        .offset:         8
        .size:           8
        .value_kind:     global_buffer
      - .offset:         16
        .size:           4
        .value_kind:     hidden_block_count_x
      - .offset:         20
        .size:           4
        .value_kind:     hidden_block_count_y
      - .offset:         24
        .size:           4
        .value_kind:     hidden_block_count_z
      - .offset:         28
        .size:           2
        .value_kind:     hidden_group_size_x
      - .offset:         30
        .size:           2
        .value_kind:     hidden_group_size_y
      - .offset:         32
        .size:           2
        .value_kind:     hidden_group_size_z
      - .offset:         34
        .size:           2
        .value_kind:     hidden_remainder_x
      - .offset:         36
        .size:           2
        .value_kind:     hidden_remainder_y
      - .offset:         38
        .size:           2
        .value_kind:     hidden_remainder_z
      - .offset:         56
        .size:           8
        .value_kind:     hidden_global_offset_x
      - .offset:         64
        .size:           8
        .value_kind:     hidden_global_offset_y
      - .offset:         72
        .size:           8
        .value_kind:     hidden_global_offset_z
      - .offset:         80
        .size:           2
        .value_kind:     hidden_grid_dims
    .group_segment_fixed_size: 0
    .kernarg_segment_align: 8
    .kernarg_segment_size: 272
    .language:       OpenCL C
    .language_version:
      - 2
      - 0
    .max_flat_workgroup_size: 64
    .name:           _Z26warp_inclusive_scan_kernelIiLj64ELj2EENSt9enable_ifIXsr10test_utilsE35device_test_enabled_for_warp_size_vIXT1_EEEvE4typeEPT_S4_
    .private_segment_fixed_size: 0
    .sgpr_count:     12
    .sgpr_spill_count: 0
    .symbol:         _Z26warp_inclusive_scan_kernelIiLj64ELj2EENSt9enable_ifIXsr10test_utilsE35device_test_enabled_for_warp_size_vIXT1_EEEvE4typeEPT_S4_.kd
    .uniform_work_group_size: 1
    .uses_dynamic_stack: false
    .vgpr_count:     6
    .vgpr_spill_count: 0
    .wavefront_size: 64
  - .args:
      - .address_space:  global
        .offset:         0
        .size:           8
        .value_kind:     global_buffer
      - .address_space:  global
        .offset:         8
        .size:           8
        .value_kind:     global_buffer
      - .address_space:  global
        .offset:         16
        .size:           8
        .value_kind:     global_buffer
    .group_segment_fixed_size: 244
    .kernarg_segment_align: 8
    .kernarg_segment_size: 24
    .language:       OpenCL C
    .language_version:
      - 2
      - 0
    .max_flat_workgroup_size: 1
    .name:           _Z33warp_inclusive_scan_reduce_kernelIfLj1ELj61EENSt9enable_ifIXsr10test_utilsE35device_test_enabled_for_warp_size_vIXT1_EEEvE4typeEPT_S4_S4_
    .private_segment_fixed_size: 0
    .sgpr_count:     17
    .sgpr_spill_count: 0
    .symbol:         _Z33warp_inclusive_scan_reduce_kernelIfLj1ELj61EENSt9enable_ifIXsr10test_utilsE35device_test_enabled_for_warp_size_vIXT1_EEEvE4typeEPT_S4_S4_.kd
    .uniform_work_group_size: 1
    .uses_dynamic_stack: false
    .vgpr_count:     3
    .vgpr_spill_count: 0
    .wavefront_size: 64
  - .args:
      - .address_space:  global
        .offset:         0
        .size:           8
        .value_kind:     global_buffer
      - .address_space:  global
        .offset:         8
        .size:           8
        .value_kind:     global_buffer
      - .address_space:  global
        .offset:         16
        .size:           8
        .value_kind:     global_buffer
    .group_segment_fixed_size: 244
    .kernarg_segment_align: 8
    .kernarg_segment_size: 24
    .language:       OpenCL C
    .language_version:
      - 2
      - 0
    .max_flat_workgroup_size: 61
    .name:           _Z33warp_inclusive_scan_reduce_kernelIfLj61ELj61EENSt9enable_ifIXsr10test_utilsE35device_test_enabled_for_warp_size_vIXT1_EEEvE4typeEPT_S4_S4_
    .private_segment_fixed_size: 0
    .sgpr_count:     14
    .sgpr_spill_count: 0
    .symbol:         _Z33warp_inclusive_scan_reduce_kernelIfLj61ELj61EENSt9enable_ifIXsr10test_utilsE35device_test_enabled_for_warp_size_vIXT1_EEEvE4typeEPT_S4_S4_.kd
    .uniform_work_group_size: 1
    .uses_dynamic_stack: false
    .vgpr_count:     10
    .vgpr_spill_count: 0
    .wavefront_size: 64
  - .args:
      - .address_space:  global
        .offset:         0
        .size:           8
        .value_kind:     global_buffer
      - .address_space:  global
        .offset:         8
        .size:           8
        .value_kind:     global_buffer
      - .address_space:  global
        .offset:         16
        .size:           8
        .value_kind:     global_buffer
    .group_segment_fixed_size: 148
    .kernarg_segment_align: 8
    .kernarg_segment_size: 24
    .language:       OpenCL C
    .language_version:
      - 2
      - 0
    .max_flat_workgroup_size: 1
    .name:           _Z33warp_inclusive_scan_reduce_kernelIfLj1ELj37EENSt9enable_ifIXsr10test_utilsE35device_test_enabled_for_warp_size_vIXT1_EEEvE4typeEPT_S4_S4_
    .private_segment_fixed_size: 0
    .sgpr_count:     17
    .sgpr_spill_count: 0
    .symbol:         _Z33warp_inclusive_scan_reduce_kernelIfLj1ELj37EENSt9enable_ifIXsr10test_utilsE35device_test_enabled_for_warp_size_vIXT1_EEEvE4typeEPT_S4_S4_.kd
    .uniform_work_group_size: 1
    .uses_dynamic_stack: false
    .vgpr_count:     3
    .vgpr_spill_count: 0
    .wavefront_size: 64
  - .args:
      - .address_space:  global
        .offset:         0
        .size:           8
        .value_kind:     global_buffer
      - .address_space:  global
        .offset:         8
        .size:           8
        .value_kind:     global_buffer
      - .address_space:  global
        .offset:         16
        .size:           8
        .value_kind:     global_buffer
    .group_segment_fixed_size: 148
    .kernarg_segment_align: 8
    .kernarg_segment_size: 24
    .language:       OpenCL C
    .language_version:
      - 2
      - 0
    .max_flat_workgroup_size: 37
    .name:           _Z33warp_inclusive_scan_reduce_kernelIfLj37ELj37EENSt9enable_ifIXsr10test_utilsE35device_test_enabled_for_warp_size_vIXT1_EEEvE4typeEPT_S4_S4_
    .private_segment_fixed_size: 0
    .sgpr_count:     14
    .sgpr_spill_count: 0
    .symbol:         _Z33warp_inclusive_scan_reduce_kernelIfLj37ELj37EENSt9enable_ifIXsr10test_utilsE35device_test_enabled_for_warp_size_vIXT1_EEEvE4typeEPT_S4_S4_.kd
    .uniform_work_group_size: 1
    .uses_dynamic_stack: false
    .vgpr_count:     10
    .vgpr_spill_count: 0
    .wavefront_size: 64
  - .args:
      - .address_space:  global
        .offset:         0
        .size:           8
        .value_kind:     global_buffer
      - .address_space:  global
        .offset:         8
        .size:           8
        .value_kind:     global_buffer
      - .address_space:  global
        .offset:         16
        .size:           8
        .value_kind:     global_buffer
    .group_segment_fixed_size: 120
    .kernarg_segment_align: 8
    .kernarg_segment_size: 24
    .language:       OpenCL C
    .language_version:
      - 2
      - 0
    .max_flat_workgroup_size: 30
    .name:           _Z33warp_inclusive_scan_reduce_kernelIfLj30ELj15EENSt9enable_ifIXsr10test_utilsE35device_test_enabled_for_warp_size_vIXT1_EEEvE4typeEPT_S4_S4_
    .private_segment_fixed_size: 0
    .sgpr_count:     14
    .sgpr_spill_count: 0
    .symbol:         _Z33warp_inclusive_scan_reduce_kernelIfLj30ELj15EENSt9enable_ifIXsr10test_utilsE35device_test_enabled_for_warp_size_vIXT1_EEEvE4typeEPT_S4_S4_.kd
    .uniform_work_group_size: 1
    .uses_dynamic_stack: false
    .vgpr_count:     10
    .vgpr_spill_count: 0
    .wavefront_size: 64
  - .args:
      - .address_space:  global
        .offset:         0
        .size:           8
        .value_kind:     global_buffer
      - .address_space:  global
        .offset:         8
        .size:           8
        .value_kind:     global_buffer
      - .address_space:  global
        .offset:         16
        .size:           8
        .value_kind:     global_buffer
    .group_segment_fixed_size: 240
    .kernarg_segment_align: 8
    .kernarg_segment_size: 24
    .language:       OpenCL C
    .language_version:
      - 2
      - 0
    .max_flat_workgroup_size: 60
    .name:           _Z33warp_inclusive_scan_reduce_kernelIfLj60ELj15EENSt9enable_ifIXsr10test_utilsE35device_test_enabled_for_warp_size_vIXT1_EEEvE4typeEPT_S4_S4_
    .private_segment_fixed_size: 0
    .sgpr_count:     14
    .sgpr_spill_count: 0
    .symbol:         _Z33warp_inclusive_scan_reduce_kernelIfLj60ELj15EENSt9enable_ifIXsr10test_utilsE35device_test_enabled_for_warp_size_vIXT1_EEEvE4typeEPT_S4_S4_.kd
    .uniform_work_group_size: 1
    .uses_dynamic_stack: false
    .vgpr_count:     10
    .vgpr_spill_count: 0
    .wavefront_size: 64
  - .args:
      - .address_space:  global
        .offset:         0
        .size:           8
        .value_kind:     global_buffer
      - .address_space:  global
        .offset:         8
        .size:           8
        .value_kind:     global_buffer
      - .address_space:  global
        .offset:         16
        .size:           8
        .value_kind:     global_buffer
    .group_segment_fixed_size: 112
    .kernarg_segment_align: 8
    .kernarg_segment_size: 24
    .language:       OpenCL C
    .language_version:
      - 2
      - 0
    .max_flat_workgroup_size: 28
    .name:           _Z33warp_inclusive_scan_reduce_kernelIfLj28ELj7EENSt9enable_ifIXsr10test_utilsE35device_test_enabled_for_warp_size_vIXT1_EEEvE4typeEPT_S4_S4_
    .private_segment_fixed_size: 0
    .sgpr_count:     14
    .sgpr_spill_count: 0
    .symbol:         _Z33warp_inclusive_scan_reduce_kernelIfLj28ELj7EENSt9enable_ifIXsr10test_utilsE35device_test_enabled_for_warp_size_vIXT1_EEEvE4typeEPT_S4_S4_.kd
    .uniform_work_group_size: 1
    .uses_dynamic_stack: false
    .vgpr_count:     10
    .vgpr_spill_count: 0
    .wavefront_size: 64
  - .args:
      - .address_space:  global
        .offset:         0
        .size:           8
        .value_kind:     global_buffer
      - .address_space:  global
        .offset:         8
        .size:           8
        .value_kind:     global_buffer
      - .address_space:  global
        .offset:         16
        .size:           8
        .value_kind:     global_buffer
    .group_segment_fixed_size: 252
    .kernarg_segment_align: 8
    .kernarg_segment_size: 24
    .language:       OpenCL C
    .language_version:
      - 2
      - 0
    .max_flat_workgroup_size: 63
    .name:           _Z33warp_inclusive_scan_reduce_kernelIfLj63ELj7EENSt9enable_ifIXsr10test_utilsE35device_test_enabled_for_warp_size_vIXT1_EEEvE4typeEPT_S4_S4_
    .private_segment_fixed_size: 0
    .sgpr_count:     14
    .sgpr_spill_count: 0
    .symbol:         _Z33warp_inclusive_scan_reduce_kernelIfLj63ELj7EENSt9enable_ifIXsr10test_utilsE35device_test_enabled_for_warp_size_vIXT1_EEEvE4typeEPT_S4_S4_.kd
    .uniform_work_group_size: 1
    .uses_dynamic_stack: false
    .vgpr_count:     10
    .vgpr_spill_count: 0
    .wavefront_size: 64
  - .args:
      - .address_space:  global
        .offset:         0
        .size:           8
        .value_kind:     global_buffer
      - .address_space:  global
        .offset:         8
        .size:           8
        .value_kind:     global_buffer
      - .address_space:  global
        .offset:         16
        .size:           8
        .value_kind:     global_buffer
    .group_segment_fixed_size: 120
    .kernarg_segment_align: 8
    .kernarg_segment_size: 24
    .language:       OpenCL C
    .language_version:
      - 2
      - 0
    .max_flat_workgroup_size: 30
    .name:           _Z33warp_inclusive_scan_reduce_kernelIfLj30ELj3EENSt9enable_ifIXsr10test_utilsE35device_test_enabled_for_warp_size_vIXT1_EEEvE4typeEPT_S4_S4_
    .private_segment_fixed_size: 0
    .sgpr_count:     14
    .sgpr_spill_count: 0
    .symbol:         _Z33warp_inclusive_scan_reduce_kernelIfLj30ELj3EENSt9enable_ifIXsr10test_utilsE35device_test_enabled_for_warp_size_vIXT1_EEEvE4typeEPT_S4_S4_.kd
    .uniform_work_group_size: 1
    .uses_dynamic_stack: false
    .vgpr_count:     11
    .vgpr_spill_count: 0
    .wavefront_size: 64
  - .args:
      - .address_space:  global
        .offset:         0
        .size:           8
        .value_kind:     global_buffer
      - .address_space:  global
        .offset:         8
        .size:           8
        .value_kind:     global_buffer
      - .address_space:  global
        .offset:         16
        .size:           8
        .value_kind:     global_buffer
    .group_segment_fixed_size: 252
    .kernarg_segment_align: 8
    .kernarg_segment_size: 24
    .language:       OpenCL C
    .language_version:
      - 2
      - 0
    .max_flat_workgroup_size: 63
    .name:           _Z33warp_inclusive_scan_reduce_kernelIfLj63ELj3EENSt9enable_ifIXsr10test_utilsE35device_test_enabled_for_warp_size_vIXT1_EEEvE4typeEPT_S4_S4_
    .private_segment_fixed_size: 0
    .sgpr_count:     14
    .sgpr_spill_count: 0
    .symbol:         _Z33warp_inclusive_scan_reduce_kernelIfLj63ELj3EENSt9enable_ifIXsr10test_utilsE35device_test_enabled_for_warp_size_vIXT1_EEEvE4typeEPT_S4_S4_.kd
    .uniform_work_group_size: 1
    .uses_dynamic_stack: false
    .vgpr_count:     11
    .vgpr_spill_count: 0
    .wavefront_size: 64
  - .args:
      - .address_space:  global
        .offset:         0
        .size:           8
        .value_kind:     global_buffer
      - .address_space:  global
        .offset:         8
        .size:           8
        .value_kind:     global_buffer
      - .address_space:  global
        .offset:         16
        .size:           8
        .value_kind:     global_buffer
    .group_segment_fixed_size: 244
    .kernarg_segment_align: 8
    .kernarg_segment_size: 24
    .language:       OpenCL C
    .language_version:
      - 2
      - 0
    .max_flat_workgroup_size: 1
    .name:           _Z33warp_inclusive_scan_reduce_kernelIiLj1ELj61EENSt9enable_ifIXsr10test_utilsE35device_test_enabled_for_warp_size_vIXT1_EEEvE4typeEPT_S4_S4_
    .private_segment_fixed_size: 0
    .sgpr_count:     17
    .sgpr_spill_count: 0
    .symbol:         _Z33warp_inclusive_scan_reduce_kernelIiLj1ELj61EENSt9enable_ifIXsr10test_utilsE35device_test_enabled_for_warp_size_vIXT1_EEEvE4typeEPT_S4_S4_.kd
    .uniform_work_group_size: 1
    .uses_dynamic_stack: false
    .vgpr_count:     3
    .vgpr_spill_count: 0
    .wavefront_size: 64
  - .args:
      - .address_space:  global
        .offset:         0
        .size:           8
        .value_kind:     global_buffer
      - .address_space:  global
        .offset:         8
        .size:           8
        .value_kind:     global_buffer
      - .address_space:  global
        .offset:         16
        .size:           8
        .value_kind:     global_buffer
    .group_segment_fixed_size: 244
    .kernarg_segment_align: 8
    .kernarg_segment_size: 24
    .language:       OpenCL C
    .language_version:
      - 2
      - 0
    .max_flat_workgroup_size: 61
    .name:           _Z33warp_inclusive_scan_reduce_kernelIiLj61ELj61EENSt9enable_ifIXsr10test_utilsE35device_test_enabled_for_warp_size_vIXT1_EEEvE4typeEPT_S4_S4_
    .private_segment_fixed_size: 0
    .sgpr_count:     14
    .sgpr_spill_count: 0
    .symbol:         _Z33warp_inclusive_scan_reduce_kernelIiLj61ELj61EENSt9enable_ifIXsr10test_utilsE35device_test_enabled_for_warp_size_vIXT1_EEEvE4typeEPT_S4_S4_.kd
    .uniform_work_group_size: 1
    .uses_dynamic_stack: false
    .vgpr_count:     10
    .vgpr_spill_count: 0
    .wavefront_size: 64
  - .args:
      - .address_space:  global
        .offset:         0
        .size:           8
        .value_kind:     global_buffer
      - .address_space:  global
        .offset:         8
        .size:           8
        .value_kind:     global_buffer
      - .address_space:  global
        .offset:         16
        .size:           8
        .value_kind:     global_buffer
    .group_segment_fixed_size: 148
    .kernarg_segment_align: 8
    .kernarg_segment_size: 24
    .language:       OpenCL C
    .language_version:
      - 2
      - 0
    .max_flat_workgroup_size: 1
    .name:           _Z33warp_inclusive_scan_reduce_kernelIiLj1ELj37EENSt9enable_ifIXsr10test_utilsE35device_test_enabled_for_warp_size_vIXT1_EEEvE4typeEPT_S4_S4_
    .private_segment_fixed_size: 0
    .sgpr_count:     17
    .sgpr_spill_count: 0
    .symbol:         _Z33warp_inclusive_scan_reduce_kernelIiLj1ELj37EENSt9enable_ifIXsr10test_utilsE35device_test_enabled_for_warp_size_vIXT1_EEEvE4typeEPT_S4_S4_.kd
    .uniform_work_group_size: 1
    .uses_dynamic_stack: false
    .vgpr_count:     3
    .vgpr_spill_count: 0
    .wavefront_size: 64
  - .args:
      - .address_space:  global
        .offset:         0
        .size:           8
        .value_kind:     global_buffer
      - .address_space:  global
        .offset:         8
        .size:           8
        .value_kind:     global_buffer
      - .address_space:  global
        .offset:         16
        .size:           8
        .value_kind:     global_buffer
    .group_segment_fixed_size: 148
    .kernarg_segment_align: 8
    .kernarg_segment_size: 24
    .language:       OpenCL C
    .language_version:
      - 2
      - 0
    .max_flat_workgroup_size: 37
    .name:           _Z33warp_inclusive_scan_reduce_kernelIiLj37ELj37EENSt9enable_ifIXsr10test_utilsE35device_test_enabled_for_warp_size_vIXT1_EEEvE4typeEPT_S4_S4_
    .private_segment_fixed_size: 0
    .sgpr_count:     14
    .sgpr_spill_count: 0
    .symbol:         _Z33warp_inclusive_scan_reduce_kernelIiLj37ELj37EENSt9enable_ifIXsr10test_utilsE35device_test_enabled_for_warp_size_vIXT1_EEEvE4typeEPT_S4_S4_.kd
    .uniform_work_group_size: 1
    .uses_dynamic_stack: false
    .vgpr_count:     10
    .vgpr_spill_count: 0
    .wavefront_size: 64
  - .args:
      - .address_space:  global
        .offset:         0
        .size:           8
        .value_kind:     global_buffer
      - .address_space:  global
        .offset:         8
        .size:           8
        .value_kind:     global_buffer
      - .address_space:  global
        .offset:         16
        .size:           8
        .value_kind:     global_buffer
    .group_segment_fixed_size: 120
    .kernarg_segment_align: 8
    .kernarg_segment_size: 24
    .language:       OpenCL C
    .language_version:
      - 2
      - 0
    .max_flat_workgroup_size: 30
    .name:           _Z33warp_inclusive_scan_reduce_kernelIiLj30ELj15EENSt9enable_ifIXsr10test_utilsE35device_test_enabled_for_warp_size_vIXT1_EEEvE4typeEPT_S4_S4_
    .private_segment_fixed_size: 0
    .sgpr_count:     14
    .sgpr_spill_count: 0
    .symbol:         _Z33warp_inclusive_scan_reduce_kernelIiLj30ELj15EENSt9enable_ifIXsr10test_utilsE35device_test_enabled_for_warp_size_vIXT1_EEEvE4typeEPT_S4_S4_.kd
    .uniform_work_group_size: 1
    .uses_dynamic_stack: false
    .vgpr_count:     10
    .vgpr_spill_count: 0
    .wavefront_size: 64
  - .args:
      - .address_space:  global
        .offset:         0
        .size:           8
        .value_kind:     global_buffer
      - .address_space:  global
        .offset:         8
        .size:           8
        .value_kind:     global_buffer
      - .address_space:  global
        .offset:         16
        .size:           8
        .value_kind:     global_buffer
    .group_segment_fixed_size: 240
    .kernarg_segment_align: 8
    .kernarg_segment_size: 24
    .language:       OpenCL C
    .language_version:
      - 2
      - 0
    .max_flat_workgroup_size: 60
    .name:           _Z33warp_inclusive_scan_reduce_kernelIiLj60ELj15EENSt9enable_ifIXsr10test_utilsE35device_test_enabled_for_warp_size_vIXT1_EEEvE4typeEPT_S4_S4_
    .private_segment_fixed_size: 0
    .sgpr_count:     14
    .sgpr_spill_count: 0
    .symbol:         _Z33warp_inclusive_scan_reduce_kernelIiLj60ELj15EENSt9enable_ifIXsr10test_utilsE35device_test_enabled_for_warp_size_vIXT1_EEEvE4typeEPT_S4_S4_.kd
    .uniform_work_group_size: 1
    .uses_dynamic_stack: false
    .vgpr_count:     10
    .vgpr_spill_count: 0
    .wavefront_size: 64
  - .args:
      - .address_space:  global
        .offset:         0
        .size:           8
        .value_kind:     global_buffer
      - .address_space:  global
        .offset:         8
        .size:           8
        .value_kind:     global_buffer
      - .address_space:  global
        .offset:         16
        .size:           8
        .value_kind:     global_buffer
    .group_segment_fixed_size: 112
    .kernarg_segment_align: 8
    .kernarg_segment_size: 24
    .language:       OpenCL C
    .language_version:
      - 2
      - 0
    .max_flat_workgroup_size: 28
    .name:           _Z33warp_inclusive_scan_reduce_kernelIiLj28ELj7EENSt9enable_ifIXsr10test_utilsE35device_test_enabled_for_warp_size_vIXT1_EEEvE4typeEPT_S4_S4_
    .private_segment_fixed_size: 0
    .sgpr_count:     14
    .sgpr_spill_count: 0
    .symbol:         _Z33warp_inclusive_scan_reduce_kernelIiLj28ELj7EENSt9enable_ifIXsr10test_utilsE35device_test_enabled_for_warp_size_vIXT1_EEEvE4typeEPT_S4_S4_.kd
    .uniform_work_group_size: 1
    .uses_dynamic_stack: false
    .vgpr_count:     10
    .vgpr_spill_count: 0
    .wavefront_size: 64
  - .args:
      - .address_space:  global
        .offset:         0
        .size:           8
        .value_kind:     global_buffer
      - .address_space:  global
        .offset:         8
        .size:           8
        .value_kind:     global_buffer
      - .address_space:  global
        .offset:         16
        .size:           8
        .value_kind:     global_buffer
    .group_segment_fixed_size: 252
    .kernarg_segment_align: 8
    .kernarg_segment_size: 24
    .language:       OpenCL C
    .language_version:
      - 2
      - 0
    .max_flat_workgroup_size: 63
    .name:           _Z33warp_inclusive_scan_reduce_kernelIiLj63ELj7EENSt9enable_ifIXsr10test_utilsE35device_test_enabled_for_warp_size_vIXT1_EEEvE4typeEPT_S4_S4_
    .private_segment_fixed_size: 0
    .sgpr_count:     14
    .sgpr_spill_count: 0
    .symbol:         _Z33warp_inclusive_scan_reduce_kernelIiLj63ELj7EENSt9enable_ifIXsr10test_utilsE35device_test_enabled_for_warp_size_vIXT1_EEEvE4typeEPT_S4_S4_.kd
    .uniform_work_group_size: 1
    .uses_dynamic_stack: false
    .vgpr_count:     10
    .vgpr_spill_count: 0
    .wavefront_size: 64
  - .args:
      - .address_space:  global
        .offset:         0
        .size:           8
        .value_kind:     global_buffer
      - .address_space:  global
        .offset:         8
        .size:           8
        .value_kind:     global_buffer
      - .address_space:  global
        .offset:         16
        .size:           8
        .value_kind:     global_buffer
    .group_segment_fixed_size: 120
    .kernarg_segment_align: 8
    .kernarg_segment_size: 24
    .language:       OpenCL C
    .language_version:
      - 2
      - 0
    .max_flat_workgroup_size: 30
    .name:           _Z33warp_inclusive_scan_reduce_kernelIiLj30ELj3EENSt9enable_ifIXsr10test_utilsE35device_test_enabled_for_warp_size_vIXT1_EEEvE4typeEPT_S4_S4_
    .private_segment_fixed_size: 0
    .sgpr_count:     14
    .sgpr_spill_count: 0
    .symbol:         _Z33warp_inclusive_scan_reduce_kernelIiLj30ELj3EENSt9enable_ifIXsr10test_utilsE35device_test_enabled_for_warp_size_vIXT1_EEEvE4typeEPT_S4_S4_.kd
    .uniform_work_group_size: 1
    .uses_dynamic_stack: false
    .vgpr_count:     11
    .vgpr_spill_count: 0
    .wavefront_size: 64
  - .args:
      - .address_space:  global
        .offset:         0
        .size:           8
        .value_kind:     global_buffer
      - .address_space:  global
        .offset:         8
        .size:           8
        .value_kind:     global_buffer
      - .address_space:  global
        .offset:         16
        .size:           8
        .value_kind:     global_buffer
    .group_segment_fixed_size: 252
    .kernarg_segment_align: 8
    .kernarg_segment_size: 24
    .language:       OpenCL C
    .language_version:
      - 2
      - 0
    .max_flat_workgroup_size: 63
    .name:           _Z33warp_inclusive_scan_reduce_kernelIiLj63ELj3EENSt9enable_ifIXsr10test_utilsE35device_test_enabled_for_warp_size_vIXT1_EEEvE4typeEPT_S4_S4_
    .private_segment_fixed_size: 0
    .sgpr_count:     14
    .sgpr_spill_count: 0
    .symbol:         _Z33warp_inclusive_scan_reduce_kernelIiLj63ELj3EENSt9enable_ifIXsr10test_utilsE35device_test_enabled_for_warp_size_vIXT1_EEEvE4typeEPT_S4_S4_.kd
    .uniform_work_group_size: 1
    .uses_dynamic_stack: false
    .vgpr_count:     11
    .vgpr_spill_count: 0
    .wavefront_size: 64
  - .args:
      - .address_space:  global
        .offset:         0
        .size:           8
        .value_kind:     global_buffer
      - .address_space:  global
        .offset:         8
        .size:           8
        .value_kind:     global_buffer
      - .address_space:  global
        .offset:         16
        .size:           8
        .value_kind:     global_buffer
    .group_segment_fixed_size: 0
    .kernarg_segment_align: 8
    .kernarg_segment_size: 24
    .language:       OpenCL C
    .language_version:
      - 2
      - 0
    .max_flat_workgroup_size: 256
    .name:           _Z33warp_inclusive_scan_reduce_kernelI12hip_bfloat16Lj256ELj64EENSt9enable_ifIXsr10test_utilsE35device_test_enabled_for_warp_size_vIXT1_EEEvE4typeEPT_S5_S5_
    .private_segment_fixed_size: 0
    .sgpr_count:     14
    .sgpr_spill_count: 0
    .symbol:         _Z33warp_inclusive_scan_reduce_kernelI12hip_bfloat16Lj256ELj64EENSt9enable_ifIXsr10test_utilsE35device_test_enabled_for_warp_size_vIXT1_EEEvE4typeEPT_S5_S5_.kd
    .uniform_work_group_size: 1
    .uses_dynamic_stack: false
    .vgpr_count:     13
    .vgpr_spill_count: 0
    .wavefront_size: 64
  - .args:
      - .address_space:  global
        .offset:         0
        .size:           8
        .value_kind:     global_buffer
      - .address_space:  global
        .offset:         8
        .size:           8
        .value_kind:     global_buffer
      - .address_space:  global
        .offset:         16
        .size:           8
        .value_kind:     global_buffer
    .group_segment_fixed_size: 0
    .kernarg_segment_align: 8
    .kernarg_segment_size: 24
    .language:       OpenCL C
    .language_version:
      - 2
      - 0
    .max_flat_workgroup_size: 128
    .name:           _Z33warp_inclusive_scan_reduce_kernelI12hip_bfloat16Lj128ELj32EENSt9enable_ifIXsr10test_utilsE35device_test_enabled_for_warp_size_vIXT1_EEEvE4typeEPT_S5_S5_
    .private_segment_fixed_size: 0
    .sgpr_count:     14
    .sgpr_spill_count: 0
    .symbol:         _Z33warp_inclusive_scan_reduce_kernelI12hip_bfloat16Lj128ELj32EENSt9enable_ifIXsr10test_utilsE35device_test_enabled_for_warp_size_vIXT1_EEEvE4typeEPT_S5_S5_.kd
    .uniform_work_group_size: 1
    .uses_dynamic_stack: false
    .vgpr_count:     13
    .vgpr_spill_count: 0
    .wavefront_size: 64
  - .args:
      - .address_space:  global
        .offset:         0
        .size:           8
        .value_kind:     global_buffer
      - .address_space:  global
        .offset:         8
        .size:           8
        .value_kind:     global_buffer
      - .address_space:  global
        .offset:         16
        .size:           8
        .value_kind:     global_buffer
    .group_segment_fixed_size: 0
    .kernarg_segment_align: 8
    .kernarg_segment_size: 24
    .language:       OpenCL C
    .language_version:
      - 2
      - 0
    .max_flat_workgroup_size: 64
    .name:           _Z33warp_inclusive_scan_reduce_kernelI12hip_bfloat16Lj64ELj16EENSt9enable_ifIXsr10test_utilsE35device_test_enabled_for_warp_size_vIXT1_EEEvE4typeEPT_S5_S5_
    .private_segment_fixed_size: 0
    .sgpr_count:     14
    .sgpr_spill_count: 0
    .symbol:         _Z33warp_inclusive_scan_reduce_kernelI12hip_bfloat16Lj64ELj16EENSt9enable_ifIXsr10test_utilsE35device_test_enabled_for_warp_size_vIXT1_EEEvE4typeEPT_S5_S5_.kd
    .uniform_work_group_size: 1
    .uses_dynamic_stack: false
    .vgpr_count:     13
    .vgpr_spill_count: 0
    .wavefront_size: 64
  - .args:
      - .address_space:  global
        .offset:         0
        .size:           8
        .value_kind:     global_buffer
      - .address_space:  global
        .offset:         8
        .size:           8
        .value_kind:     global_buffer
      - .address_space:  global
        .offset:         16
        .size:           8
        .value_kind:     global_buffer
    .group_segment_fixed_size: 0
    .kernarg_segment_align: 8
    .kernarg_segment_size: 24
    .language:       OpenCL C
    .language_version:
      - 2
      - 0
    .max_flat_workgroup_size: 32
    .name:           _Z33warp_inclusive_scan_reduce_kernelI12hip_bfloat16Lj32ELj8EENSt9enable_ifIXsr10test_utilsE35device_test_enabled_for_warp_size_vIXT1_EEEvE4typeEPT_S5_S5_
    .private_segment_fixed_size: 0
    .sgpr_count:     14
    .sgpr_spill_count: 0
    .symbol:         _Z33warp_inclusive_scan_reduce_kernelI12hip_bfloat16Lj32ELj8EENSt9enable_ifIXsr10test_utilsE35device_test_enabled_for_warp_size_vIXT1_EEEvE4typeEPT_S5_S5_.kd
    .uniform_work_group_size: 1
    .uses_dynamic_stack: false
    .vgpr_count:     13
    .vgpr_spill_count: 0
    .wavefront_size: 64
  - .args:
      - .address_space:  global
        .offset:         0
        .size:           8
        .value_kind:     global_buffer
      - .address_space:  global
        .offset:         8
        .size:           8
        .value_kind:     global_buffer
      - .address_space:  global
        .offset:         16
        .size:           8
        .value_kind:     global_buffer
    .group_segment_fixed_size: 0
    .kernarg_segment_align: 8
    .kernarg_segment_size: 24
    .language:       OpenCL C
    .language_version:
      - 2
      - 0
    .max_flat_workgroup_size: 64
    .name:           _Z33warp_inclusive_scan_reduce_kernelI12hip_bfloat16Lj64ELj8EENSt9enable_ifIXsr10test_utilsE35device_test_enabled_for_warp_size_vIXT1_EEEvE4typeEPT_S5_S5_
    .private_segment_fixed_size: 0
    .sgpr_count:     14
    .sgpr_spill_count: 0
    .symbol:         _Z33warp_inclusive_scan_reduce_kernelI12hip_bfloat16Lj64ELj8EENSt9enable_ifIXsr10test_utilsE35device_test_enabled_for_warp_size_vIXT1_EEEvE4typeEPT_S5_S5_.kd
    .uniform_work_group_size: 1
    .uses_dynamic_stack: false
    .vgpr_count:     13
    .vgpr_spill_count: 0
    .wavefront_size: 64
  - .args:
      - .address_space:  global
        .offset:         0
        .size:           8
        .value_kind:     global_buffer
      - .address_space:  global
        .offset:         8
        .size:           8
        .value_kind:     global_buffer
      - .address_space:  global
        .offset:         16
        .size:           8
        .value_kind:     global_buffer
    .group_segment_fixed_size: 0
    .kernarg_segment_align: 8
    .kernarg_segment_size: 24
    .language:       OpenCL C
    .language_version:
      - 2
      - 0
    .max_flat_workgroup_size: 32
    .name:           _Z33warp_inclusive_scan_reduce_kernelI12hip_bfloat16Lj32ELj4EENSt9enable_ifIXsr10test_utilsE35device_test_enabled_for_warp_size_vIXT1_EEEvE4typeEPT_S5_S5_
    .private_segment_fixed_size: 0
    .sgpr_count:     14
    .sgpr_spill_count: 0
    .symbol:         _Z33warp_inclusive_scan_reduce_kernelI12hip_bfloat16Lj32ELj4EENSt9enable_ifIXsr10test_utilsE35device_test_enabled_for_warp_size_vIXT1_EEEvE4typeEPT_S5_S5_.kd
    .uniform_work_group_size: 1
    .uses_dynamic_stack: false
    .vgpr_count:     12
    .vgpr_spill_count: 0
    .wavefront_size: 64
  - .args:
      - .address_space:  global
        .offset:         0
        .size:           8
        .value_kind:     global_buffer
      - .address_space:  global
        .offset:         8
        .size:           8
        .value_kind:     global_buffer
      - .address_space:  global
        .offset:         16
        .size:           8
        .value_kind:     global_buffer
    .group_segment_fixed_size: 0
    .kernarg_segment_align: 8
    .kernarg_segment_size: 24
    .language:       OpenCL C
    .language_version:
      - 2
      - 0
    .max_flat_workgroup_size: 64
    .name:           _Z33warp_inclusive_scan_reduce_kernelI12hip_bfloat16Lj64ELj4EENSt9enable_ifIXsr10test_utilsE35device_test_enabled_for_warp_size_vIXT1_EEEvE4typeEPT_S5_S5_
    .private_segment_fixed_size: 0
    .sgpr_count:     14
    .sgpr_spill_count: 0
    .symbol:         _Z33warp_inclusive_scan_reduce_kernelI12hip_bfloat16Lj64ELj4EENSt9enable_ifIXsr10test_utilsE35device_test_enabled_for_warp_size_vIXT1_EEEvE4typeEPT_S5_S5_.kd
    .uniform_work_group_size: 1
    .uses_dynamic_stack: false
    .vgpr_count:     12
    .vgpr_spill_count: 0
    .wavefront_size: 64
  - .args:
      - .address_space:  global
        .offset:         0
        .size:           8
        .value_kind:     global_buffer
      - .address_space:  global
        .offset:         8
        .size:           8
        .value_kind:     global_buffer
      - .address_space:  global
        .offset:         16
        .size:           8
        .value_kind:     global_buffer
    .group_segment_fixed_size: 0
    .kernarg_segment_align: 8
    .kernarg_segment_size: 24
    .language:       OpenCL C
    .language_version:
      - 2
      - 0
    .max_flat_workgroup_size: 32
    .name:           _Z33warp_inclusive_scan_reduce_kernelI12hip_bfloat16Lj32ELj2EENSt9enable_ifIXsr10test_utilsE35device_test_enabled_for_warp_size_vIXT1_EEEvE4typeEPT_S5_S5_
    .private_segment_fixed_size: 0
    .sgpr_count:     14
    .sgpr_spill_count: 0
    .symbol:         _Z33warp_inclusive_scan_reduce_kernelI12hip_bfloat16Lj32ELj2EENSt9enable_ifIXsr10test_utilsE35device_test_enabled_for_warp_size_vIXT1_EEEvE4typeEPT_S5_S5_.kd
    .uniform_work_group_size: 1
    .uses_dynamic_stack: false
    .vgpr_count:     11
    .vgpr_spill_count: 0
    .wavefront_size: 64
  - .args:
      - .address_space:  global
        .offset:         0
        .size:           8
        .value_kind:     global_buffer
      - .address_space:  global
        .offset:         8
        .size:           8
        .value_kind:     global_buffer
      - .address_space:  global
        .offset:         16
        .size:           8
        .value_kind:     global_buffer
    .group_segment_fixed_size: 0
    .kernarg_segment_align: 8
    .kernarg_segment_size: 24
    .language:       OpenCL C
    .language_version:
      - 2
      - 0
    .max_flat_workgroup_size: 64
    .name:           _Z33warp_inclusive_scan_reduce_kernelI12hip_bfloat16Lj64ELj2EENSt9enable_ifIXsr10test_utilsE35device_test_enabled_for_warp_size_vIXT1_EEEvE4typeEPT_S5_S5_
    .private_segment_fixed_size: 0
    .sgpr_count:     14
    .sgpr_spill_count: 0
    .symbol:         _Z33warp_inclusive_scan_reduce_kernelI12hip_bfloat16Lj64ELj2EENSt9enable_ifIXsr10test_utilsE35device_test_enabled_for_warp_size_vIXT1_EEEvE4typeEPT_S5_S5_.kd
    .uniform_work_group_size: 1
    .uses_dynamic_stack: false
    .vgpr_count:     11
    .vgpr_spill_count: 0
    .wavefront_size: 64
  - .args:
      - .address_space:  global
        .offset:         0
        .size:           8
        .value_kind:     global_buffer
      - .address_space:  global
        .offset:         8
        .size:           8
        .value_kind:     global_buffer
      - .address_space:  global
        .offset:         16
        .size:           8
        .value_kind:     global_buffer
    .group_segment_fixed_size: 0
    .kernarg_segment_align: 8
    .kernarg_segment_size: 24
    .language:       OpenCL C
    .language_version:
      - 2
      - 0
    .max_flat_workgroup_size: 256
    .name:           _Z33warp_inclusive_scan_reduce_kernelI6__halfLj256ELj64EENSt9enable_ifIXsr10test_utilsE35device_test_enabled_for_warp_size_vIXT1_EEEvE4typeEPT_S5_S5_
    .private_segment_fixed_size: 0
    .sgpr_count:     18
    .sgpr_spill_count: 0
    .symbol:         _Z33warp_inclusive_scan_reduce_kernelI6__halfLj256ELj64EENSt9enable_ifIXsr10test_utilsE35device_test_enabled_for_warp_size_vIXT1_EEEvE4typeEPT_S5_S5_.kd
    .uniform_work_group_size: 1
    .uses_dynamic_stack: false
    .vgpr_count:     12
    .vgpr_spill_count: 0
    .wavefront_size: 64
  - .args:
      - .address_space:  global
        .offset:         0
        .size:           8
        .value_kind:     global_buffer
      - .address_space:  global
        .offset:         8
        .size:           8
        .value_kind:     global_buffer
      - .address_space:  global
        .offset:         16
        .size:           8
        .value_kind:     global_buffer
    .group_segment_fixed_size: 0
    .kernarg_segment_align: 8
    .kernarg_segment_size: 24
    .language:       OpenCL C
    .language_version:
      - 2
      - 0
    .max_flat_workgroup_size: 128
    .name:           _Z33warp_inclusive_scan_reduce_kernelI6__halfLj128ELj32EENSt9enable_ifIXsr10test_utilsE35device_test_enabled_for_warp_size_vIXT1_EEEvE4typeEPT_S5_S5_
    .private_segment_fixed_size: 0
    .sgpr_count:     18
    .sgpr_spill_count: 0
    .symbol:         _Z33warp_inclusive_scan_reduce_kernelI6__halfLj128ELj32EENSt9enable_ifIXsr10test_utilsE35device_test_enabled_for_warp_size_vIXT1_EEEvE4typeEPT_S5_S5_.kd
    .uniform_work_group_size: 1
    .uses_dynamic_stack: false
    .vgpr_count:     12
    .vgpr_spill_count: 0
    .wavefront_size: 64
  - .args:
      - .address_space:  global
        .offset:         0
        .size:           8
        .value_kind:     global_buffer
      - .address_space:  global
        .offset:         8
        .size:           8
        .value_kind:     global_buffer
      - .address_space:  global
        .offset:         16
        .size:           8
        .value_kind:     global_buffer
    .group_segment_fixed_size: 0
    .kernarg_segment_align: 8
    .kernarg_segment_size: 24
    .language:       OpenCL C
    .language_version:
      - 2
      - 0
    .max_flat_workgroup_size: 64
    .name:           _Z33warp_inclusive_scan_reduce_kernelI6__halfLj64ELj16EENSt9enable_ifIXsr10test_utilsE35device_test_enabled_for_warp_size_vIXT1_EEEvE4typeEPT_S5_S5_
    .private_segment_fixed_size: 0
    .sgpr_count:     18
    .sgpr_spill_count: 0
    .symbol:         _Z33warp_inclusive_scan_reduce_kernelI6__halfLj64ELj16EENSt9enable_ifIXsr10test_utilsE35device_test_enabled_for_warp_size_vIXT1_EEEvE4typeEPT_S5_S5_.kd
    .uniform_work_group_size: 1
    .uses_dynamic_stack: false
    .vgpr_count:     10
    .vgpr_spill_count: 0
    .wavefront_size: 64
  - .args:
      - .address_space:  global
        .offset:         0
        .size:           8
        .value_kind:     global_buffer
      - .address_space:  global
        .offset:         8
        .size:           8
        .value_kind:     global_buffer
      - .address_space:  global
        .offset:         16
        .size:           8
        .value_kind:     global_buffer
    .group_segment_fixed_size: 0
    .kernarg_segment_align: 8
    .kernarg_segment_size: 24
    .language:       OpenCL C
    .language_version:
      - 2
      - 0
    .max_flat_workgroup_size: 32
    .name:           _Z33warp_inclusive_scan_reduce_kernelI6__halfLj32ELj8EENSt9enable_ifIXsr10test_utilsE35device_test_enabled_for_warp_size_vIXT1_EEEvE4typeEPT_S5_S5_
    .private_segment_fixed_size: 0
    .sgpr_count:     18
    .sgpr_spill_count: 0
    .symbol:         _Z33warp_inclusive_scan_reduce_kernelI6__halfLj32ELj8EENSt9enable_ifIXsr10test_utilsE35device_test_enabled_for_warp_size_vIXT1_EEEvE4typeEPT_S5_S5_.kd
    .uniform_work_group_size: 1
    .uses_dynamic_stack: false
    .vgpr_count:     9
    .vgpr_spill_count: 0
    .wavefront_size: 64
  - .args:
      - .address_space:  global
        .offset:         0
        .size:           8
        .value_kind:     global_buffer
      - .address_space:  global
        .offset:         8
        .size:           8
        .value_kind:     global_buffer
      - .address_space:  global
        .offset:         16
        .size:           8
        .value_kind:     global_buffer
    .group_segment_fixed_size: 0
    .kernarg_segment_align: 8
    .kernarg_segment_size: 24
    .language:       OpenCL C
    .language_version:
      - 2
      - 0
    .max_flat_workgroup_size: 64
    .name:           _Z33warp_inclusive_scan_reduce_kernelI6__halfLj64ELj8EENSt9enable_ifIXsr10test_utilsE35device_test_enabled_for_warp_size_vIXT1_EEEvE4typeEPT_S5_S5_
    .private_segment_fixed_size: 0
    .sgpr_count:     18
    .sgpr_spill_count: 0
    .symbol:         _Z33warp_inclusive_scan_reduce_kernelI6__halfLj64ELj8EENSt9enable_ifIXsr10test_utilsE35device_test_enabled_for_warp_size_vIXT1_EEEvE4typeEPT_S5_S5_.kd
    .uniform_work_group_size: 1
    .uses_dynamic_stack: false
    .vgpr_count:     9
    .vgpr_spill_count: 0
    .wavefront_size: 64
  - .args:
      - .address_space:  global
        .offset:         0
        .size:           8
        .value_kind:     global_buffer
      - .address_space:  global
        .offset:         8
        .size:           8
        .value_kind:     global_buffer
      - .address_space:  global
        .offset:         16
        .size:           8
        .value_kind:     global_buffer
    .group_segment_fixed_size: 0
    .kernarg_segment_align: 8
    .kernarg_segment_size: 24
    .language:       OpenCL C
    .language_version:
      - 2
      - 0
    .max_flat_workgroup_size: 32
    .name:           _Z33warp_inclusive_scan_reduce_kernelI6__halfLj32ELj4EENSt9enable_ifIXsr10test_utilsE35device_test_enabled_for_warp_size_vIXT1_EEEvE4typeEPT_S5_S5_
    .private_segment_fixed_size: 0
    .sgpr_count:     18
    .sgpr_spill_count: 0
    .symbol:         _Z33warp_inclusive_scan_reduce_kernelI6__halfLj32ELj4EENSt9enable_ifIXsr10test_utilsE35device_test_enabled_for_warp_size_vIXT1_EEEvE4typeEPT_S5_S5_.kd
    .uniform_work_group_size: 1
    .uses_dynamic_stack: false
    .vgpr_count:     9
    .vgpr_spill_count: 0
    .wavefront_size: 64
  - .args:
      - .address_space:  global
        .offset:         0
        .size:           8
        .value_kind:     global_buffer
      - .address_space:  global
        .offset:         8
        .size:           8
        .value_kind:     global_buffer
      - .address_space:  global
        .offset:         16
        .size:           8
        .value_kind:     global_buffer
    .group_segment_fixed_size: 0
    .kernarg_segment_align: 8
    .kernarg_segment_size: 24
    .language:       OpenCL C
    .language_version:
      - 2
      - 0
    .max_flat_workgroup_size: 64
    .name:           _Z33warp_inclusive_scan_reduce_kernelI6__halfLj64ELj4EENSt9enable_ifIXsr10test_utilsE35device_test_enabled_for_warp_size_vIXT1_EEEvE4typeEPT_S5_S5_
    .private_segment_fixed_size: 0
    .sgpr_count:     18
    .sgpr_spill_count: 0
    .symbol:         _Z33warp_inclusive_scan_reduce_kernelI6__halfLj64ELj4EENSt9enable_ifIXsr10test_utilsE35device_test_enabled_for_warp_size_vIXT1_EEEvE4typeEPT_S5_S5_.kd
    .uniform_work_group_size: 1
    .uses_dynamic_stack: false
    .vgpr_count:     9
    .vgpr_spill_count: 0
    .wavefront_size: 64
  - .args:
      - .address_space:  global
        .offset:         0
        .size:           8
        .value_kind:     global_buffer
      - .address_space:  global
        .offset:         8
        .size:           8
        .value_kind:     global_buffer
      - .address_space:  global
        .offset:         16
        .size:           8
        .value_kind:     global_buffer
    .group_segment_fixed_size: 0
    .kernarg_segment_align: 8
    .kernarg_segment_size: 24
    .language:       OpenCL C
    .language_version:
      - 2
      - 0
    .max_flat_workgroup_size: 32
    .name:           _Z33warp_inclusive_scan_reduce_kernelI6__halfLj32ELj2EENSt9enable_ifIXsr10test_utilsE35device_test_enabled_for_warp_size_vIXT1_EEEvE4typeEPT_S5_S5_
    .private_segment_fixed_size: 0
    .sgpr_count:     14
    .sgpr_spill_count: 0
    .symbol:         _Z33warp_inclusive_scan_reduce_kernelI6__halfLj32ELj2EENSt9enable_ifIXsr10test_utilsE35device_test_enabled_for_warp_size_vIXT1_EEEvE4typeEPT_S5_S5_.kd
    .uniform_work_group_size: 1
    .uses_dynamic_stack: false
    .vgpr_count:     9
    .vgpr_spill_count: 0
    .wavefront_size: 64
  - .args:
      - .address_space:  global
        .offset:         0
        .size:           8
        .value_kind:     global_buffer
      - .address_space:  global
        .offset:         8
        .size:           8
        .value_kind:     global_buffer
      - .address_space:  global
        .offset:         16
        .size:           8
        .value_kind:     global_buffer
    .group_segment_fixed_size: 0
    .kernarg_segment_align: 8
    .kernarg_segment_size: 24
    .language:       OpenCL C
    .language_version:
      - 2
      - 0
    .max_flat_workgroup_size: 64
    .name:           _Z33warp_inclusive_scan_reduce_kernelI6__halfLj64ELj2EENSt9enable_ifIXsr10test_utilsE35device_test_enabled_for_warp_size_vIXT1_EEEvE4typeEPT_S5_S5_
    .private_segment_fixed_size: 0
    .sgpr_count:     14
    .sgpr_spill_count: 0
    .symbol:         _Z33warp_inclusive_scan_reduce_kernelI6__halfLj64ELj2EENSt9enable_ifIXsr10test_utilsE35device_test_enabled_for_warp_size_vIXT1_EEEvE4typeEPT_S5_S5_.kd
    .uniform_work_group_size: 1
    .uses_dynamic_stack: false
    .vgpr_count:     9
    .vgpr_spill_count: 0
    .wavefront_size: 64
  - .args:
      - .address_space:  global
        .offset:         0
        .size:           8
        .value_kind:     global_buffer
      - .address_space:  global
        .offset:         8
        .size:           8
        .value_kind:     global_buffer
      - .address_space:  global
        .offset:         16
        .size:           8
        .value_kind:     global_buffer
    .group_segment_fixed_size: 0
    .kernarg_segment_align: 8
    .kernarg_segment_size: 24
    .language:       OpenCL C
    .language_version:
      - 2
      - 0
    .max_flat_workgroup_size: 256
    .name:           _Z33warp_inclusive_scan_reduce_kernelIfLj256ELj64EENSt9enable_ifIXsr10test_utilsE35device_test_enabled_for_warp_size_vIXT1_EEEvE4typeEPT_S4_S4_
    .private_segment_fixed_size: 0
    .sgpr_count:     18
    .sgpr_spill_count: 0
    .symbol:         _Z33warp_inclusive_scan_reduce_kernelIfLj256ELj64EENSt9enable_ifIXsr10test_utilsE35device_test_enabled_for_warp_size_vIXT1_EEEvE4typeEPT_S4_S4_.kd
    .uniform_work_group_size: 1
    .uses_dynamic_stack: false
    .vgpr_count:     9
    .vgpr_spill_count: 0
    .wavefront_size: 64
  - .args:
      - .address_space:  global
        .offset:         0
        .size:           8
        .value_kind:     global_buffer
      - .address_space:  global
        .offset:         8
        .size:           8
        .value_kind:     global_buffer
      - .address_space:  global
        .offset:         16
        .size:           8
        .value_kind:     global_buffer
    .group_segment_fixed_size: 0
    .kernarg_segment_align: 8
    .kernarg_segment_size: 24
    .language:       OpenCL C
    .language_version:
      - 2
      - 0
    .max_flat_workgroup_size: 128
    .name:           _Z33warp_inclusive_scan_reduce_kernelIfLj128ELj32EENSt9enable_ifIXsr10test_utilsE35device_test_enabled_for_warp_size_vIXT1_EEEvE4typeEPT_S4_S4_
    .private_segment_fixed_size: 0
    .sgpr_count:     18
    .sgpr_spill_count: 0
    .symbol:         _Z33warp_inclusive_scan_reduce_kernelIfLj128ELj32EENSt9enable_ifIXsr10test_utilsE35device_test_enabled_for_warp_size_vIXT1_EEEvE4typeEPT_S4_S4_.kd
    .uniform_work_group_size: 1
    .uses_dynamic_stack: false
    .vgpr_count:     9
    .vgpr_spill_count: 0
    .wavefront_size: 64
  - .args:
      - .address_space:  global
        .offset:         0
        .size:           8
        .value_kind:     global_buffer
      - .address_space:  global
        .offset:         8
        .size:           8
        .value_kind:     global_buffer
      - .address_space:  global
        .offset:         16
        .size:           8
        .value_kind:     global_buffer
    .group_segment_fixed_size: 0
    .kernarg_segment_align: 8
    .kernarg_segment_size: 24
    .language:       OpenCL C
    .language_version:
      - 2
      - 0
    .max_flat_workgroup_size: 64
    .name:           _Z33warp_inclusive_scan_reduce_kernelIfLj64ELj16EENSt9enable_ifIXsr10test_utilsE35device_test_enabled_for_warp_size_vIXT1_EEEvE4typeEPT_S4_S4_
    .private_segment_fixed_size: 0
    .sgpr_count:     18
    .sgpr_spill_count: 0
    .symbol:         _Z33warp_inclusive_scan_reduce_kernelIfLj64ELj16EENSt9enable_ifIXsr10test_utilsE35device_test_enabled_for_warp_size_vIXT1_EEEvE4typeEPT_S4_S4_.kd
    .uniform_work_group_size: 1
    .uses_dynamic_stack: false
    .vgpr_count:     8
    .vgpr_spill_count: 0
    .wavefront_size: 64
  - .args:
      - .address_space:  global
        .offset:         0
        .size:           8
        .value_kind:     global_buffer
      - .address_space:  global
        .offset:         8
        .size:           8
        .value_kind:     global_buffer
      - .address_space:  global
        .offset:         16
        .size:           8
        .value_kind:     global_buffer
    .group_segment_fixed_size: 0
    .kernarg_segment_align: 8
    .kernarg_segment_size: 24
    .language:       OpenCL C
    .language_version:
      - 2
      - 0
    .max_flat_workgroup_size: 32
    .name:           _Z33warp_inclusive_scan_reduce_kernelIfLj32ELj8EENSt9enable_ifIXsr10test_utilsE35device_test_enabled_for_warp_size_vIXT1_EEEvE4typeEPT_S4_S4_
    .private_segment_fixed_size: 0
    .sgpr_count:     18
    .sgpr_spill_count: 0
    .symbol:         _Z33warp_inclusive_scan_reduce_kernelIfLj32ELj8EENSt9enable_ifIXsr10test_utilsE35device_test_enabled_for_warp_size_vIXT1_EEEvE4typeEPT_S4_S4_.kd
    .uniform_work_group_size: 1
    .uses_dynamic_stack: false
    .vgpr_count:     8
    .vgpr_spill_count: 0
    .wavefront_size: 64
  - .args:
      - .address_space:  global
        .offset:         0
        .size:           8
        .value_kind:     global_buffer
      - .address_space:  global
        .offset:         8
        .size:           8
        .value_kind:     global_buffer
      - .address_space:  global
        .offset:         16
        .size:           8
        .value_kind:     global_buffer
    .group_segment_fixed_size: 0
    .kernarg_segment_align: 8
    .kernarg_segment_size: 24
    .language:       OpenCL C
    .language_version:
      - 2
      - 0
    .max_flat_workgroup_size: 64
    .name:           _Z33warp_inclusive_scan_reduce_kernelIfLj64ELj8EENSt9enable_ifIXsr10test_utilsE35device_test_enabled_for_warp_size_vIXT1_EEEvE4typeEPT_S4_S4_
    .private_segment_fixed_size: 0
    .sgpr_count:     18
    .sgpr_spill_count: 0
    .symbol:         _Z33warp_inclusive_scan_reduce_kernelIfLj64ELj8EENSt9enable_ifIXsr10test_utilsE35device_test_enabled_for_warp_size_vIXT1_EEEvE4typeEPT_S4_S4_.kd
    .uniform_work_group_size: 1
    .uses_dynamic_stack: false
    .vgpr_count:     8
    .vgpr_spill_count: 0
    .wavefront_size: 64
  - .args:
      - .address_space:  global
        .offset:         0
        .size:           8
        .value_kind:     global_buffer
      - .address_space:  global
        .offset:         8
        .size:           8
        .value_kind:     global_buffer
      - .address_space:  global
        .offset:         16
        .size:           8
        .value_kind:     global_buffer
    .group_segment_fixed_size: 0
    .kernarg_segment_align: 8
    .kernarg_segment_size: 24
    .language:       OpenCL C
    .language_version:
      - 2
      - 0
    .max_flat_workgroup_size: 32
    .name:           _Z33warp_inclusive_scan_reduce_kernelIfLj32ELj4EENSt9enable_ifIXsr10test_utilsE35device_test_enabled_for_warp_size_vIXT1_EEEvE4typeEPT_S4_S4_
    .private_segment_fixed_size: 0
    .sgpr_count:     18
    .sgpr_spill_count: 0
    .symbol:         _Z33warp_inclusive_scan_reduce_kernelIfLj32ELj4EENSt9enable_ifIXsr10test_utilsE35device_test_enabled_for_warp_size_vIXT1_EEEvE4typeEPT_S4_S4_.kd
    .uniform_work_group_size: 1
    .uses_dynamic_stack: false
    .vgpr_count:     8
    .vgpr_spill_count: 0
    .wavefront_size: 64
  - .args:
      - .address_space:  global
        .offset:         0
        .size:           8
        .value_kind:     global_buffer
      - .address_space:  global
        .offset:         8
        .size:           8
        .value_kind:     global_buffer
      - .address_space:  global
        .offset:         16
        .size:           8
        .value_kind:     global_buffer
    .group_segment_fixed_size: 0
    .kernarg_segment_align: 8
    .kernarg_segment_size: 24
    .language:       OpenCL C
    .language_version:
      - 2
      - 0
    .max_flat_workgroup_size: 64
    .name:           _Z33warp_inclusive_scan_reduce_kernelIfLj64ELj4EENSt9enable_ifIXsr10test_utilsE35device_test_enabled_for_warp_size_vIXT1_EEEvE4typeEPT_S4_S4_
    .private_segment_fixed_size: 0
    .sgpr_count:     18
    .sgpr_spill_count: 0
    .symbol:         _Z33warp_inclusive_scan_reduce_kernelIfLj64ELj4EENSt9enable_ifIXsr10test_utilsE35device_test_enabled_for_warp_size_vIXT1_EEEvE4typeEPT_S4_S4_.kd
    .uniform_work_group_size: 1
    .uses_dynamic_stack: false
    .vgpr_count:     8
    .vgpr_spill_count: 0
    .wavefront_size: 64
  - .args:
      - .address_space:  global
        .offset:         0
        .size:           8
        .value_kind:     global_buffer
      - .address_space:  global
        .offset:         8
        .size:           8
        .value_kind:     global_buffer
      - .address_space:  global
        .offset:         16
        .size:           8
        .value_kind:     global_buffer
    .group_segment_fixed_size: 0
    .kernarg_segment_align: 8
    .kernarg_segment_size: 24
    .language:       OpenCL C
    .language_version:
      - 2
      - 0
    .max_flat_workgroup_size: 32
    .name:           _Z33warp_inclusive_scan_reduce_kernelIfLj32ELj2EENSt9enable_ifIXsr10test_utilsE35device_test_enabled_for_warp_size_vIXT1_EEEvE4typeEPT_S4_S4_
    .private_segment_fixed_size: 0
    .sgpr_count:     14
    .sgpr_spill_count: 0
    .symbol:         _Z33warp_inclusive_scan_reduce_kernelIfLj32ELj2EENSt9enable_ifIXsr10test_utilsE35device_test_enabled_for_warp_size_vIXT1_EEEvE4typeEPT_S4_S4_.kd
    .uniform_work_group_size: 1
    .uses_dynamic_stack: false
    .vgpr_count:     8
    .vgpr_spill_count: 0
    .wavefront_size: 64
  - .args:
      - .address_space:  global
        .offset:         0
        .size:           8
        .value_kind:     global_buffer
      - .address_space:  global
        .offset:         8
        .size:           8
        .value_kind:     global_buffer
      - .address_space:  global
        .offset:         16
        .size:           8
        .value_kind:     global_buffer
    .group_segment_fixed_size: 0
    .kernarg_segment_align: 8
    .kernarg_segment_size: 24
    .language:       OpenCL C
    .language_version:
      - 2
      - 0
    .max_flat_workgroup_size: 64
    .name:           _Z33warp_inclusive_scan_reduce_kernelIfLj64ELj2EENSt9enable_ifIXsr10test_utilsE35device_test_enabled_for_warp_size_vIXT1_EEEvE4typeEPT_S4_S4_
    .private_segment_fixed_size: 0
    .sgpr_count:     14
    .sgpr_spill_count: 0
    .symbol:         _Z33warp_inclusive_scan_reduce_kernelIfLj64ELj2EENSt9enable_ifIXsr10test_utilsE35device_test_enabled_for_warp_size_vIXT1_EEEvE4typeEPT_S4_S4_.kd
    .uniform_work_group_size: 1
    .uses_dynamic_stack: false
    .vgpr_count:     8
    .vgpr_spill_count: 0
    .wavefront_size: 64
  - .args:
      - .address_space:  global
        .offset:         0
        .size:           8
        .value_kind:     global_buffer
      - .address_space:  global
        .offset:         8
        .size:           8
        .value_kind:     global_buffer
      - .address_space:  global
        .offset:         16
        .size:           8
        .value_kind:     global_buffer
    .group_segment_fixed_size: 0
    .kernarg_segment_align: 8
    .kernarg_segment_size: 24
    .language:       OpenCL C
    .language_version:
      - 2
      - 0
    .max_flat_workgroup_size: 256
    .name:           _Z33warp_inclusive_scan_reduce_kernelIiLj256ELj64EENSt9enable_ifIXsr10test_utilsE35device_test_enabled_for_warp_size_vIXT1_EEEvE4typeEPT_S4_S4_
    .private_segment_fixed_size: 0
    .sgpr_count:     22
    .sgpr_spill_count: 0
    .symbol:         _Z33warp_inclusive_scan_reduce_kernelIiLj256ELj64EENSt9enable_ifIXsr10test_utilsE35device_test_enabled_for_warp_size_vIXT1_EEEvE4typeEPT_S4_S4_.kd
    .uniform_work_group_size: 1
    .uses_dynamic_stack: false
    .vgpr_count:     8
    .vgpr_spill_count: 0
    .wavefront_size: 64
  - .args:
      - .address_space:  global
        .offset:         0
        .size:           8
        .value_kind:     global_buffer
      - .address_space:  global
        .offset:         8
        .size:           8
        .value_kind:     global_buffer
      - .address_space:  global
        .offset:         16
        .size:           8
        .value_kind:     global_buffer
    .group_segment_fixed_size: 0
    .kernarg_segment_align: 8
    .kernarg_segment_size: 24
    .language:       OpenCL C
    .language_version:
      - 2
      - 0
    .max_flat_workgroup_size: 128
    .name:           _Z33warp_inclusive_scan_reduce_kernelIiLj128ELj32EENSt9enable_ifIXsr10test_utilsE35device_test_enabled_for_warp_size_vIXT1_EEEvE4typeEPT_S4_S4_
    .private_segment_fixed_size: 0
    .sgpr_count:     20
    .sgpr_spill_count: 0
    .symbol:         _Z33warp_inclusive_scan_reduce_kernelIiLj128ELj32EENSt9enable_ifIXsr10test_utilsE35device_test_enabled_for_warp_size_vIXT1_EEEvE4typeEPT_S4_S4_.kd
    .uniform_work_group_size: 1
    .uses_dynamic_stack: false
    .vgpr_count:     8
    .vgpr_spill_count: 0
    .wavefront_size: 64
  - .args:
      - .address_space:  global
        .offset:         0
        .size:           8
        .value_kind:     global_buffer
      - .address_space:  global
        .offset:         8
        .size:           8
        .value_kind:     global_buffer
      - .address_space:  global
        .offset:         16
        .size:           8
        .value_kind:     global_buffer
    .group_segment_fixed_size: 0
    .kernarg_segment_align: 8
    .kernarg_segment_size: 24
    .language:       OpenCL C
    .language_version:
      - 2
      - 0
    .max_flat_workgroup_size: 64
    .name:           _Z33warp_inclusive_scan_reduce_kernelIiLj64ELj16EENSt9enable_ifIXsr10test_utilsE35device_test_enabled_for_warp_size_vIXT1_EEEvE4typeEPT_S4_S4_
    .private_segment_fixed_size: 0
    .sgpr_count:     18
    .sgpr_spill_count: 0
    .symbol:         _Z33warp_inclusive_scan_reduce_kernelIiLj64ELj16EENSt9enable_ifIXsr10test_utilsE35device_test_enabled_for_warp_size_vIXT1_EEEvE4typeEPT_S4_S4_.kd
    .uniform_work_group_size: 1
    .uses_dynamic_stack: false
    .vgpr_count:     8
    .vgpr_spill_count: 0
    .wavefront_size: 64
  - .args:
      - .address_space:  global
        .offset:         0
        .size:           8
        .value_kind:     global_buffer
      - .address_space:  global
        .offset:         8
        .size:           8
        .value_kind:     global_buffer
      - .address_space:  global
        .offset:         16
        .size:           8
        .value_kind:     global_buffer
    .group_segment_fixed_size: 0
    .kernarg_segment_align: 8
    .kernarg_segment_size: 24
    .language:       OpenCL C
    .language_version:
      - 2
      - 0
    .max_flat_workgroup_size: 32
    .name:           _Z33warp_inclusive_scan_reduce_kernelIiLj32ELj8EENSt9enable_ifIXsr10test_utilsE35device_test_enabled_for_warp_size_vIXT1_EEEvE4typeEPT_S4_S4_
    .private_segment_fixed_size: 0
    .sgpr_count:     18
    .sgpr_spill_count: 0
    .symbol:         _Z33warp_inclusive_scan_reduce_kernelIiLj32ELj8EENSt9enable_ifIXsr10test_utilsE35device_test_enabled_for_warp_size_vIXT1_EEEvE4typeEPT_S4_S4_.kd
    .uniform_work_group_size: 1
    .uses_dynamic_stack: false
    .vgpr_count:     8
    .vgpr_spill_count: 0
    .wavefront_size: 64
  - .args:
      - .address_space:  global
        .offset:         0
        .size:           8
        .value_kind:     global_buffer
      - .address_space:  global
        .offset:         8
        .size:           8
        .value_kind:     global_buffer
      - .address_space:  global
        .offset:         16
        .size:           8
        .value_kind:     global_buffer
    .group_segment_fixed_size: 0
    .kernarg_segment_align: 8
    .kernarg_segment_size: 24
    .language:       OpenCL C
    .language_version:
      - 2
      - 0
    .max_flat_workgroup_size: 64
    .name:           _Z33warp_inclusive_scan_reduce_kernelIiLj64ELj8EENSt9enable_ifIXsr10test_utilsE35device_test_enabled_for_warp_size_vIXT1_EEEvE4typeEPT_S4_S4_
    .private_segment_fixed_size: 0
    .sgpr_count:     18
    .sgpr_spill_count: 0
    .symbol:         _Z33warp_inclusive_scan_reduce_kernelIiLj64ELj8EENSt9enable_ifIXsr10test_utilsE35device_test_enabled_for_warp_size_vIXT1_EEEvE4typeEPT_S4_S4_.kd
    .uniform_work_group_size: 1
    .uses_dynamic_stack: false
    .vgpr_count:     8
    .vgpr_spill_count: 0
    .wavefront_size: 64
  - .args:
      - .address_space:  global
        .offset:         0
        .size:           8
        .value_kind:     global_buffer
      - .address_space:  global
        .offset:         8
        .size:           8
        .value_kind:     global_buffer
      - .address_space:  global
        .offset:         16
        .size:           8
        .value_kind:     global_buffer
    .group_segment_fixed_size: 0
    .kernarg_segment_align: 8
    .kernarg_segment_size: 24
    .language:       OpenCL C
    .language_version:
      - 2
      - 0
    .max_flat_workgroup_size: 32
    .name:           _Z33warp_inclusive_scan_reduce_kernelIiLj32ELj4EENSt9enable_ifIXsr10test_utilsE35device_test_enabled_for_warp_size_vIXT1_EEEvE4typeEPT_S4_S4_
    .private_segment_fixed_size: 0
    .sgpr_count:     18
    .sgpr_spill_count: 0
    .symbol:         _Z33warp_inclusive_scan_reduce_kernelIiLj32ELj4EENSt9enable_ifIXsr10test_utilsE35device_test_enabled_for_warp_size_vIXT1_EEEvE4typeEPT_S4_S4_.kd
    .uniform_work_group_size: 1
    .uses_dynamic_stack: false
    .vgpr_count:     8
    .vgpr_spill_count: 0
    .wavefront_size: 64
  - .args:
      - .address_space:  global
        .offset:         0
        .size:           8
        .value_kind:     global_buffer
      - .address_space:  global
        .offset:         8
        .size:           8
        .value_kind:     global_buffer
      - .address_space:  global
        .offset:         16
        .size:           8
        .value_kind:     global_buffer
    .group_segment_fixed_size: 0
    .kernarg_segment_align: 8
    .kernarg_segment_size: 24
    .language:       OpenCL C
    .language_version:
      - 2
      - 0
    .max_flat_workgroup_size: 64
    .name:           _Z33warp_inclusive_scan_reduce_kernelIiLj64ELj4EENSt9enable_ifIXsr10test_utilsE35device_test_enabled_for_warp_size_vIXT1_EEEvE4typeEPT_S4_S4_
    .private_segment_fixed_size: 0
    .sgpr_count:     18
    .sgpr_spill_count: 0
    .symbol:         _Z33warp_inclusive_scan_reduce_kernelIiLj64ELj4EENSt9enable_ifIXsr10test_utilsE35device_test_enabled_for_warp_size_vIXT1_EEEvE4typeEPT_S4_S4_.kd
    .uniform_work_group_size: 1
    .uses_dynamic_stack: false
    .vgpr_count:     8
    .vgpr_spill_count: 0
    .wavefront_size: 64
  - .args:
      - .address_space:  global
        .offset:         0
        .size:           8
        .value_kind:     global_buffer
      - .address_space:  global
        .offset:         8
        .size:           8
        .value_kind:     global_buffer
      - .address_space:  global
        .offset:         16
        .size:           8
        .value_kind:     global_buffer
    .group_segment_fixed_size: 0
    .kernarg_segment_align: 8
    .kernarg_segment_size: 24
    .language:       OpenCL C
    .language_version:
      - 2
      - 0
    .max_flat_workgroup_size: 32
    .name:           _Z33warp_inclusive_scan_reduce_kernelIiLj32ELj2EENSt9enable_ifIXsr10test_utilsE35device_test_enabled_for_warp_size_vIXT1_EEEvE4typeEPT_S4_S4_
    .private_segment_fixed_size: 0
    .sgpr_count:     14
    .sgpr_spill_count: 0
    .symbol:         _Z33warp_inclusive_scan_reduce_kernelIiLj32ELj2EENSt9enable_ifIXsr10test_utilsE35device_test_enabled_for_warp_size_vIXT1_EEEvE4typeEPT_S4_S4_.kd
    .uniform_work_group_size: 1
    .uses_dynamic_stack: false
    .vgpr_count:     8
    .vgpr_spill_count: 0
    .wavefront_size: 64
  - .args:
      - .address_space:  global
        .offset:         0
        .size:           8
        .value_kind:     global_buffer
      - .address_space:  global
        .offset:         8
        .size:           8
        .value_kind:     global_buffer
      - .address_space:  global
        .offset:         16
        .size:           8
        .value_kind:     global_buffer
    .group_segment_fixed_size: 0
    .kernarg_segment_align: 8
    .kernarg_segment_size: 24
    .language:       OpenCL C
    .language_version:
      - 2
      - 0
    .max_flat_workgroup_size: 64
    .name:           _Z33warp_inclusive_scan_reduce_kernelIiLj64ELj2EENSt9enable_ifIXsr10test_utilsE35device_test_enabled_for_warp_size_vIXT1_EEEvE4typeEPT_S4_S4_
    .private_segment_fixed_size: 0
    .sgpr_count:     14
    .sgpr_spill_count: 0
    .symbol:         _Z33warp_inclusive_scan_reduce_kernelIiLj64ELj2EENSt9enable_ifIXsr10test_utilsE35device_test_enabled_for_warp_size_vIXT1_EEEvE4typeEPT_S4_S4_.kd
    .uniform_work_group_size: 1
    .uses_dynamic_stack: false
    .vgpr_count:     8
    .vgpr_spill_count: 0
    .wavefront_size: 64
  - .args:
      - .address_space:  global
        .offset:         0
        .size:           8
        .value_kind:     global_buffer
      - .address_space:  global
        .offset:         8
        .size:           8
        .value_kind:     global_buffer
      - .offset:         16
        .size:           4
        .value_kind:     by_value
      - .offset:         24
        .size:           4
        .value_kind:     hidden_block_count_x
      - .offset:         28
        .size:           4
        .value_kind:     hidden_block_count_y
      - .offset:         32
        .size:           4
        .value_kind:     hidden_block_count_z
      - .offset:         36
        .size:           2
        .value_kind:     hidden_group_size_x
      - .offset:         38
        .size:           2
        .value_kind:     hidden_group_size_y
      - .offset:         40
        .size:           2
        .value_kind:     hidden_group_size_z
      - .offset:         42
        .size:           2
        .value_kind:     hidden_remainder_x
      - .offset:         44
        .size:           2
        .value_kind:     hidden_remainder_y
      - .offset:         46
        .size:           2
        .value_kind:     hidden_remainder_z
      - .offset:         64
        .size:           8
        .value_kind:     hidden_global_offset_x
      - .offset:         72
        .size:           8
        .value_kind:     hidden_global_offset_y
      - .offset:         80
        .size:           8
        .value_kind:     hidden_global_offset_z
      - .offset:         88
        .size:           2
        .value_kind:     hidden_grid_dims
    .group_segment_fixed_size: 244
    .kernarg_segment_align: 8
    .kernarg_segment_size: 280
    .language:       OpenCL C
    .language_version:
      - 2
      - 0
    .max_flat_workgroup_size: 1
    .name:           _Z26warp_exclusive_scan_kernelIfLj1ELj61EENSt9enable_ifIXsr10test_utilsE35device_test_enabled_for_warp_size_vIXT1_EEEvE4typeEPT_S4_S3_
    .private_segment_fixed_size: 0
    .sgpr_count:     15
    .sgpr_spill_count: 0
    .symbol:         _Z26warp_exclusive_scan_kernelIfLj1ELj61EENSt9enable_ifIXsr10test_utilsE35device_test_enabled_for_warp_size_vIXT1_EEEvE4typeEPT_S4_S3_.kd
    .uniform_work_group_size: 1
    .uses_dynamic_stack: false
    .vgpr_count:     4
    .vgpr_spill_count: 0
    .wavefront_size: 64
  - .args:
      - .address_space:  global
        .offset:         0
        .size:           8
        .value_kind:     global_buffer
      - .address_space:  global
        .offset:         8
        .size:           8
        .value_kind:     global_buffer
      - .offset:         16
        .size:           4
        .value_kind:     by_value
      - .offset:         24
        .size:           4
        .value_kind:     hidden_block_count_x
      - .offset:         28
        .size:           4
        .value_kind:     hidden_block_count_y
      - .offset:         32
        .size:           4
        .value_kind:     hidden_block_count_z
      - .offset:         36
        .size:           2
        .value_kind:     hidden_group_size_x
      - .offset:         38
        .size:           2
        .value_kind:     hidden_group_size_y
      - .offset:         40
        .size:           2
        .value_kind:     hidden_group_size_z
      - .offset:         42
        .size:           2
        .value_kind:     hidden_remainder_x
      - .offset:         44
        .size:           2
        .value_kind:     hidden_remainder_y
      - .offset:         46
        .size:           2
        .value_kind:     hidden_remainder_z
      - .offset:         64
        .size:           8
        .value_kind:     hidden_global_offset_x
      - .offset:         72
        .size:           8
        .value_kind:     hidden_global_offset_y
      - .offset:         80
        .size:           8
        .value_kind:     hidden_global_offset_z
      - .offset:         88
        .size:           2
        .value_kind:     hidden_grid_dims
    .group_segment_fixed_size: 244
    .kernarg_segment_align: 8
    .kernarg_segment_size: 280
    .language:       OpenCL C
    .language_version:
      - 2
      - 0
    .max_flat_workgroup_size: 61
    .name:           _Z26warp_exclusive_scan_kernelIfLj61ELj61EENSt9enable_ifIXsr10test_utilsE35device_test_enabled_for_warp_size_vIXT1_EEEvE4typeEPT_S4_S3_
    .private_segment_fixed_size: 0
    .sgpr_count:     12
    .sgpr_spill_count: 0
    .symbol:         _Z26warp_exclusive_scan_kernelIfLj61ELj61EENSt9enable_ifIXsr10test_utilsE35device_test_enabled_for_warp_size_vIXT1_EEEvE4typeEPT_S4_S3_.kd
    .uniform_work_group_size: 1
    .uses_dynamic_stack: false
    .vgpr_count:     7
    .vgpr_spill_count: 0
    .wavefront_size: 64
  - .args:
      - .address_space:  global
        .offset:         0
        .size:           8
        .value_kind:     global_buffer
      - .address_space:  global
        .offset:         8
        .size:           8
        .value_kind:     global_buffer
      - .offset:         16
        .size:           4
        .value_kind:     by_value
      - .offset:         24
        .size:           4
        .value_kind:     hidden_block_count_x
      - .offset:         28
        .size:           4
        .value_kind:     hidden_block_count_y
      - .offset:         32
        .size:           4
        .value_kind:     hidden_block_count_z
      - .offset:         36
        .size:           2
        .value_kind:     hidden_group_size_x
      - .offset:         38
        .size:           2
        .value_kind:     hidden_group_size_y
      - .offset:         40
        .size:           2
        .value_kind:     hidden_group_size_z
      - .offset:         42
        .size:           2
        .value_kind:     hidden_remainder_x
      - .offset:         44
        .size:           2
        .value_kind:     hidden_remainder_y
      - .offset:         46
        .size:           2
        .value_kind:     hidden_remainder_z
      - .offset:         64
        .size:           8
        .value_kind:     hidden_global_offset_x
      - .offset:         72
        .size:           8
        .value_kind:     hidden_global_offset_y
      - .offset:         80
        .size:           8
        .value_kind:     hidden_global_offset_z
      - .offset:         88
        .size:           2
        .value_kind:     hidden_grid_dims
    .group_segment_fixed_size: 148
    .kernarg_segment_align: 8
    .kernarg_segment_size: 280
    .language:       OpenCL C
    .language_version:
      - 2
      - 0
    .max_flat_workgroup_size: 1
    .name:           _Z26warp_exclusive_scan_kernelIfLj1ELj37EENSt9enable_ifIXsr10test_utilsE35device_test_enabled_for_warp_size_vIXT1_EEEvE4typeEPT_S4_S3_
    .private_segment_fixed_size: 0
    .sgpr_count:     15
    .sgpr_spill_count: 0
    .symbol:         _Z26warp_exclusive_scan_kernelIfLj1ELj37EENSt9enable_ifIXsr10test_utilsE35device_test_enabled_for_warp_size_vIXT1_EEEvE4typeEPT_S4_S3_.kd
    .uniform_work_group_size: 1
    .uses_dynamic_stack: false
    .vgpr_count:     4
    .vgpr_spill_count: 0
    .wavefront_size: 64
  - .args:
      - .address_space:  global
        .offset:         0
        .size:           8
        .value_kind:     global_buffer
      - .address_space:  global
        .offset:         8
        .size:           8
        .value_kind:     global_buffer
      - .offset:         16
        .size:           4
        .value_kind:     by_value
      - .offset:         24
        .size:           4
        .value_kind:     hidden_block_count_x
      - .offset:         28
        .size:           4
        .value_kind:     hidden_block_count_y
      - .offset:         32
        .size:           4
        .value_kind:     hidden_block_count_z
      - .offset:         36
        .size:           2
        .value_kind:     hidden_group_size_x
      - .offset:         38
        .size:           2
        .value_kind:     hidden_group_size_y
      - .offset:         40
        .size:           2
        .value_kind:     hidden_group_size_z
      - .offset:         42
        .size:           2
        .value_kind:     hidden_remainder_x
      - .offset:         44
        .size:           2
        .value_kind:     hidden_remainder_y
      - .offset:         46
        .size:           2
        .value_kind:     hidden_remainder_z
      - .offset:         64
        .size:           8
        .value_kind:     hidden_global_offset_x
      - .offset:         72
        .size:           8
        .value_kind:     hidden_global_offset_y
      - .offset:         80
        .size:           8
        .value_kind:     hidden_global_offset_z
      - .offset:         88
        .size:           2
        .value_kind:     hidden_grid_dims
    .group_segment_fixed_size: 148
    .kernarg_segment_align: 8
    .kernarg_segment_size: 280
    .language:       OpenCL C
    .language_version:
      - 2
      - 0
    .max_flat_workgroup_size: 37
    .name:           _Z26warp_exclusive_scan_kernelIfLj37ELj37EENSt9enable_ifIXsr10test_utilsE35device_test_enabled_for_warp_size_vIXT1_EEEvE4typeEPT_S4_S3_
    .private_segment_fixed_size: 0
    .sgpr_count:     12
    .sgpr_spill_count: 0
    .symbol:         _Z26warp_exclusive_scan_kernelIfLj37ELj37EENSt9enable_ifIXsr10test_utilsE35device_test_enabled_for_warp_size_vIXT1_EEEvE4typeEPT_S4_S3_.kd
    .uniform_work_group_size: 1
    .uses_dynamic_stack: false
    .vgpr_count:     7
    .vgpr_spill_count: 0
    .wavefront_size: 64
  - .args:
      - .address_space:  global
        .offset:         0
        .size:           8
        .value_kind:     global_buffer
      - .address_space:  global
        .offset:         8
        .size:           8
        .value_kind:     global_buffer
      - .offset:         16
        .size:           4
        .value_kind:     by_value
      - .offset:         24
        .size:           4
        .value_kind:     hidden_block_count_x
      - .offset:         28
        .size:           4
        .value_kind:     hidden_block_count_y
      - .offset:         32
        .size:           4
        .value_kind:     hidden_block_count_z
      - .offset:         36
        .size:           2
        .value_kind:     hidden_group_size_x
      - .offset:         38
        .size:           2
        .value_kind:     hidden_group_size_y
      - .offset:         40
        .size:           2
        .value_kind:     hidden_group_size_z
      - .offset:         42
        .size:           2
        .value_kind:     hidden_remainder_x
      - .offset:         44
        .size:           2
        .value_kind:     hidden_remainder_y
      - .offset:         46
        .size:           2
        .value_kind:     hidden_remainder_z
      - .offset:         64
        .size:           8
        .value_kind:     hidden_global_offset_x
      - .offset:         72
        .size:           8
        .value_kind:     hidden_global_offset_y
      - .offset:         80
        .size:           8
        .value_kind:     hidden_global_offset_z
      - .offset:         88
        .size:           2
        .value_kind:     hidden_grid_dims
    .group_segment_fixed_size: 120
    .kernarg_segment_align: 8
    .kernarg_segment_size: 280
    .language:       OpenCL C
    .language_version:
      - 2
      - 0
    .max_flat_workgroup_size: 30
    .name:           _Z26warp_exclusive_scan_kernelIfLj30ELj15EENSt9enable_ifIXsr10test_utilsE35device_test_enabled_for_warp_size_vIXT1_EEEvE4typeEPT_S4_S3_
    .private_segment_fixed_size: 0
    .sgpr_count:     12
    .sgpr_spill_count: 0
    .symbol:         _Z26warp_exclusive_scan_kernelIfLj30ELj15EENSt9enable_ifIXsr10test_utilsE35device_test_enabled_for_warp_size_vIXT1_EEEvE4typeEPT_S4_S3_.kd
    .uniform_work_group_size: 1
    .uses_dynamic_stack: false
    .vgpr_count:     7
    .vgpr_spill_count: 0
    .wavefront_size: 64
  - .args:
      - .address_space:  global
        .offset:         0
        .size:           8
        .value_kind:     global_buffer
      - .address_space:  global
        .offset:         8
        .size:           8
        .value_kind:     global_buffer
      - .offset:         16
        .size:           4
        .value_kind:     by_value
      - .offset:         24
        .size:           4
        .value_kind:     hidden_block_count_x
      - .offset:         28
        .size:           4
        .value_kind:     hidden_block_count_y
      - .offset:         32
        .size:           4
        .value_kind:     hidden_block_count_z
      - .offset:         36
        .size:           2
        .value_kind:     hidden_group_size_x
      - .offset:         38
        .size:           2
        .value_kind:     hidden_group_size_y
      - .offset:         40
        .size:           2
        .value_kind:     hidden_group_size_z
      - .offset:         42
        .size:           2
        .value_kind:     hidden_remainder_x
      - .offset:         44
        .size:           2
        .value_kind:     hidden_remainder_y
      - .offset:         46
        .size:           2
        .value_kind:     hidden_remainder_z
      - .offset:         64
        .size:           8
        .value_kind:     hidden_global_offset_x
      - .offset:         72
        .size:           8
        .value_kind:     hidden_global_offset_y
      - .offset:         80
        .size:           8
        .value_kind:     hidden_global_offset_z
      - .offset:         88
        .size:           2
        .value_kind:     hidden_grid_dims
    .group_segment_fixed_size: 240
    .kernarg_segment_align: 8
    .kernarg_segment_size: 280
    .language:       OpenCL C
    .language_version:
      - 2
      - 0
    .max_flat_workgroup_size: 60
    .name:           _Z26warp_exclusive_scan_kernelIfLj60ELj15EENSt9enable_ifIXsr10test_utilsE35device_test_enabled_for_warp_size_vIXT1_EEEvE4typeEPT_S4_S3_
    .private_segment_fixed_size: 0
    .sgpr_count:     12
    .sgpr_spill_count: 0
    .symbol:         _Z26warp_exclusive_scan_kernelIfLj60ELj15EENSt9enable_ifIXsr10test_utilsE35device_test_enabled_for_warp_size_vIXT1_EEEvE4typeEPT_S4_S3_.kd
    .uniform_work_group_size: 1
    .uses_dynamic_stack: false
    .vgpr_count:     7
    .vgpr_spill_count: 0
    .wavefront_size: 64
  - .args:
      - .address_space:  global
        .offset:         0
        .size:           8
        .value_kind:     global_buffer
      - .address_space:  global
        .offset:         8
        .size:           8
        .value_kind:     global_buffer
      - .offset:         16
        .size:           4
        .value_kind:     by_value
      - .offset:         24
        .size:           4
        .value_kind:     hidden_block_count_x
      - .offset:         28
        .size:           4
        .value_kind:     hidden_block_count_y
      - .offset:         32
        .size:           4
        .value_kind:     hidden_block_count_z
      - .offset:         36
        .size:           2
        .value_kind:     hidden_group_size_x
      - .offset:         38
        .size:           2
        .value_kind:     hidden_group_size_y
      - .offset:         40
        .size:           2
        .value_kind:     hidden_group_size_z
      - .offset:         42
        .size:           2
        .value_kind:     hidden_remainder_x
      - .offset:         44
        .size:           2
        .value_kind:     hidden_remainder_y
      - .offset:         46
        .size:           2
        .value_kind:     hidden_remainder_z
      - .offset:         64
        .size:           8
        .value_kind:     hidden_global_offset_x
      - .offset:         72
        .size:           8
        .value_kind:     hidden_global_offset_y
      - .offset:         80
        .size:           8
        .value_kind:     hidden_global_offset_z
      - .offset:         88
        .size:           2
        .value_kind:     hidden_grid_dims
    .group_segment_fixed_size: 112
    .kernarg_segment_align: 8
    .kernarg_segment_size: 280
    .language:       OpenCL C
    .language_version:
      - 2
      - 0
    .max_flat_workgroup_size: 28
    .name:           _Z26warp_exclusive_scan_kernelIfLj28ELj7EENSt9enable_ifIXsr10test_utilsE35device_test_enabled_for_warp_size_vIXT1_EEEvE4typeEPT_S4_S3_
    .private_segment_fixed_size: 0
    .sgpr_count:     12
    .sgpr_spill_count: 0
    .symbol:         _Z26warp_exclusive_scan_kernelIfLj28ELj7EENSt9enable_ifIXsr10test_utilsE35device_test_enabled_for_warp_size_vIXT1_EEEvE4typeEPT_S4_S3_.kd
    .uniform_work_group_size: 1
    .uses_dynamic_stack: false
    .vgpr_count:     7
    .vgpr_spill_count: 0
    .wavefront_size: 64
  - .args:
      - .address_space:  global
        .offset:         0
        .size:           8
        .value_kind:     global_buffer
      - .address_space:  global
        .offset:         8
        .size:           8
        .value_kind:     global_buffer
      - .offset:         16
        .size:           4
        .value_kind:     by_value
      - .offset:         24
        .size:           4
        .value_kind:     hidden_block_count_x
      - .offset:         28
        .size:           4
        .value_kind:     hidden_block_count_y
      - .offset:         32
        .size:           4
        .value_kind:     hidden_block_count_z
      - .offset:         36
        .size:           2
        .value_kind:     hidden_group_size_x
      - .offset:         38
        .size:           2
        .value_kind:     hidden_group_size_y
      - .offset:         40
        .size:           2
        .value_kind:     hidden_group_size_z
      - .offset:         42
        .size:           2
        .value_kind:     hidden_remainder_x
      - .offset:         44
        .size:           2
        .value_kind:     hidden_remainder_y
      - .offset:         46
        .size:           2
        .value_kind:     hidden_remainder_z
      - .offset:         64
        .size:           8
        .value_kind:     hidden_global_offset_x
      - .offset:         72
        .size:           8
        .value_kind:     hidden_global_offset_y
      - .offset:         80
        .size:           8
        .value_kind:     hidden_global_offset_z
      - .offset:         88
        .size:           2
        .value_kind:     hidden_grid_dims
    .group_segment_fixed_size: 252
    .kernarg_segment_align: 8
    .kernarg_segment_size: 280
    .language:       OpenCL C
    .language_version:
      - 2
      - 0
    .max_flat_workgroup_size: 63
    .name:           _Z26warp_exclusive_scan_kernelIfLj63ELj7EENSt9enable_ifIXsr10test_utilsE35device_test_enabled_for_warp_size_vIXT1_EEEvE4typeEPT_S4_S3_
    .private_segment_fixed_size: 0
    .sgpr_count:     12
    .sgpr_spill_count: 0
    .symbol:         _Z26warp_exclusive_scan_kernelIfLj63ELj7EENSt9enable_ifIXsr10test_utilsE35device_test_enabled_for_warp_size_vIXT1_EEEvE4typeEPT_S4_S3_.kd
    .uniform_work_group_size: 1
    .uses_dynamic_stack: false
    .vgpr_count:     7
    .vgpr_spill_count: 0
    .wavefront_size: 64
  - .args:
      - .address_space:  global
        .offset:         0
        .size:           8
        .value_kind:     global_buffer
      - .address_space:  global
        .offset:         8
        .size:           8
        .value_kind:     global_buffer
      - .offset:         16
        .size:           4
        .value_kind:     by_value
      - .offset:         24
        .size:           4
        .value_kind:     hidden_block_count_x
      - .offset:         28
        .size:           4
        .value_kind:     hidden_block_count_y
      - .offset:         32
        .size:           4
        .value_kind:     hidden_block_count_z
      - .offset:         36
        .size:           2
        .value_kind:     hidden_group_size_x
      - .offset:         38
        .size:           2
        .value_kind:     hidden_group_size_y
      - .offset:         40
        .size:           2
        .value_kind:     hidden_group_size_z
      - .offset:         42
        .size:           2
        .value_kind:     hidden_remainder_x
      - .offset:         44
        .size:           2
        .value_kind:     hidden_remainder_y
      - .offset:         46
        .size:           2
        .value_kind:     hidden_remainder_z
      - .offset:         64
        .size:           8
        .value_kind:     hidden_global_offset_x
      - .offset:         72
        .size:           8
        .value_kind:     hidden_global_offset_y
      - .offset:         80
        .size:           8
        .value_kind:     hidden_global_offset_z
      - .offset:         88
        .size:           2
        .value_kind:     hidden_grid_dims
    .group_segment_fixed_size: 120
    .kernarg_segment_align: 8
    .kernarg_segment_size: 280
    .language:       OpenCL C
    .language_version:
      - 2
      - 0
    .max_flat_workgroup_size: 30
    .name:           _Z26warp_exclusive_scan_kernelIfLj30ELj3EENSt9enable_ifIXsr10test_utilsE35device_test_enabled_for_warp_size_vIXT1_EEEvE4typeEPT_S4_S3_
    .private_segment_fixed_size: 0
    .sgpr_count:     12
    .sgpr_spill_count: 0
    .symbol:         _Z26warp_exclusive_scan_kernelIfLj30ELj3EENSt9enable_ifIXsr10test_utilsE35device_test_enabled_for_warp_size_vIXT1_EEEvE4typeEPT_S4_S3_.kd
    .uniform_work_group_size: 1
    .uses_dynamic_stack: false
    .vgpr_count:     8
    .vgpr_spill_count: 0
    .wavefront_size: 64
  - .args:
      - .address_space:  global
        .offset:         0
        .size:           8
        .value_kind:     global_buffer
      - .address_space:  global
        .offset:         8
        .size:           8
        .value_kind:     global_buffer
      - .offset:         16
        .size:           4
        .value_kind:     by_value
      - .offset:         24
        .size:           4
        .value_kind:     hidden_block_count_x
      - .offset:         28
        .size:           4
        .value_kind:     hidden_block_count_y
      - .offset:         32
        .size:           4
        .value_kind:     hidden_block_count_z
      - .offset:         36
        .size:           2
        .value_kind:     hidden_group_size_x
      - .offset:         38
        .size:           2
        .value_kind:     hidden_group_size_y
      - .offset:         40
        .size:           2
        .value_kind:     hidden_group_size_z
      - .offset:         42
        .size:           2
        .value_kind:     hidden_remainder_x
      - .offset:         44
        .size:           2
        .value_kind:     hidden_remainder_y
      - .offset:         46
        .size:           2
        .value_kind:     hidden_remainder_z
      - .offset:         64
        .size:           8
        .value_kind:     hidden_global_offset_x
      - .offset:         72
        .size:           8
        .value_kind:     hidden_global_offset_y
      - .offset:         80
        .size:           8
        .value_kind:     hidden_global_offset_z
      - .offset:         88
        .size:           2
        .value_kind:     hidden_grid_dims
    .group_segment_fixed_size: 252
    .kernarg_segment_align: 8
    .kernarg_segment_size: 280
    .language:       OpenCL C
    .language_version:
      - 2
      - 0
    .max_flat_workgroup_size: 63
    .name:           _Z26warp_exclusive_scan_kernelIfLj63ELj3EENSt9enable_ifIXsr10test_utilsE35device_test_enabled_for_warp_size_vIXT1_EEEvE4typeEPT_S4_S3_
    .private_segment_fixed_size: 0
    .sgpr_count:     12
    .sgpr_spill_count: 0
    .symbol:         _Z26warp_exclusive_scan_kernelIfLj63ELj3EENSt9enable_ifIXsr10test_utilsE35device_test_enabled_for_warp_size_vIXT1_EEEvE4typeEPT_S4_S3_.kd
    .uniform_work_group_size: 1
    .uses_dynamic_stack: false
    .vgpr_count:     8
    .vgpr_spill_count: 0
    .wavefront_size: 64
  - .args:
      - .address_space:  global
        .offset:         0
        .size:           8
        .value_kind:     global_buffer
      - .address_space:  global
        .offset:         8
        .size:           8
        .value_kind:     global_buffer
      - .offset:         16
        .size:           4
        .value_kind:     by_value
      - .offset:         24
        .size:           4
        .value_kind:     hidden_block_count_x
      - .offset:         28
        .size:           4
        .value_kind:     hidden_block_count_y
      - .offset:         32
        .size:           4
        .value_kind:     hidden_block_count_z
      - .offset:         36
        .size:           2
        .value_kind:     hidden_group_size_x
      - .offset:         38
        .size:           2
        .value_kind:     hidden_group_size_y
      - .offset:         40
        .size:           2
        .value_kind:     hidden_group_size_z
      - .offset:         42
        .size:           2
        .value_kind:     hidden_remainder_x
      - .offset:         44
        .size:           2
        .value_kind:     hidden_remainder_y
      - .offset:         46
        .size:           2
        .value_kind:     hidden_remainder_z
      - .offset:         64
        .size:           8
        .value_kind:     hidden_global_offset_x
      - .offset:         72
        .size:           8
        .value_kind:     hidden_global_offset_y
      - .offset:         80
        .size:           8
        .value_kind:     hidden_global_offset_z
      - .offset:         88
        .size:           2
        .value_kind:     hidden_grid_dims
    .group_segment_fixed_size: 244
    .kernarg_segment_align: 8
    .kernarg_segment_size: 280
    .language:       OpenCL C
    .language_version:
      - 2
      - 0
    .max_flat_workgroup_size: 1
    .name:           _Z26warp_exclusive_scan_kernelIiLj1ELj61EENSt9enable_ifIXsr10test_utilsE35device_test_enabled_for_warp_size_vIXT1_EEEvE4typeEPT_S4_S3_
    .private_segment_fixed_size: 0
    .sgpr_count:     15
    .sgpr_spill_count: 0
    .symbol:         _Z26warp_exclusive_scan_kernelIiLj1ELj61EENSt9enable_ifIXsr10test_utilsE35device_test_enabled_for_warp_size_vIXT1_EEEvE4typeEPT_S4_S3_.kd
    .uniform_work_group_size: 1
    .uses_dynamic_stack: false
    .vgpr_count:     4
    .vgpr_spill_count: 0
    .wavefront_size: 64
  - .args:
      - .address_space:  global
        .offset:         0
        .size:           8
        .value_kind:     global_buffer
      - .address_space:  global
        .offset:         8
        .size:           8
        .value_kind:     global_buffer
      - .offset:         16
        .size:           4
        .value_kind:     by_value
      - .offset:         24
        .size:           4
        .value_kind:     hidden_block_count_x
      - .offset:         28
        .size:           4
        .value_kind:     hidden_block_count_y
      - .offset:         32
        .size:           4
        .value_kind:     hidden_block_count_z
      - .offset:         36
        .size:           2
        .value_kind:     hidden_group_size_x
      - .offset:         38
        .size:           2
        .value_kind:     hidden_group_size_y
      - .offset:         40
        .size:           2
        .value_kind:     hidden_group_size_z
      - .offset:         42
        .size:           2
        .value_kind:     hidden_remainder_x
      - .offset:         44
        .size:           2
        .value_kind:     hidden_remainder_y
      - .offset:         46
        .size:           2
        .value_kind:     hidden_remainder_z
      - .offset:         64
        .size:           8
        .value_kind:     hidden_global_offset_x
      - .offset:         72
        .size:           8
        .value_kind:     hidden_global_offset_y
      - .offset:         80
        .size:           8
        .value_kind:     hidden_global_offset_z
      - .offset:         88
        .size:           2
        .value_kind:     hidden_grid_dims
    .group_segment_fixed_size: 244
    .kernarg_segment_align: 8
    .kernarg_segment_size: 280
    .language:       OpenCL C
    .language_version:
      - 2
      - 0
    .max_flat_workgroup_size: 61
    .name:           _Z26warp_exclusive_scan_kernelIiLj61ELj61EENSt9enable_ifIXsr10test_utilsE35device_test_enabled_for_warp_size_vIXT1_EEEvE4typeEPT_S4_S3_
    .private_segment_fixed_size: 0
    .sgpr_count:     12
    .sgpr_spill_count: 0
    .symbol:         _Z26warp_exclusive_scan_kernelIiLj61ELj61EENSt9enable_ifIXsr10test_utilsE35device_test_enabled_for_warp_size_vIXT1_EEEvE4typeEPT_S4_S3_.kd
    .uniform_work_group_size: 1
    .uses_dynamic_stack: false
    .vgpr_count:     7
    .vgpr_spill_count: 0
    .wavefront_size: 64
  - .args:
      - .address_space:  global
        .offset:         0
        .size:           8
        .value_kind:     global_buffer
      - .address_space:  global
        .offset:         8
        .size:           8
        .value_kind:     global_buffer
      - .offset:         16
        .size:           4
        .value_kind:     by_value
      - .offset:         24
        .size:           4
        .value_kind:     hidden_block_count_x
      - .offset:         28
        .size:           4
        .value_kind:     hidden_block_count_y
      - .offset:         32
        .size:           4
        .value_kind:     hidden_block_count_z
      - .offset:         36
        .size:           2
        .value_kind:     hidden_group_size_x
      - .offset:         38
        .size:           2
        .value_kind:     hidden_group_size_y
      - .offset:         40
        .size:           2
        .value_kind:     hidden_group_size_z
      - .offset:         42
        .size:           2
        .value_kind:     hidden_remainder_x
      - .offset:         44
        .size:           2
        .value_kind:     hidden_remainder_y
      - .offset:         46
        .size:           2
        .value_kind:     hidden_remainder_z
      - .offset:         64
        .size:           8
        .value_kind:     hidden_global_offset_x
      - .offset:         72
        .size:           8
        .value_kind:     hidden_global_offset_y
      - .offset:         80
        .size:           8
        .value_kind:     hidden_global_offset_z
      - .offset:         88
        .size:           2
        .value_kind:     hidden_grid_dims
    .group_segment_fixed_size: 148
    .kernarg_segment_align: 8
    .kernarg_segment_size: 280
    .language:       OpenCL C
    .language_version:
      - 2
      - 0
    .max_flat_workgroup_size: 1
    .name:           _Z26warp_exclusive_scan_kernelIiLj1ELj37EENSt9enable_ifIXsr10test_utilsE35device_test_enabled_for_warp_size_vIXT1_EEEvE4typeEPT_S4_S3_
    .private_segment_fixed_size: 0
    .sgpr_count:     15
    .sgpr_spill_count: 0
    .symbol:         _Z26warp_exclusive_scan_kernelIiLj1ELj37EENSt9enable_ifIXsr10test_utilsE35device_test_enabled_for_warp_size_vIXT1_EEEvE4typeEPT_S4_S3_.kd
    .uniform_work_group_size: 1
    .uses_dynamic_stack: false
    .vgpr_count:     4
    .vgpr_spill_count: 0
    .wavefront_size: 64
  - .args:
      - .address_space:  global
        .offset:         0
        .size:           8
        .value_kind:     global_buffer
      - .address_space:  global
        .offset:         8
        .size:           8
        .value_kind:     global_buffer
      - .offset:         16
        .size:           4
        .value_kind:     by_value
      - .offset:         24
        .size:           4
        .value_kind:     hidden_block_count_x
      - .offset:         28
        .size:           4
        .value_kind:     hidden_block_count_y
      - .offset:         32
        .size:           4
        .value_kind:     hidden_block_count_z
      - .offset:         36
        .size:           2
        .value_kind:     hidden_group_size_x
      - .offset:         38
        .size:           2
        .value_kind:     hidden_group_size_y
      - .offset:         40
        .size:           2
        .value_kind:     hidden_group_size_z
      - .offset:         42
        .size:           2
        .value_kind:     hidden_remainder_x
      - .offset:         44
        .size:           2
        .value_kind:     hidden_remainder_y
      - .offset:         46
        .size:           2
        .value_kind:     hidden_remainder_z
      - .offset:         64
        .size:           8
        .value_kind:     hidden_global_offset_x
      - .offset:         72
        .size:           8
        .value_kind:     hidden_global_offset_y
      - .offset:         80
        .size:           8
        .value_kind:     hidden_global_offset_z
      - .offset:         88
        .size:           2
        .value_kind:     hidden_grid_dims
    .group_segment_fixed_size: 148
    .kernarg_segment_align: 8
    .kernarg_segment_size: 280
    .language:       OpenCL C
    .language_version:
      - 2
      - 0
    .max_flat_workgroup_size: 37
    .name:           _Z26warp_exclusive_scan_kernelIiLj37ELj37EENSt9enable_ifIXsr10test_utilsE35device_test_enabled_for_warp_size_vIXT1_EEEvE4typeEPT_S4_S3_
    .private_segment_fixed_size: 0
    .sgpr_count:     12
    .sgpr_spill_count: 0
    .symbol:         _Z26warp_exclusive_scan_kernelIiLj37ELj37EENSt9enable_ifIXsr10test_utilsE35device_test_enabled_for_warp_size_vIXT1_EEEvE4typeEPT_S4_S3_.kd
    .uniform_work_group_size: 1
    .uses_dynamic_stack: false
    .vgpr_count:     7
    .vgpr_spill_count: 0
    .wavefront_size: 64
  - .args:
      - .address_space:  global
        .offset:         0
        .size:           8
        .value_kind:     global_buffer
      - .address_space:  global
        .offset:         8
        .size:           8
        .value_kind:     global_buffer
      - .offset:         16
        .size:           4
        .value_kind:     by_value
      - .offset:         24
        .size:           4
        .value_kind:     hidden_block_count_x
      - .offset:         28
        .size:           4
        .value_kind:     hidden_block_count_y
      - .offset:         32
        .size:           4
        .value_kind:     hidden_block_count_z
      - .offset:         36
        .size:           2
        .value_kind:     hidden_group_size_x
      - .offset:         38
        .size:           2
        .value_kind:     hidden_group_size_y
      - .offset:         40
        .size:           2
        .value_kind:     hidden_group_size_z
      - .offset:         42
        .size:           2
        .value_kind:     hidden_remainder_x
      - .offset:         44
        .size:           2
        .value_kind:     hidden_remainder_y
      - .offset:         46
        .size:           2
        .value_kind:     hidden_remainder_z
      - .offset:         64
        .size:           8
        .value_kind:     hidden_global_offset_x
      - .offset:         72
        .size:           8
        .value_kind:     hidden_global_offset_y
      - .offset:         80
        .size:           8
        .value_kind:     hidden_global_offset_z
      - .offset:         88
        .size:           2
        .value_kind:     hidden_grid_dims
    .group_segment_fixed_size: 120
    .kernarg_segment_align: 8
    .kernarg_segment_size: 280
    .language:       OpenCL C
    .language_version:
      - 2
      - 0
    .max_flat_workgroup_size: 30
    .name:           _Z26warp_exclusive_scan_kernelIiLj30ELj15EENSt9enable_ifIXsr10test_utilsE35device_test_enabled_for_warp_size_vIXT1_EEEvE4typeEPT_S4_S3_
    .private_segment_fixed_size: 0
    .sgpr_count:     12
    .sgpr_spill_count: 0
    .symbol:         _Z26warp_exclusive_scan_kernelIiLj30ELj15EENSt9enable_ifIXsr10test_utilsE35device_test_enabled_for_warp_size_vIXT1_EEEvE4typeEPT_S4_S3_.kd
    .uniform_work_group_size: 1
    .uses_dynamic_stack: false
    .vgpr_count:     7
    .vgpr_spill_count: 0
    .wavefront_size: 64
  - .args:
      - .address_space:  global
        .offset:         0
        .size:           8
        .value_kind:     global_buffer
      - .address_space:  global
        .offset:         8
        .size:           8
        .value_kind:     global_buffer
      - .offset:         16
        .size:           4
        .value_kind:     by_value
      - .offset:         24
        .size:           4
        .value_kind:     hidden_block_count_x
      - .offset:         28
        .size:           4
        .value_kind:     hidden_block_count_y
      - .offset:         32
        .size:           4
        .value_kind:     hidden_block_count_z
      - .offset:         36
        .size:           2
        .value_kind:     hidden_group_size_x
      - .offset:         38
        .size:           2
        .value_kind:     hidden_group_size_y
      - .offset:         40
        .size:           2
        .value_kind:     hidden_group_size_z
      - .offset:         42
        .size:           2
        .value_kind:     hidden_remainder_x
      - .offset:         44
        .size:           2
        .value_kind:     hidden_remainder_y
      - .offset:         46
        .size:           2
        .value_kind:     hidden_remainder_z
      - .offset:         64
        .size:           8
        .value_kind:     hidden_global_offset_x
      - .offset:         72
        .size:           8
        .value_kind:     hidden_global_offset_y
      - .offset:         80
        .size:           8
        .value_kind:     hidden_global_offset_z
      - .offset:         88
        .size:           2
        .value_kind:     hidden_grid_dims
    .group_segment_fixed_size: 240
    .kernarg_segment_align: 8
    .kernarg_segment_size: 280
    .language:       OpenCL C
    .language_version:
      - 2
      - 0
    .max_flat_workgroup_size: 60
    .name:           _Z26warp_exclusive_scan_kernelIiLj60ELj15EENSt9enable_ifIXsr10test_utilsE35device_test_enabled_for_warp_size_vIXT1_EEEvE4typeEPT_S4_S3_
    .private_segment_fixed_size: 0
    .sgpr_count:     12
    .sgpr_spill_count: 0
    .symbol:         _Z26warp_exclusive_scan_kernelIiLj60ELj15EENSt9enable_ifIXsr10test_utilsE35device_test_enabled_for_warp_size_vIXT1_EEEvE4typeEPT_S4_S3_.kd
    .uniform_work_group_size: 1
    .uses_dynamic_stack: false
    .vgpr_count:     7
    .vgpr_spill_count: 0
    .wavefront_size: 64
  - .args:
      - .address_space:  global
        .offset:         0
        .size:           8
        .value_kind:     global_buffer
      - .address_space:  global
        .offset:         8
        .size:           8
        .value_kind:     global_buffer
      - .offset:         16
        .size:           4
        .value_kind:     by_value
      - .offset:         24
        .size:           4
        .value_kind:     hidden_block_count_x
      - .offset:         28
        .size:           4
        .value_kind:     hidden_block_count_y
      - .offset:         32
        .size:           4
        .value_kind:     hidden_block_count_z
      - .offset:         36
        .size:           2
        .value_kind:     hidden_group_size_x
      - .offset:         38
        .size:           2
        .value_kind:     hidden_group_size_y
      - .offset:         40
        .size:           2
        .value_kind:     hidden_group_size_z
      - .offset:         42
        .size:           2
        .value_kind:     hidden_remainder_x
      - .offset:         44
        .size:           2
        .value_kind:     hidden_remainder_y
      - .offset:         46
        .size:           2
        .value_kind:     hidden_remainder_z
      - .offset:         64
        .size:           8
        .value_kind:     hidden_global_offset_x
      - .offset:         72
        .size:           8
        .value_kind:     hidden_global_offset_y
      - .offset:         80
        .size:           8
        .value_kind:     hidden_global_offset_z
      - .offset:         88
        .size:           2
        .value_kind:     hidden_grid_dims
    .group_segment_fixed_size: 112
    .kernarg_segment_align: 8
    .kernarg_segment_size: 280
    .language:       OpenCL C
    .language_version:
      - 2
      - 0
    .max_flat_workgroup_size: 28
    .name:           _Z26warp_exclusive_scan_kernelIiLj28ELj7EENSt9enable_ifIXsr10test_utilsE35device_test_enabled_for_warp_size_vIXT1_EEEvE4typeEPT_S4_S3_
    .private_segment_fixed_size: 0
    .sgpr_count:     12
    .sgpr_spill_count: 0
    .symbol:         _Z26warp_exclusive_scan_kernelIiLj28ELj7EENSt9enable_ifIXsr10test_utilsE35device_test_enabled_for_warp_size_vIXT1_EEEvE4typeEPT_S4_S3_.kd
    .uniform_work_group_size: 1
    .uses_dynamic_stack: false
    .vgpr_count:     7
    .vgpr_spill_count: 0
    .wavefront_size: 64
  - .args:
      - .address_space:  global
        .offset:         0
        .size:           8
        .value_kind:     global_buffer
      - .address_space:  global
        .offset:         8
        .size:           8
        .value_kind:     global_buffer
      - .offset:         16
        .size:           4
        .value_kind:     by_value
      - .offset:         24
        .size:           4
        .value_kind:     hidden_block_count_x
      - .offset:         28
        .size:           4
        .value_kind:     hidden_block_count_y
      - .offset:         32
        .size:           4
        .value_kind:     hidden_block_count_z
      - .offset:         36
        .size:           2
        .value_kind:     hidden_group_size_x
      - .offset:         38
        .size:           2
        .value_kind:     hidden_group_size_y
      - .offset:         40
        .size:           2
        .value_kind:     hidden_group_size_z
      - .offset:         42
        .size:           2
        .value_kind:     hidden_remainder_x
      - .offset:         44
        .size:           2
        .value_kind:     hidden_remainder_y
      - .offset:         46
        .size:           2
        .value_kind:     hidden_remainder_z
      - .offset:         64
        .size:           8
        .value_kind:     hidden_global_offset_x
      - .offset:         72
        .size:           8
        .value_kind:     hidden_global_offset_y
      - .offset:         80
        .size:           8
        .value_kind:     hidden_global_offset_z
      - .offset:         88
        .size:           2
        .value_kind:     hidden_grid_dims
    .group_segment_fixed_size: 252
    .kernarg_segment_align: 8
    .kernarg_segment_size: 280
    .language:       OpenCL C
    .language_version:
      - 2
      - 0
    .max_flat_workgroup_size: 63
    .name:           _Z26warp_exclusive_scan_kernelIiLj63ELj7EENSt9enable_ifIXsr10test_utilsE35device_test_enabled_for_warp_size_vIXT1_EEEvE4typeEPT_S4_S3_
    .private_segment_fixed_size: 0
    .sgpr_count:     12
    .sgpr_spill_count: 0
    .symbol:         _Z26warp_exclusive_scan_kernelIiLj63ELj7EENSt9enable_ifIXsr10test_utilsE35device_test_enabled_for_warp_size_vIXT1_EEEvE4typeEPT_S4_S3_.kd
    .uniform_work_group_size: 1
    .uses_dynamic_stack: false
    .vgpr_count:     7
    .vgpr_spill_count: 0
    .wavefront_size: 64
  - .args:
      - .address_space:  global
        .offset:         0
        .size:           8
        .value_kind:     global_buffer
      - .address_space:  global
        .offset:         8
        .size:           8
        .value_kind:     global_buffer
      - .offset:         16
        .size:           4
        .value_kind:     by_value
      - .offset:         24
        .size:           4
        .value_kind:     hidden_block_count_x
      - .offset:         28
        .size:           4
        .value_kind:     hidden_block_count_y
      - .offset:         32
        .size:           4
        .value_kind:     hidden_block_count_z
      - .offset:         36
        .size:           2
        .value_kind:     hidden_group_size_x
      - .offset:         38
        .size:           2
        .value_kind:     hidden_group_size_y
      - .offset:         40
        .size:           2
        .value_kind:     hidden_group_size_z
      - .offset:         42
        .size:           2
        .value_kind:     hidden_remainder_x
      - .offset:         44
        .size:           2
        .value_kind:     hidden_remainder_y
      - .offset:         46
        .size:           2
        .value_kind:     hidden_remainder_z
      - .offset:         64
        .size:           8
        .value_kind:     hidden_global_offset_x
      - .offset:         72
        .size:           8
        .value_kind:     hidden_global_offset_y
      - .offset:         80
        .size:           8
        .value_kind:     hidden_global_offset_z
      - .offset:         88
        .size:           2
        .value_kind:     hidden_grid_dims
    .group_segment_fixed_size: 120
    .kernarg_segment_align: 8
    .kernarg_segment_size: 280
    .language:       OpenCL C
    .language_version:
      - 2
      - 0
    .max_flat_workgroup_size: 30
    .name:           _Z26warp_exclusive_scan_kernelIiLj30ELj3EENSt9enable_ifIXsr10test_utilsE35device_test_enabled_for_warp_size_vIXT1_EEEvE4typeEPT_S4_S3_
    .private_segment_fixed_size: 0
    .sgpr_count:     12
    .sgpr_spill_count: 0
    .symbol:         _Z26warp_exclusive_scan_kernelIiLj30ELj3EENSt9enable_ifIXsr10test_utilsE35device_test_enabled_for_warp_size_vIXT1_EEEvE4typeEPT_S4_S3_.kd
    .uniform_work_group_size: 1
    .uses_dynamic_stack: false
    .vgpr_count:     8
    .vgpr_spill_count: 0
    .wavefront_size: 64
  - .args:
      - .address_space:  global
        .offset:         0
        .size:           8
        .value_kind:     global_buffer
      - .address_space:  global
        .offset:         8
        .size:           8
        .value_kind:     global_buffer
      - .offset:         16
        .size:           4
        .value_kind:     by_value
      - .offset:         24
        .size:           4
        .value_kind:     hidden_block_count_x
      - .offset:         28
        .size:           4
        .value_kind:     hidden_block_count_y
      - .offset:         32
        .size:           4
        .value_kind:     hidden_block_count_z
      - .offset:         36
        .size:           2
        .value_kind:     hidden_group_size_x
      - .offset:         38
        .size:           2
        .value_kind:     hidden_group_size_y
      - .offset:         40
        .size:           2
        .value_kind:     hidden_group_size_z
      - .offset:         42
        .size:           2
        .value_kind:     hidden_remainder_x
      - .offset:         44
        .size:           2
        .value_kind:     hidden_remainder_y
      - .offset:         46
        .size:           2
        .value_kind:     hidden_remainder_z
      - .offset:         64
        .size:           8
        .value_kind:     hidden_global_offset_x
      - .offset:         72
        .size:           8
        .value_kind:     hidden_global_offset_y
      - .offset:         80
        .size:           8
        .value_kind:     hidden_global_offset_z
      - .offset:         88
        .size:           2
        .value_kind:     hidden_grid_dims
    .group_segment_fixed_size: 252
    .kernarg_segment_align: 8
    .kernarg_segment_size: 280
    .language:       OpenCL C
    .language_version:
      - 2
      - 0
    .max_flat_workgroup_size: 63
    .name:           _Z26warp_exclusive_scan_kernelIiLj63ELj3EENSt9enable_ifIXsr10test_utilsE35device_test_enabled_for_warp_size_vIXT1_EEEvE4typeEPT_S4_S3_
    .private_segment_fixed_size: 0
    .sgpr_count:     12
    .sgpr_spill_count: 0
    .symbol:         _Z26warp_exclusive_scan_kernelIiLj63ELj3EENSt9enable_ifIXsr10test_utilsE35device_test_enabled_for_warp_size_vIXT1_EEEvE4typeEPT_S4_S3_.kd
    .uniform_work_group_size: 1
    .uses_dynamic_stack: false
    .vgpr_count:     8
    .vgpr_spill_count: 0
    .wavefront_size: 64
  - .args:
      - .address_space:  global
        .offset:         0
        .size:           8
        .value_kind:     global_buffer
      - .address_space:  global
        .offset:         8
        .size:           8
        .value_kind:     global_buffer
      - .offset:         16
        .size:           2
        .value_kind:     by_value
      - .offset:         24
        .size:           4
        .value_kind:     hidden_block_count_x
      - .offset:         28
        .size:           4
        .value_kind:     hidden_block_count_y
      - .offset:         32
        .size:           4
        .value_kind:     hidden_block_count_z
      - .offset:         36
        .size:           2
        .value_kind:     hidden_group_size_x
      - .offset:         38
        .size:           2
        .value_kind:     hidden_group_size_y
      - .offset:         40
        .size:           2
        .value_kind:     hidden_group_size_z
      - .offset:         42
        .size:           2
        .value_kind:     hidden_remainder_x
      - .offset:         44
        .size:           2
        .value_kind:     hidden_remainder_y
      - .offset:         46
        .size:           2
        .value_kind:     hidden_remainder_z
      - .offset:         64
        .size:           8
        .value_kind:     hidden_global_offset_x
      - .offset:         72
        .size:           8
        .value_kind:     hidden_global_offset_y
      - .offset:         80
        .size:           8
        .value_kind:     hidden_global_offset_z
      - .offset:         88
        .size:           2
        .value_kind:     hidden_grid_dims
    .group_segment_fixed_size: 0
    .kernarg_segment_align: 8
    .kernarg_segment_size: 280
    .language:       OpenCL C
    .language_version:
      - 2
      - 0
    .max_flat_workgroup_size: 256
    .name:           _Z26warp_exclusive_scan_kernelI12hip_bfloat16Lj256ELj64EENSt9enable_ifIXsr10test_utilsE35device_test_enabled_for_warp_size_vIXT1_EEEvE4typeEPT_S5_S4_
    .private_segment_fixed_size: 0
    .sgpr_count:     12
    .sgpr_spill_count: 0
    .symbol:         _Z26warp_exclusive_scan_kernelI12hip_bfloat16Lj256ELj64EENSt9enable_ifIXsr10test_utilsE35device_test_enabled_for_warp_size_vIXT1_EEEvE4typeEPT_S5_S4_.kd
    .uniform_work_group_size: 1
    .uses_dynamic_stack: false
    .vgpr_count:     9
    .vgpr_spill_count: 0
    .wavefront_size: 64
  - .args:
      - .address_space:  global
        .offset:         0
        .size:           8
        .value_kind:     global_buffer
      - .address_space:  global
        .offset:         8
        .size:           8
        .value_kind:     global_buffer
      - .offset:         16
        .size:           2
        .value_kind:     by_value
      - .offset:         24
        .size:           4
        .value_kind:     hidden_block_count_x
      - .offset:         28
        .size:           4
        .value_kind:     hidden_block_count_y
      - .offset:         32
        .size:           4
        .value_kind:     hidden_block_count_z
      - .offset:         36
        .size:           2
        .value_kind:     hidden_group_size_x
      - .offset:         38
        .size:           2
        .value_kind:     hidden_group_size_y
      - .offset:         40
        .size:           2
        .value_kind:     hidden_group_size_z
      - .offset:         42
        .size:           2
        .value_kind:     hidden_remainder_x
      - .offset:         44
        .size:           2
        .value_kind:     hidden_remainder_y
      - .offset:         46
        .size:           2
        .value_kind:     hidden_remainder_z
      - .offset:         64
        .size:           8
        .value_kind:     hidden_global_offset_x
      - .offset:         72
        .size:           8
        .value_kind:     hidden_global_offset_y
      - .offset:         80
        .size:           8
        .value_kind:     hidden_global_offset_z
      - .offset:         88
        .size:           2
        .value_kind:     hidden_grid_dims
    .group_segment_fixed_size: 0
    .kernarg_segment_align: 8
    .kernarg_segment_size: 280
    .language:       OpenCL C
    .language_version:
      - 2
      - 0
    .max_flat_workgroup_size: 128
    .name:           _Z26warp_exclusive_scan_kernelI12hip_bfloat16Lj128ELj32EENSt9enable_ifIXsr10test_utilsE35device_test_enabled_for_warp_size_vIXT1_EEEvE4typeEPT_S5_S4_
    .private_segment_fixed_size: 0
    .sgpr_count:     12
    .sgpr_spill_count: 0
    .symbol:         _Z26warp_exclusive_scan_kernelI12hip_bfloat16Lj128ELj32EENSt9enable_ifIXsr10test_utilsE35device_test_enabled_for_warp_size_vIXT1_EEEvE4typeEPT_S5_S4_.kd
    .uniform_work_group_size: 1
    .uses_dynamic_stack: false
    .vgpr_count:     9
    .vgpr_spill_count: 0
    .wavefront_size: 64
  - .args:
      - .address_space:  global
        .offset:         0
        .size:           8
        .value_kind:     global_buffer
      - .address_space:  global
        .offset:         8
        .size:           8
        .value_kind:     global_buffer
      - .offset:         16
        .size:           2
        .value_kind:     by_value
      - .offset:         24
        .size:           4
        .value_kind:     hidden_block_count_x
      - .offset:         28
        .size:           4
        .value_kind:     hidden_block_count_y
      - .offset:         32
        .size:           4
        .value_kind:     hidden_block_count_z
      - .offset:         36
        .size:           2
        .value_kind:     hidden_group_size_x
      - .offset:         38
        .size:           2
        .value_kind:     hidden_group_size_y
      - .offset:         40
        .size:           2
        .value_kind:     hidden_group_size_z
      - .offset:         42
        .size:           2
        .value_kind:     hidden_remainder_x
      - .offset:         44
        .size:           2
        .value_kind:     hidden_remainder_y
      - .offset:         46
        .size:           2
        .value_kind:     hidden_remainder_z
      - .offset:         64
        .size:           8
        .value_kind:     hidden_global_offset_x
      - .offset:         72
        .size:           8
        .value_kind:     hidden_global_offset_y
      - .offset:         80
        .size:           8
        .value_kind:     hidden_global_offset_z
      - .offset:         88
        .size:           2
        .value_kind:     hidden_grid_dims
    .group_segment_fixed_size: 0
    .kernarg_segment_align: 8
    .kernarg_segment_size: 280
    .language:       OpenCL C
    .language_version:
      - 2
      - 0
    .max_flat_workgroup_size: 64
    .name:           _Z26warp_exclusive_scan_kernelI12hip_bfloat16Lj64ELj16EENSt9enable_ifIXsr10test_utilsE35device_test_enabled_for_warp_size_vIXT1_EEEvE4typeEPT_S5_S4_
    .private_segment_fixed_size: 0
    .sgpr_count:     13
    .sgpr_spill_count: 0
    .symbol:         _Z26warp_exclusive_scan_kernelI12hip_bfloat16Lj64ELj16EENSt9enable_ifIXsr10test_utilsE35device_test_enabled_for_warp_size_vIXT1_EEEvE4typeEPT_S5_S4_.kd
    .uniform_work_group_size: 1
    .uses_dynamic_stack: false
    .vgpr_count:     9
    .vgpr_spill_count: 0
    .wavefront_size: 64
  - .args:
      - .address_space:  global
        .offset:         0
        .size:           8
        .value_kind:     global_buffer
      - .address_space:  global
        .offset:         8
        .size:           8
        .value_kind:     global_buffer
      - .offset:         16
        .size:           2
        .value_kind:     by_value
      - .offset:         24
        .size:           4
        .value_kind:     hidden_block_count_x
      - .offset:         28
        .size:           4
        .value_kind:     hidden_block_count_y
      - .offset:         32
        .size:           4
        .value_kind:     hidden_block_count_z
      - .offset:         36
        .size:           2
        .value_kind:     hidden_group_size_x
      - .offset:         38
        .size:           2
        .value_kind:     hidden_group_size_y
      - .offset:         40
        .size:           2
        .value_kind:     hidden_group_size_z
      - .offset:         42
        .size:           2
        .value_kind:     hidden_remainder_x
      - .offset:         44
        .size:           2
        .value_kind:     hidden_remainder_y
      - .offset:         46
        .size:           2
        .value_kind:     hidden_remainder_z
      - .offset:         64
        .size:           8
        .value_kind:     hidden_global_offset_x
      - .offset:         72
        .size:           8
        .value_kind:     hidden_global_offset_y
      - .offset:         80
        .size:           8
        .value_kind:     hidden_global_offset_z
      - .offset:         88
        .size:           2
        .value_kind:     hidden_grid_dims
    .group_segment_fixed_size: 0
    .kernarg_segment_align: 8
    .kernarg_segment_size: 280
    .language:       OpenCL C
    .language_version:
      - 2
      - 0
    .max_flat_workgroup_size: 32
    .name:           _Z26warp_exclusive_scan_kernelI12hip_bfloat16Lj32ELj8EENSt9enable_ifIXsr10test_utilsE35device_test_enabled_for_warp_size_vIXT1_EEEvE4typeEPT_S5_S4_
    .private_segment_fixed_size: 0
    .sgpr_count:     13
    .sgpr_spill_count: 0
    .symbol:         _Z26warp_exclusive_scan_kernelI12hip_bfloat16Lj32ELj8EENSt9enable_ifIXsr10test_utilsE35device_test_enabled_for_warp_size_vIXT1_EEEvE4typeEPT_S5_S4_.kd
    .uniform_work_group_size: 1
    .uses_dynamic_stack: false
    .vgpr_count:     9
    .vgpr_spill_count: 0
    .wavefront_size: 64
  - .args:
      - .address_space:  global
        .offset:         0
        .size:           8
        .value_kind:     global_buffer
      - .address_space:  global
        .offset:         8
        .size:           8
        .value_kind:     global_buffer
      - .offset:         16
        .size:           2
        .value_kind:     by_value
      - .offset:         24
        .size:           4
        .value_kind:     hidden_block_count_x
      - .offset:         28
        .size:           4
        .value_kind:     hidden_block_count_y
      - .offset:         32
        .size:           4
        .value_kind:     hidden_block_count_z
      - .offset:         36
        .size:           2
        .value_kind:     hidden_group_size_x
      - .offset:         38
        .size:           2
        .value_kind:     hidden_group_size_y
      - .offset:         40
        .size:           2
        .value_kind:     hidden_group_size_z
      - .offset:         42
        .size:           2
        .value_kind:     hidden_remainder_x
      - .offset:         44
        .size:           2
        .value_kind:     hidden_remainder_y
      - .offset:         46
        .size:           2
        .value_kind:     hidden_remainder_z
      - .offset:         64
        .size:           8
        .value_kind:     hidden_global_offset_x
      - .offset:         72
        .size:           8
        .value_kind:     hidden_global_offset_y
      - .offset:         80
        .size:           8
        .value_kind:     hidden_global_offset_z
      - .offset:         88
        .size:           2
        .value_kind:     hidden_grid_dims
    .group_segment_fixed_size: 0
    .kernarg_segment_align: 8
    .kernarg_segment_size: 280
    .language:       OpenCL C
    .language_version:
      - 2
      - 0
    .max_flat_workgroup_size: 64
    .name:           _Z26warp_exclusive_scan_kernelI12hip_bfloat16Lj64ELj8EENSt9enable_ifIXsr10test_utilsE35device_test_enabled_for_warp_size_vIXT1_EEEvE4typeEPT_S5_S4_
    .private_segment_fixed_size: 0
    .sgpr_count:     13
    .sgpr_spill_count: 0
    .symbol:         _Z26warp_exclusive_scan_kernelI12hip_bfloat16Lj64ELj8EENSt9enable_ifIXsr10test_utilsE35device_test_enabled_for_warp_size_vIXT1_EEEvE4typeEPT_S5_S4_.kd
    .uniform_work_group_size: 1
    .uses_dynamic_stack: false
    .vgpr_count:     9
    .vgpr_spill_count: 0
    .wavefront_size: 64
  - .args:
      - .address_space:  global
        .offset:         0
        .size:           8
        .value_kind:     global_buffer
      - .address_space:  global
        .offset:         8
        .size:           8
        .value_kind:     global_buffer
      - .offset:         16
        .size:           2
        .value_kind:     by_value
      - .offset:         24
        .size:           4
        .value_kind:     hidden_block_count_x
      - .offset:         28
        .size:           4
        .value_kind:     hidden_block_count_y
      - .offset:         32
        .size:           4
        .value_kind:     hidden_block_count_z
      - .offset:         36
        .size:           2
        .value_kind:     hidden_group_size_x
      - .offset:         38
        .size:           2
        .value_kind:     hidden_group_size_y
      - .offset:         40
        .size:           2
        .value_kind:     hidden_group_size_z
      - .offset:         42
        .size:           2
        .value_kind:     hidden_remainder_x
      - .offset:         44
        .size:           2
        .value_kind:     hidden_remainder_y
      - .offset:         46
        .size:           2
        .value_kind:     hidden_remainder_z
      - .offset:         64
        .size:           8
        .value_kind:     hidden_global_offset_x
      - .offset:         72
        .size:           8
        .value_kind:     hidden_global_offset_y
      - .offset:         80
        .size:           8
        .value_kind:     hidden_global_offset_z
      - .offset:         88
        .size:           2
        .value_kind:     hidden_grid_dims
    .group_segment_fixed_size: 0
    .kernarg_segment_align: 8
    .kernarg_segment_size: 280
    .language:       OpenCL C
    .language_version:
      - 2
      - 0
    .max_flat_workgroup_size: 32
    .name:           _Z26warp_exclusive_scan_kernelI12hip_bfloat16Lj32ELj4EENSt9enable_ifIXsr10test_utilsE35device_test_enabled_for_warp_size_vIXT1_EEEvE4typeEPT_S5_S4_
    .private_segment_fixed_size: 0
    .sgpr_count:     13
    .sgpr_spill_count: 0
    .symbol:         _Z26warp_exclusive_scan_kernelI12hip_bfloat16Lj32ELj4EENSt9enable_ifIXsr10test_utilsE35device_test_enabled_for_warp_size_vIXT1_EEEvE4typeEPT_S5_S4_.kd
    .uniform_work_group_size: 1
    .uses_dynamic_stack: false
    .vgpr_count:     8
    .vgpr_spill_count: 0
    .wavefront_size: 64
  - .args:
      - .address_space:  global
        .offset:         0
        .size:           8
        .value_kind:     global_buffer
      - .address_space:  global
        .offset:         8
        .size:           8
        .value_kind:     global_buffer
      - .offset:         16
        .size:           2
        .value_kind:     by_value
      - .offset:         24
        .size:           4
        .value_kind:     hidden_block_count_x
      - .offset:         28
        .size:           4
        .value_kind:     hidden_block_count_y
      - .offset:         32
        .size:           4
        .value_kind:     hidden_block_count_z
      - .offset:         36
        .size:           2
        .value_kind:     hidden_group_size_x
      - .offset:         38
        .size:           2
        .value_kind:     hidden_group_size_y
      - .offset:         40
        .size:           2
        .value_kind:     hidden_group_size_z
      - .offset:         42
        .size:           2
        .value_kind:     hidden_remainder_x
      - .offset:         44
        .size:           2
        .value_kind:     hidden_remainder_y
      - .offset:         46
        .size:           2
        .value_kind:     hidden_remainder_z
      - .offset:         64
        .size:           8
        .value_kind:     hidden_global_offset_x
      - .offset:         72
        .size:           8
        .value_kind:     hidden_global_offset_y
      - .offset:         80
        .size:           8
        .value_kind:     hidden_global_offset_z
      - .offset:         88
        .size:           2
        .value_kind:     hidden_grid_dims
    .group_segment_fixed_size: 0
    .kernarg_segment_align: 8
    .kernarg_segment_size: 280
    .language:       OpenCL C
    .language_version:
      - 2
      - 0
    .max_flat_workgroup_size: 64
    .name:           _Z26warp_exclusive_scan_kernelI12hip_bfloat16Lj64ELj4EENSt9enable_ifIXsr10test_utilsE35device_test_enabled_for_warp_size_vIXT1_EEEvE4typeEPT_S5_S4_
    .private_segment_fixed_size: 0
    .sgpr_count:     13
    .sgpr_spill_count: 0
    .symbol:         _Z26warp_exclusive_scan_kernelI12hip_bfloat16Lj64ELj4EENSt9enable_ifIXsr10test_utilsE35device_test_enabled_for_warp_size_vIXT1_EEEvE4typeEPT_S5_S4_.kd
    .uniform_work_group_size: 1
    .uses_dynamic_stack: false
    .vgpr_count:     8
    .vgpr_spill_count: 0
    .wavefront_size: 64
  - .args:
      - .address_space:  global
        .offset:         0
        .size:           8
        .value_kind:     global_buffer
      - .address_space:  global
        .offset:         8
        .size:           8
        .value_kind:     global_buffer
      - .offset:         16
        .size:           2
        .value_kind:     by_value
      - .offset:         24
        .size:           4
        .value_kind:     hidden_block_count_x
      - .offset:         28
        .size:           4
        .value_kind:     hidden_block_count_y
      - .offset:         32
        .size:           4
        .value_kind:     hidden_block_count_z
      - .offset:         36
        .size:           2
        .value_kind:     hidden_group_size_x
      - .offset:         38
        .size:           2
        .value_kind:     hidden_group_size_y
      - .offset:         40
        .size:           2
        .value_kind:     hidden_group_size_z
      - .offset:         42
        .size:           2
        .value_kind:     hidden_remainder_x
      - .offset:         44
        .size:           2
        .value_kind:     hidden_remainder_y
      - .offset:         46
        .size:           2
        .value_kind:     hidden_remainder_z
      - .offset:         64
        .size:           8
        .value_kind:     hidden_global_offset_x
      - .offset:         72
        .size:           8
        .value_kind:     hidden_global_offset_y
      - .offset:         80
        .size:           8
        .value_kind:     hidden_global_offset_z
      - .offset:         88
        .size:           2
        .value_kind:     hidden_grid_dims
    .group_segment_fixed_size: 0
    .kernarg_segment_align: 8
    .kernarg_segment_size: 280
    .language:       OpenCL C
    .language_version:
      - 2
      - 0
    .max_flat_workgroup_size: 32
    .name:           _Z26warp_exclusive_scan_kernelI12hip_bfloat16Lj32ELj2EENSt9enable_ifIXsr10test_utilsE35device_test_enabled_for_warp_size_vIXT1_EEEvE4typeEPT_S5_S4_
    .private_segment_fixed_size: 0
    .sgpr_count:     12
    .sgpr_spill_count: 0
    .symbol:         _Z26warp_exclusive_scan_kernelI12hip_bfloat16Lj32ELj2EENSt9enable_ifIXsr10test_utilsE35device_test_enabled_for_warp_size_vIXT1_EEEvE4typeEPT_S5_S4_.kd
    .uniform_work_group_size: 1
    .uses_dynamic_stack: false
    .vgpr_count:     6
    .vgpr_spill_count: 0
    .wavefront_size: 64
  - .args:
      - .address_space:  global
        .offset:         0
        .size:           8
        .value_kind:     global_buffer
      - .address_space:  global
        .offset:         8
        .size:           8
        .value_kind:     global_buffer
      - .offset:         16
        .size:           2
        .value_kind:     by_value
      - .offset:         24
        .size:           4
        .value_kind:     hidden_block_count_x
      - .offset:         28
        .size:           4
        .value_kind:     hidden_block_count_y
      - .offset:         32
        .size:           4
        .value_kind:     hidden_block_count_z
      - .offset:         36
        .size:           2
        .value_kind:     hidden_group_size_x
      - .offset:         38
        .size:           2
        .value_kind:     hidden_group_size_y
      - .offset:         40
        .size:           2
        .value_kind:     hidden_group_size_z
      - .offset:         42
        .size:           2
        .value_kind:     hidden_remainder_x
      - .offset:         44
        .size:           2
        .value_kind:     hidden_remainder_y
      - .offset:         46
        .size:           2
        .value_kind:     hidden_remainder_z
      - .offset:         64
        .size:           8
        .value_kind:     hidden_global_offset_x
      - .offset:         72
        .size:           8
        .value_kind:     hidden_global_offset_y
      - .offset:         80
        .size:           8
        .value_kind:     hidden_global_offset_z
      - .offset:         88
        .size:           2
        .value_kind:     hidden_grid_dims
    .group_segment_fixed_size: 0
    .kernarg_segment_align: 8
    .kernarg_segment_size: 280
    .language:       OpenCL C
    .language_version:
      - 2
      - 0
    .max_flat_workgroup_size: 64
    .name:           _Z26warp_exclusive_scan_kernelI12hip_bfloat16Lj64ELj2EENSt9enable_ifIXsr10test_utilsE35device_test_enabled_for_warp_size_vIXT1_EEEvE4typeEPT_S5_S4_
    .private_segment_fixed_size: 0
    .sgpr_count:     12
    .sgpr_spill_count: 0
    .symbol:         _Z26warp_exclusive_scan_kernelI12hip_bfloat16Lj64ELj2EENSt9enable_ifIXsr10test_utilsE35device_test_enabled_for_warp_size_vIXT1_EEEvE4typeEPT_S5_S4_.kd
    .uniform_work_group_size: 1
    .uses_dynamic_stack: false
    .vgpr_count:     6
    .vgpr_spill_count: 0
    .wavefront_size: 64
  - .args:
      - .address_space:  global
        .offset:         0
        .size:           8
        .value_kind:     global_buffer
      - .address_space:  global
        .offset:         8
        .size:           8
        .value_kind:     global_buffer
      - .offset:         16
        .size:           2
        .value_kind:     by_value
      - .offset:         24
        .size:           4
        .value_kind:     hidden_block_count_x
      - .offset:         28
        .size:           4
        .value_kind:     hidden_block_count_y
      - .offset:         32
        .size:           4
        .value_kind:     hidden_block_count_z
      - .offset:         36
        .size:           2
        .value_kind:     hidden_group_size_x
      - .offset:         38
        .size:           2
        .value_kind:     hidden_group_size_y
      - .offset:         40
        .size:           2
        .value_kind:     hidden_group_size_z
      - .offset:         42
        .size:           2
        .value_kind:     hidden_remainder_x
      - .offset:         44
        .size:           2
        .value_kind:     hidden_remainder_y
      - .offset:         46
        .size:           2
        .value_kind:     hidden_remainder_z
      - .offset:         64
        .size:           8
        .value_kind:     hidden_global_offset_x
      - .offset:         72
        .size:           8
        .value_kind:     hidden_global_offset_y
      - .offset:         80
        .size:           8
        .value_kind:     hidden_global_offset_z
      - .offset:         88
        .size:           2
        .value_kind:     hidden_grid_dims
    .group_segment_fixed_size: 0
    .kernarg_segment_align: 8
    .kernarg_segment_size: 280
    .language:       OpenCL C
    .language_version:
      - 2
      - 0
    .max_flat_workgroup_size: 256
    .name:           _Z26warp_exclusive_scan_kernelI6__halfLj256ELj64EENSt9enable_ifIXsr10test_utilsE35device_test_enabled_for_warp_size_vIXT1_EEEvE4typeEPT_S5_S4_
    .private_segment_fixed_size: 0
    .sgpr_count:     13
    .sgpr_spill_count: 0
    .symbol:         _Z26warp_exclusive_scan_kernelI6__halfLj256ELj64EENSt9enable_ifIXsr10test_utilsE35device_test_enabled_for_warp_size_vIXT1_EEEvE4typeEPT_S5_S4_.kd
    .uniform_work_group_size: 1
    .uses_dynamic_stack: false
    .vgpr_count:     9
    .vgpr_spill_count: 0
    .wavefront_size: 64
  - .args:
      - .address_space:  global
        .offset:         0
        .size:           8
        .value_kind:     global_buffer
      - .address_space:  global
        .offset:         8
        .size:           8
        .value_kind:     global_buffer
      - .offset:         16
        .size:           2
        .value_kind:     by_value
      - .offset:         24
        .size:           4
        .value_kind:     hidden_block_count_x
      - .offset:         28
        .size:           4
        .value_kind:     hidden_block_count_y
      - .offset:         32
        .size:           4
        .value_kind:     hidden_block_count_z
      - .offset:         36
        .size:           2
        .value_kind:     hidden_group_size_x
      - .offset:         38
        .size:           2
        .value_kind:     hidden_group_size_y
      - .offset:         40
        .size:           2
        .value_kind:     hidden_group_size_z
      - .offset:         42
        .size:           2
        .value_kind:     hidden_remainder_x
      - .offset:         44
        .size:           2
        .value_kind:     hidden_remainder_y
      - .offset:         46
        .size:           2
        .value_kind:     hidden_remainder_z
      - .offset:         64
        .size:           8
        .value_kind:     hidden_global_offset_x
      - .offset:         72
        .size:           8
        .value_kind:     hidden_global_offset_y
      - .offset:         80
        .size:           8
        .value_kind:     hidden_global_offset_z
      - .offset:         88
        .size:           2
        .value_kind:     hidden_grid_dims
    .group_segment_fixed_size: 0
    .kernarg_segment_align: 8
    .kernarg_segment_size: 280
    .language:       OpenCL C
    .language_version:
      - 2
      - 0
    .max_flat_workgroup_size: 128
    .name:           _Z26warp_exclusive_scan_kernelI6__halfLj128ELj32EENSt9enable_ifIXsr10test_utilsE35device_test_enabled_for_warp_size_vIXT1_EEEvE4typeEPT_S5_S4_
    .private_segment_fixed_size: 0
    .sgpr_count:     13
    .sgpr_spill_count: 0
    .symbol:         _Z26warp_exclusive_scan_kernelI6__halfLj128ELj32EENSt9enable_ifIXsr10test_utilsE35device_test_enabled_for_warp_size_vIXT1_EEEvE4typeEPT_S5_S4_.kd
    .uniform_work_group_size: 1
    .uses_dynamic_stack: false
    .vgpr_count:     8
    .vgpr_spill_count: 0
    .wavefront_size: 64
  - .args:
      - .address_space:  global
        .offset:         0
        .size:           8
        .value_kind:     global_buffer
      - .address_space:  global
        .offset:         8
        .size:           8
        .value_kind:     global_buffer
      - .offset:         16
        .size:           2
        .value_kind:     by_value
      - .offset:         24
        .size:           4
        .value_kind:     hidden_block_count_x
      - .offset:         28
        .size:           4
        .value_kind:     hidden_block_count_y
      - .offset:         32
        .size:           4
        .value_kind:     hidden_block_count_z
      - .offset:         36
        .size:           2
        .value_kind:     hidden_group_size_x
      - .offset:         38
        .size:           2
        .value_kind:     hidden_group_size_y
      - .offset:         40
        .size:           2
        .value_kind:     hidden_group_size_z
      - .offset:         42
        .size:           2
        .value_kind:     hidden_remainder_x
      - .offset:         44
        .size:           2
        .value_kind:     hidden_remainder_y
      - .offset:         46
        .size:           2
        .value_kind:     hidden_remainder_z
      - .offset:         64
        .size:           8
        .value_kind:     hidden_global_offset_x
      - .offset:         72
        .size:           8
        .value_kind:     hidden_global_offset_y
      - .offset:         80
        .size:           8
        .value_kind:     hidden_global_offset_z
      - .offset:         88
        .size:           2
        .value_kind:     hidden_grid_dims
    .group_segment_fixed_size: 0
    .kernarg_segment_align: 8
    .kernarg_segment_size: 280
    .language:       OpenCL C
    .language_version:
      - 2
      - 0
    .max_flat_workgroup_size: 64
    .name:           _Z26warp_exclusive_scan_kernelI6__halfLj64ELj16EENSt9enable_ifIXsr10test_utilsE35device_test_enabled_for_warp_size_vIXT1_EEEvE4typeEPT_S5_S4_
    .private_segment_fixed_size: 0
    .sgpr_count:     13
    .sgpr_spill_count: 0
    .symbol:         _Z26warp_exclusive_scan_kernelI6__halfLj64ELj16EENSt9enable_ifIXsr10test_utilsE35device_test_enabled_for_warp_size_vIXT1_EEEvE4typeEPT_S5_S4_.kd
    .uniform_work_group_size: 1
    .uses_dynamic_stack: false
    .vgpr_count:     7
    .vgpr_spill_count: 0
    .wavefront_size: 64
  - .args:
      - .address_space:  global
        .offset:         0
        .size:           8
        .value_kind:     global_buffer
      - .address_space:  global
        .offset:         8
        .size:           8
        .value_kind:     global_buffer
      - .offset:         16
        .size:           2
        .value_kind:     by_value
      - .offset:         24
        .size:           4
        .value_kind:     hidden_block_count_x
      - .offset:         28
        .size:           4
        .value_kind:     hidden_block_count_y
      - .offset:         32
        .size:           4
        .value_kind:     hidden_block_count_z
      - .offset:         36
        .size:           2
        .value_kind:     hidden_group_size_x
      - .offset:         38
        .size:           2
        .value_kind:     hidden_group_size_y
      - .offset:         40
        .size:           2
        .value_kind:     hidden_group_size_z
      - .offset:         42
        .size:           2
        .value_kind:     hidden_remainder_x
      - .offset:         44
        .size:           2
        .value_kind:     hidden_remainder_y
      - .offset:         46
        .size:           2
        .value_kind:     hidden_remainder_z
      - .offset:         64
        .size:           8
        .value_kind:     hidden_global_offset_x
      - .offset:         72
        .size:           8
        .value_kind:     hidden_global_offset_y
      - .offset:         80
        .size:           8
        .value_kind:     hidden_global_offset_z
      - .offset:         88
        .size:           2
        .value_kind:     hidden_grid_dims
    .group_segment_fixed_size: 0
    .kernarg_segment_align: 8
    .kernarg_segment_size: 280
    .language:       OpenCL C
    .language_version:
      - 2
      - 0
    .max_flat_workgroup_size: 32
    .name:           _Z26warp_exclusive_scan_kernelI6__halfLj32ELj8EENSt9enable_ifIXsr10test_utilsE35device_test_enabled_for_warp_size_vIXT1_EEEvE4typeEPT_S5_S4_
    .private_segment_fixed_size: 0
    .sgpr_count:     13
    .sgpr_spill_count: 0
    .symbol:         _Z26warp_exclusive_scan_kernelI6__halfLj32ELj8EENSt9enable_ifIXsr10test_utilsE35device_test_enabled_for_warp_size_vIXT1_EEEvE4typeEPT_S5_S4_.kd
    .uniform_work_group_size: 1
    .uses_dynamic_stack: false
    .vgpr_count:     7
    .vgpr_spill_count: 0
    .wavefront_size: 64
  - .args:
      - .address_space:  global
        .offset:         0
        .size:           8
        .value_kind:     global_buffer
      - .address_space:  global
        .offset:         8
        .size:           8
        .value_kind:     global_buffer
      - .offset:         16
        .size:           2
        .value_kind:     by_value
      - .offset:         24
        .size:           4
        .value_kind:     hidden_block_count_x
      - .offset:         28
        .size:           4
        .value_kind:     hidden_block_count_y
      - .offset:         32
        .size:           4
        .value_kind:     hidden_block_count_z
      - .offset:         36
        .size:           2
        .value_kind:     hidden_group_size_x
      - .offset:         38
        .size:           2
        .value_kind:     hidden_group_size_y
      - .offset:         40
        .size:           2
        .value_kind:     hidden_group_size_z
      - .offset:         42
        .size:           2
        .value_kind:     hidden_remainder_x
      - .offset:         44
        .size:           2
        .value_kind:     hidden_remainder_y
      - .offset:         46
        .size:           2
        .value_kind:     hidden_remainder_z
      - .offset:         64
        .size:           8
        .value_kind:     hidden_global_offset_x
      - .offset:         72
        .size:           8
        .value_kind:     hidden_global_offset_y
      - .offset:         80
        .size:           8
        .value_kind:     hidden_global_offset_z
      - .offset:         88
        .size:           2
        .value_kind:     hidden_grid_dims
    .group_segment_fixed_size: 0
    .kernarg_segment_align: 8
    .kernarg_segment_size: 280
    .language:       OpenCL C
    .language_version:
      - 2
      - 0
    .max_flat_workgroup_size: 64
    .name:           _Z26warp_exclusive_scan_kernelI6__halfLj64ELj8EENSt9enable_ifIXsr10test_utilsE35device_test_enabled_for_warp_size_vIXT1_EEEvE4typeEPT_S5_S4_
    .private_segment_fixed_size: 0
    .sgpr_count:     13
    .sgpr_spill_count: 0
    .symbol:         _Z26warp_exclusive_scan_kernelI6__halfLj64ELj8EENSt9enable_ifIXsr10test_utilsE35device_test_enabled_for_warp_size_vIXT1_EEEvE4typeEPT_S5_S4_.kd
    .uniform_work_group_size: 1
    .uses_dynamic_stack: false
    .vgpr_count:     7
    .vgpr_spill_count: 0
    .wavefront_size: 64
  - .args:
      - .address_space:  global
        .offset:         0
        .size:           8
        .value_kind:     global_buffer
      - .address_space:  global
        .offset:         8
        .size:           8
        .value_kind:     global_buffer
      - .offset:         16
        .size:           2
        .value_kind:     by_value
      - .offset:         24
        .size:           4
        .value_kind:     hidden_block_count_x
      - .offset:         28
        .size:           4
        .value_kind:     hidden_block_count_y
      - .offset:         32
        .size:           4
        .value_kind:     hidden_block_count_z
      - .offset:         36
        .size:           2
        .value_kind:     hidden_group_size_x
      - .offset:         38
        .size:           2
        .value_kind:     hidden_group_size_y
      - .offset:         40
        .size:           2
        .value_kind:     hidden_group_size_z
      - .offset:         42
        .size:           2
        .value_kind:     hidden_remainder_x
      - .offset:         44
        .size:           2
        .value_kind:     hidden_remainder_y
      - .offset:         46
        .size:           2
        .value_kind:     hidden_remainder_z
      - .offset:         64
        .size:           8
        .value_kind:     hidden_global_offset_x
      - .offset:         72
        .size:           8
        .value_kind:     hidden_global_offset_y
      - .offset:         80
        .size:           8
        .value_kind:     hidden_global_offset_z
      - .offset:         88
        .size:           2
        .value_kind:     hidden_grid_dims
    .group_segment_fixed_size: 0
    .kernarg_segment_align: 8
    .kernarg_segment_size: 280
    .language:       OpenCL C
    .language_version:
      - 2
      - 0
    .max_flat_workgroup_size: 32
    .name:           _Z26warp_exclusive_scan_kernelI6__halfLj32ELj4EENSt9enable_ifIXsr10test_utilsE35device_test_enabled_for_warp_size_vIXT1_EEEvE4typeEPT_S5_S4_
    .private_segment_fixed_size: 0
    .sgpr_count:     13
    .sgpr_spill_count: 0
    .symbol:         _Z26warp_exclusive_scan_kernelI6__halfLj32ELj4EENSt9enable_ifIXsr10test_utilsE35device_test_enabled_for_warp_size_vIXT1_EEEvE4typeEPT_S5_S4_.kd
    .uniform_work_group_size: 1
    .uses_dynamic_stack: false
    .vgpr_count:     7
    .vgpr_spill_count: 0
    .wavefront_size: 64
  - .args:
      - .address_space:  global
        .offset:         0
        .size:           8
        .value_kind:     global_buffer
      - .address_space:  global
        .offset:         8
        .size:           8
        .value_kind:     global_buffer
      - .offset:         16
        .size:           2
        .value_kind:     by_value
      - .offset:         24
        .size:           4
        .value_kind:     hidden_block_count_x
      - .offset:         28
        .size:           4
        .value_kind:     hidden_block_count_y
      - .offset:         32
        .size:           4
        .value_kind:     hidden_block_count_z
      - .offset:         36
        .size:           2
        .value_kind:     hidden_group_size_x
      - .offset:         38
        .size:           2
        .value_kind:     hidden_group_size_y
      - .offset:         40
        .size:           2
        .value_kind:     hidden_group_size_z
      - .offset:         42
        .size:           2
        .value_kind:     hidden_remainder_x
      - .offset:         44
        .size:           2
        .value_kind:     hidden_remainder_y
      - .offset:         46
        .size:           2
        .value_kind:     hidden_remainder_z
      - .offset:         64
        .size:           8
        .value_kind:     hidden_global_offset_x
      - .offset:         72
        .size:           8
        .value_kind:     hidden_global_offset_y
      - .offset:         80
        .size:           8
        .value_kind:     hidden_global_offset_z
      - .offset:         88
        .size:           2
        .value_kind:     hidden_grid_dims
    .group_segment_fixed_size: 0
    .kernarg_segment_align: 8
    .kernarg_segment_size: 280
    .language:       OpenCL C
    .language_version:
      - 2
      - 0
    .max_flat_workgroup_size: 64
    .name:           _Z26warp_exclusive_scan_kernelI6__halfLj64ELj4EENSt9enable_ifIXsr10test_utilsE35device_test_enabled_for_warp_size_vIXT1_EEEvE4typeEPT_S5_S4_
    .private_segment_fixed_size: 0
    .sgpr_count:     13
    .sgpr_spill_count: 0
    .symbol:         _Z26warp_exclusive_scan_kernelI6__halfLj64ELj4EENSt9enable_ifIXsr10test_utilsE35device_test_enabled_for_warp_size_vIXT1_EEEvE4typeEPT_S5_S4_.kd
    .uniform_work_group_size: 1
    .uses_dynamic_stack: false
    .vgpr_count:     7
    .vgpr_spill_count: 0
    .wavefront_size: 64
  - .args:
      - .address_space:  global
        .offset:         0
        .size:           8
        .value_kind:     global_buffer
      - .address_space:  global
        .offset:         8
        .size:           8
        .value_kind:     global_buffer
      - .offset:         16
        .size:           2
        .value_kind:     by_value
      - .offset:         24
        .size:           4
        .value_kind:     hidden_block_count_x
      - .offset:         28
        .size:           4
        .value_kind:     hidden_block_count_y
      - .offset:         32
        .size:           4
        .value_kind:     hidden_block_count_z
      - .offset:         36
        .size:           2
        .value_kind:     hidden_group_size_x
      - .offset:         38
        .size:           2
        .value_kind:     hidden_group_size_y
      - .offset:         40
        .size:           2
        .value_kind:     hidden_group_size_z
      - .offset:         42
        .size:           2
        .value_kind:     hidden_remainder_x
      - .offset:         44
        .size:           2
        .value_kind:     hidden_remainder_y
      - .offset:         46
        .size:           2
        .value_kind:     hidden_remainder_z
      - .offset:         64
        .size:           8
        .value_kind:     hidden_global_offset_x
      - .offset:         72
        .size:           8
        .value_kind:     hidden_global_offset_y
      - .offset:         80
        .size:           8
        .value_kind:     hidden_global_offset_z
      - .offset:         88
        .size:           2
        .value_kind:     hidden_grid_dims
    .group_segment_fixed_size: 0
    .kernarg_segment_align: 8
    .kernarg_segment_size: 280
    .language:       OpenCL C
    .language_version:
      - 2
      - 0
    .max_flat_workgroup_size: 32
    .name:           _Z26warp_exclusive_scan_kernelI6__halfLj32ELj2EENSt9enable_ifIXsr10test_utilsE35device_test_enabled_for_warp_size_vIXT1_EEEvE4typeEPT_S5_S4_
    .private_segment_fixed_size: 0
    .sgpr_count:     13
    .sgpr_spill_count: 0
    .symbol:         _Z26warp_exclusive_scan_kernelI6__halfLj32ELj2EENSt9enable_ifIXsr10test_utilsE35device_test_enabled_for_warp_size_vIXT1_EEEvE4typeEPT_S5_S4_.kd
    .uniform_work_group_size: 1
    .uses_dynamic_stack: false
    .vgpr_count:     7
    .vgpr_spill_count: 0
    .wavefront_size: 64
  - .args:
      - .address_space:  global
        .offset:         0
        .size:           8
        .value_kind:     global_buffer
      - .address_space:  global
        .offset:         8
        .size:           8
        .value_kind:     global_buffer
      - .offset:         16
        .size:           2
        .value_kind:     by_value
      - .offset:         24
        .size:           4
        .value_kind:     hidden_block_count_x
      - .offset:         28
        .size:           4
        .value_kind:     hidden_block_count_y
      - .offset:         32
        .size:           4
        .value_kind:     hidden_block_count_z
      - .offset:         36
        .size:           2
        .value_kind:     hidden_group_size_x
      - .offset:         38
        .size:           2
        .value_kind:     hidden_group_size_y
      - .offset:         40
        .size:           2
        .value_kind:     hidden_group_size_z
      - .offset:         42
        .size:           2
        .value_kind:     hidden_remainder_x
      - .offset:         44
        .size:           2
        .value_kind:     hidden_remainder_y
      - .offset:         46
        .size:           2
        .value_kind:     hidden_remainder_z
      - .offset:         64
        .size:           8
        .value_kind:     hidden_global_offset_x
      - .offset:         72
        .size:           8
        .value_kind:     hidden_global_offset_y
      - .offset:         80
        .size:           8
        .value_kind:     hidden_global_offset_z
      - .offset:         88
        .size:           2
        .value_kind:     hidden_grid_dims
    .group_segment_fixed_size: 0
    .kernarg_segment_align: 8
    .kernarg_segment_size: 280
    .language:       OpenCL C
    .language_version:
      - 2
      - 0
    .max_flat_workgroup_size: 64
    .name:           _Z26warp_exclusive_scan_kernelI6__halfLj64ELj2EENSt9enable_ifIXsr10test_utilsE35device_test_enabled_for_warp_size_vIXT1_EEEvE4typeEPT_S5_S4_
    .private_segment_fixed_size: 0
    .sgpr_count:     13
    .sgpr_spill_count: 0
    .symbol:         _Z26warp_exclusive_scan_kernelI6__halfLj64ELj2EENSt9enable_ifIXsr10test_utilsE35device_test_enabled_for_warp_size_vIXT1_EEEvE4typeEPT_S5_S4_.kd
    .uniform_work_group_size: 1
    .uses_dynamic_stack: false
    .vgpr_count:     7
    .vgpr_spill_count: 0
    .wavefront_size: 64
  - .args:
      - .address_space:  global
        .offset:         0
        .size:           8
        .value_kind:     global_buffer
      - .address_space:  global
        .offset:         8
        .size:           8
        .value_kind:     global_buffer
      - .offset:         16
        .size:           4
        .value_kind:     by_value
      - .offset:         24
        .size:           4
        .value_kind:     hidden_block_count_x
      - .offset:         28
        .size:           4
        .value_kind:     hidden_block_count_y
      - .offset:         32
        .size:           4
        .value_kind:     hidden_block_count_z
      - .offset:         36
        .size:           2
        .value_kind:     hidden_group_size_x
      - .offset:         38
        .size:           2
        .value_kind:     hidden_group_size_y
      - .offset:         40
        .size:           2
        .value_kind:     hidden_group_size_z
      - .offset:         42
        .size:           2
        .value_kind:     hidden_remainder_x
      - .offset:         44
        .size:           2
        .value_kind:     hidden_remainder_y
      - .offset:         46
        .size:           2
        .value_kind:     hidden_remainder_z
      - .offset:         64
        .size:           8
        .value_kind:     hidden_global_offset_x
      - .offset:         72
        .size:           8
        .value_kind:     hidden_global_offset_y
      - .offset:         80
        .size:           8
        .value_kind:     hidden_global_offset_z
      - .offset:         88
        .size:           2
        .value_kind:     hidden_grid_dims
    .group_segment_fixed_size: 0
    .kernarg_segment_align: 8
    .kernarg_segment_size: 280
    .language:       OpenCL C
    .language_version:
      - 2
      - 0
    .max_flat_workgroup_size: 256
    .name:           _Z26warp_exclusive_scan_kernelIfLj256ELj64EENSt9enable_ifIXsr10test_utilsE35device_test_enabled_for_warp_size_vIXT1_EEEvE4typeEPT_S4_S3_
    .private_segment_fixed_size: 0
    .sgpr_count:     13
    .sgpr_spill_count: 0
    .symbol:         _Z26warp_exclusive_scan_kernelIfLj256ELj64EENSt9enable_ifIXsr10test_utilsE35device_test_enabled_for_warp_size_vIXT1_EEEvE4typeEPT_S4_S3_.kd
    .uniform_work_group_size: 1
    .uses_dynamic_stack: false
    .vgpr_count:     9
    .vgpr_spill_count: 0
    .wavefront_size: 64
  - .args:
      - .address_space:  global
        .offset:         0
        .size:           8
        .value_kind:     global_buffer
      - .address_space:  global
        .offset:         8
        .size:           8
        .value_kind:     global_buffer
      - .offset:         16
        .size:           4
        .value_kind:     by_value
      - .offset:         24
        .size:           4
        .value_kind:     hidden_block_count_x
      - .offset:         28
        .size:           4
        .value_kind:     hidden_block_count_y
      - .offset:         32
        .size:           4
        .value_kind:     hidden_block_count_z
      - .offset:         36
        .size:           2
        .value_kind:     hidden_group_size_x
      - .offset:         38
        .size:           2
        .value_kind:     hidden_group_size_y
      - .offset:         40
        .size:           2
        .value_kind:     hidden_group_size_z
      - .offset:         42
        .size:           2
        .value_kind:     hidden_remainder_x
      - .offset:         44
        .size:           2
        .value_kind:     hidden_remainder_y
      - .offset:         46
        .size:           2
        .value_kind:     hidden_remainder_z
      - .offset:         64
        .size:           8
        .value_kind:     hidden_global_offset_x
      - .offset:         72
        .size:           8
        .value_kind:     hidden_global_offset_y
      - .offset:         80
        .size:           8
        .value_kind:     hidden_global_offset_z
      - .offset:         88
        .size:           2
        .value_kind:     hidden_grid_dims
    .group_segment_fixed_size: 0
    .kernarg_segment_align: 8
    .kernarg_segment_size: 280
    .language:       OpenCL C
    .language_version:
      - 2
      - 0
    .max_flat_workgroup_size: 128
    .name:           _Z26warp_exclusive_scan_kernelIfLj128ELj32EENSt9enable_ifIXsr10test_utilsE35device_test_enabled_for_warp_size_vIXT1_EEEvE4typeEPT_S4_S3_
    .private_segment_fixed_size: 0
    .sgpr_count:     13
    .sgpr_spill_count: 0
    .symbol:         _Z26warp_exclusive_scan_kernelIfLj128ELj32EENSt9enable_ifIXsr10test_utilsE35device_test_enabled_for_warp_size_vIXT1_EEEvE4typeEPT_S4_S3_.kd
    .uniform_work_group_size: 1
    .uses_dynamic_stack: false
    .vgpr_count:     8
    .vgpr_spill_count: 0
    .wavefront_size: 64
  - .args:
      - .address_space:  global
        .offset:         0
        .size:           8
        .value_kind:     global_buffer
      - .address_space:  global
        .offset:         8
        .size:           8
        .value_kind:     global_buffer
      - .offset:         16
        .size:           4
        .value_kind:     by_value
      - .offset:         24
        .size:           4
        .value_kind:     hidden_block_count_x
      - .offset:         28
        .size:           4
        .value_kind:     hidden_block_count_y
      - .offset:         32
        .size:           4
        .value_kind:     hidden_block_count_z
      - .offset:         36
        .size:           2
        .value_kind:     hidden_group_size_x
      - .offset:         38
        .size:           2
        .value_kind:     hidden_group_size_y
      - .offset:         40
        .size:           2
        .value_kind:     hidden_group_size_z
      - .offset:         42
        .size:           2
        .value_kind:     hidden_remainder_x
      - .offset:         44
        .size:           2
        .value_kind:     hidden_remainder_y
      - .offset:         46
        .size:           2
        .value_kind:     hidden_remainder_z
      - .offset:         64
        .size:           8
        .value_kind:     hidden_global_offset_x
      - .offset:         72
        .size:           8
        .value_kind:     hidden_global_offset_y
      - .offset:         80
        .size:           8
        .value_kind:     hidden_global_offset_z
      - .offset:         88
        .size:           2
        .value_kind:     hidden_grid_dims
    .group_segment_fixed_size: 0
    .kernarg_segment_align: 8
    .kernarg_segment_size: 280
    .language:       OpenCL C
    .language_version:
      - 2
      - 0
    .max_flat_workgroup_size: 64
    .name:           _Z26warp_exclusive_scan_kernelIfLj64ELj16EENSt9enable_ifIXsr10test_utilsE35device_test_enabled_for_warp_size_vIXT1_EEEvE4typeEPT_S4_S3_
    .private_segment_fixed_size: 0
    .sgpr_count:     13
    .sgpr_spill_count: 0
    .symbol:         _Z26warp_exclusive_scan_kernelIfLj64ELj16EENSt9enable_ifIXsr10test_utilsE35device_test_enabled_for_warp_size_vIXT1_EEEvE4typeEPT_S4_S3_.kd
    .uniform_work_group_size: 1
    .uses_dynamic_stack: false
    .vgpr_count:     7
    .vgpr_spill_count: 0
    .wavefront_size: 64
  - .args:
      - .address_space:  global
        .offset:         0
        .size:           8
        .value_kind:     global_buffer
      - .address_space:  global
        .offset:         8
        .size:           8
        .value_kind:     global_buffer
      - .offset:         16
        .size:           4
        .value_kind:     by_value
      - .offset:         24
        .size:           4
        .value_kind:     hidden_block_count_x
      - .offset:         28
        .size:           4
        .value_kind:     hidden_block_count_y
      - .offset:         32
        .size:           4
        .value_kind:     hidden_block_count_z
      - .offset:         36
        .size:           2
        .value_kind:     hidden_group_size_x
      - .offset:         38
        .size:           2
        .value_kind:     hidden_group_size_y
      - .offset:         40
        .size:           2
        .value_kind:     hidden_group_size_z
      - .offset:         42
        .size:           2
        .value_kind:     hidden_remainder_x
      - .offset:         44
        .size:           2
        .value_kind:     hidden_remainder_y
      - .offset:         46
        .size:           2
        .value_kind:     hidden_remainder_z
      - .offset:         64
        .size:           8
        .value_kind:     hidden_global_offset_x
      - .offset:         72
        .size:           8
        .value_kind:     hidden_global_offset_y
      - .offset:         80
        .size:           8
        .value_kind:     hidden_global_offset_z
      - .offset:         88
        .size:           2
        .value_kind:     hidden_grid_dims
    .group_segment_fixed_size: 0
    .kernarg_segment_align: 8
    .kernarg_segment_size: 280
    .language:       OpenCL C
    .language_version:
      - 2
      - 0
    .max_flat_workgroup_size: 32
    .name:           _Z26warp_exclusive_scan_kernelIfLj32ELj8EENSt9enable_ifIXsr10test_utilsE35device_test_enabled_for_warp_size_vIXT1_EEEvE4typeEPT_S4_S3_
    .private_segment_fixed_size: 0
    .sgpr_count:     13
    .sgpr_spill_count: 0
    .symbol:         _Z26warp_exclusive_scan_kernelIfLj32ELj8EENSt9enable_ifIXsr10test_utilsE35device_test_enabled_for_warp_size_vIXT1_EEEvE4typeEPT_S4_S3_.kd
    .uniform_work_group_size: 1
    .uses_dynamic_stack: false
    .vgpr_count:     7
    .vgpr_spill_count: 0
    .wavefront_size: 64
  - .args:
      - .address_space:  global
        .offset:         0
        .size:           8
        .value_kind:     global_buffer
      - .address_space:  global
        .offset:         8
        .size:           8
        .value_kind:     global_buffer
      - .offset:         16
        .size:           4
        .value_kind:     by_value
      - .offset:         24
        .size:           4
        .value_kind:     hidden_block_count_x
      - .offset:         28
        .size:           4
        .value_kind:     hidden_block_count_y
      - .offset:         32
        .size:           4
        .value_kind:     hidden_block_count_z
      - .offset:         36
        .size:           2
        .value_kind:     hidden_group_size_x
      - .offset:         38
        .size:           2
        .value_kind:     hidden_group_size_y
      - .offset:         40
        .size:           2
        .value_kind:     hidden_group_size_z
      - .offset:         42
        .size:           2
        .value_kind:     hidden_remainder_x
      - .offset:         44
        .size:           2
        .value_kind:     hidden_remainder_y
      - .offset:         46
        .size:           2
        .value_kind:     hidden_remainder_z
      - .offset:         64
        .size:           8
        .value_kind:     hidden_global_offset_x
      - .offset:         72
        .size:           8
        .value_kind:     hidden_global_offset_y
      - .offset:         80
        .size:           8
        .value_kind:     hidden_global_offset_z
      - .offset:         88
        .size:           2
        .value_kind:     hidden_grid_dims
    .group_segment_fixed_size: 0
    .kernarg_segment_align: 8
    .kernarg_segment_size: 280
    .language:       OpenCL C
    .language_version:
      - 2
      - 0
    .max_flat_workgroup_size: 64
    .name:           _Z26warp_exclusive_scan_kernelIfLj64ELj8EENSt9enable_ifIXsr10test_utilsE35device_test_enabled_for_warp_size_vIXT1_EEEvE4typeEPT_S4_S3_
    .private_segment_fixed_size: 0
    .sgpr_count:     13
    .sgpr_spill_count: 0
    .symbol:         _Z26warp_exclusive_scan_kernelIfLj64ELj8EENSt9enable_ifIXsr10test_utilsE35device_test_enabled_for_warp_size_vIXT1_EEEvE4typeEPT_S4_S3_.kd
    .uniform_work_group_size: 1
    .uses_dynamic_stack: false
    .vgpr_count:     7
    .vgpr_spill_count: 0
    .wavefront_size: 64
  - .args:
      - .address_space:  global
        .offset:         0
        .size:           8
        .value_kind:     global_buffer
      - .address_space:  global
        .offset:         8
        .size:           8
        .value_kind:     global_buffer
      - .offset:         16
        .size:           4
        .value_kind:     by_value
      - .offset:         24
        .size:           4
        .value_kind:     hidden_block_count_x
      - .offset:         28
        .size:           4
        .value_kind:     hidden_block_count_y
      - .offset:         32
        .size:           4
        .value_kind:     hidden_block_count_z
      - .offset:         36
        .size:           2
        .value_kind:     hidden_group_size_x
      - .offset:         38
        .size:           2
        .value_kind:     hidden_group_size_y
      - .offset:         40
        .size:           2
        .value_kind:     hidden_group_size_z
      - .offset:         42
        .size:           2
        .value_kind:     hidden_remainder_x
      - .offset:         44
        .size:           2
        .value_kind:     hidden_remainder_y
      - .offset:         46
        .size:           2
        .value_kind:     hidden_remainder_z
      - .offset:         64
        .size:           8
        .value_kind:     hidden_global_offset_x
      - .offset:         72
        .size:           8
        .value_kind:     hidden_global_offset_y
      - .offset:         80
        .size:           8
        .value_kind:     hidden_global_offset_z
      - .offset:         88
        .size:           2
        .value_kind:     hidden_grid_dims
    .group_segment_fixed_size: 0
    .kernarg_segment_align: 8
    .kernarg_segment_size: 280
    .language:       OpenCL C
    .language_version:
      - 2
      - 0
    .max_flat_workgroup_size: 32
    .name:           _Z26warp_exclusive_scan_kernelIfLj32ELj4EENSt9enable_ifIXsr10test_utilsE35device_test_enabled_for_warp_size_vIXT1_EEEvE4typeEPT_S4_S3_
    .private_segment_fixed_size: 0
    .sgpr_count:     13
    .sgpr_spill_count: 0
    .symbol:         _Z26warp_exclusive_scan_kernelIfLj32ELj4EENSt9enable_ifIXsr10test_utilsE35device_test_enabled_for_warp_size_vIXT1_EEEvE4typeEPT_S4_S3_.kd
    .uniform_work_group_size: 1
    .uses_dynamic_stack: false
    .vgpr_count:     7
    .vgpr_spill_count: 0
    .wavefront_size: 64
  - .args:
      - .address_space:  global
        .offset:         0
        .size:           8
        .value_kind:     global_buffer
      - .address_space:  global
        .offset:         8
        .size:           8
        .value_kind:     global_buffer
      - .offset:         16
        .size:           4
        .value_kind:     by_value
      - .offset:         24
        .size:           4
        .value_kind:     hidden_block_count_x
      - .offset:         28
        .size:           4
        .value_kind:     hidden_block_count_y
      - .offset:         32
        .size:           4
        .value_kind:     hidden_block_count_z
      - .offset:         36
        .size:           2
        .value_kind:     hidden_group_size_x
      - .offset:         38
        .size:           2
        .value_kind:     hidden_group_size_y
      - .offset:         40
        .size:           2
        .value_kind:     hidden_group_size_z
      - .offset:         42
        .size:           2
        .value_kind:     hidden_remainder_x
      - .offset:         44
        .size:           2
        .value_kind:     hidden_remainder_y
      - .offset:         46
        .size:           2
        .value_kind:     hidden_remainder_z
      - .offset:         64
        .size:           8
        .value_kind:     hidden_global_offset_x
      - .offset:         72
        .size:           8
        .value_kind:     hidden_global_offset_y
      - .offset:         80
        .size:           8
        .value_kind:     hidden_global_offset_z
      - .offset:         88
        .size:           2
        .value_kind:     hidden_grid_dims
    .group_segment_fixed_size: 0
    .kernarg_segment_align: 8
    .kernarg_segment_size: 280
    .language:       OpenCL C
    .language_version:
      - 2
      - 0
    .max_flat_workgroup_size: 64
    .name:           _Z26warp_exclusive_scan_kernelIfLj64ELj4EENSt9enable_ifIXsr10test_utilsE35device_test_enabled_for_warp_size_vIXT1_EEEvE4typeEPT_S4_S3_
    .private_segment_fixed_size: 0
    .sgpr_count:     13
    .sgpr_spill_count: 0
    .symbol:         _Z26warp_exclusive_scan_kernelIfLj64ELj4EENSt9enable_ifIXsr10test_utilsE35device_test_enabled_for_warp_size_vIXT1_EEEvE4typeEPT_S4_S3_.kd
    .uniform_work_group_size: 1
    .uses_dynamic_stack: false
    .vgpr_count:     7
    .vgpr_spill_count: 0
    .wavefront_size: 64
  - .args:
      - .address_space:  global
        .offset:         0
        .size:           8
        .value_kind:     global_buffer
      - .address_space:  global
        .offset:         8
        .size:           8
        .value_kind:     global_buffer
      - .offset:         16
        .size:           4
        .value_kind:     by_value
      - .offset:         24
        .size:           4
        .value_kind:     hidden_block_count_x
      - .offset:         28
        .size:           4
        .value_kind:     hidden_block_count_y
      - .offset:         32
        .size:           4
        .value_kind:     hidden_block_count_z
      - .offset:         36
        .size:           2
        .value_kind:     hidden_group_size_x
      - .offset:         38
        .size:           2
        .value_kind:     hidden_group_size_y
      - .offset:         40
        .size:           2
        .value_kind:     hidden_group_size_z
      - .offset:         42
        .size:           2
        .value_kind:     hidden_remainder_x
      - .offset:         44
        .size:           2
        .value_kind:     hidden_remainder_y
      - .offset:         46
        .size:           2
        .value_kind:     hidden_remainder_z
      - .offset:         64
        .size:           8
        .value_kind:     hidden_global_offset_x
      - .offset:         72
        .size:           8
        .value_kind:     hidden_global_offset_y
      - .offset:         80
        .size:           8
        .value_kind:     hidden_global_offset_z
      - .offset:         88
        .size:           2
        .value_kind:     hidden_grid_dims
    .group_segment_fixed_size: 0
    .kernarg_segment_align: 8
    .kernarg_segment_size: 280
    .language:       OpenCL C
    .language_version:
      - 2
      - 0
    .max_flat_workgroup_size: 32
    .name:           _Z26warp_exclusive_scan_kernelIfLj32ELj2EENSt9enable_ifIXsr10test_utilsE35device_test_enabled_for_warp_size_vIXT1_EEEvE4typeEPT_S4_S3_
    .private_segment_fixed_size: 0
    .sgpr_count:     13
    .sgpr_spill_count: 0
    .symbol:         _Z26warp_exclusive_scan_kernelIfLj32ELj2EENSt9enable_ifIXsr10test_utilsE35device_test_enabled_for_warp_size_vIXT1_EEEvE4typeEPT_S4_S3_.kd
    .uniform_work_group_size: 1
    .uses_dynamic_stack: false
    .vgpr_count:     7
    .vgpr_spill_count: 0
    .wavefront_size: 64
  - .args:
      - .address_space:  global
        .offset:         0
        .size:           8
        .value_kind:     global_buffer
      - .address_space:  global
        .offset:         8
        .size:           8
        .value_kind:     global_buffer
      - .offset:         16
        .size:           4
        .value_kind:     by_value
      - .offset:         24
        .size:           4
        .value_kind:     hidden_block_count_x
      - .offset:         28
        .size:           4
        .value_kind:     hidden_block_count_y
      - .offset:         32
        .size:           4
        .value_kind:     hidden_block_count_z
      - .offset:         36
        .size:           2
        .value_kind:     hidden_group_size_x
      - .offset:         38
        .size:           2
        .value_kind:     hidden_group_size_y
      - .offset:         40
        .size:           2
        .value_kind:     hidden_group_size_z
      - .offset:         42
        .size:           2
        .value_kind:     hidden_remainder_x
      - .offset:         44
        .size:           2
        .value_kind:     hidden_remainder_y
      - .offset:         46
        .size:           2
        .value_kind:     hidden_remainder_z
      - .offset:         64
        .size:           8
        .value_kind:     hidden_global_offset_x
      - .offset:         72
        .size:           8
        .value_kind:     hidden_global_offset_y
      - .offset:         80
        .size:           8
        .value_kind:     hidden_global_offset_z
      - .offset:         88
        .size:           2
        .value_kind:     hidden_grid_dims
    .group_segment_fixed_size: 0
    .kernarg_segment_align: 8
    .kernarg_segment_size: 280
    .language:       OpenCL C
    .language_version:
      - 2
      - 0
    .max_flat_workgroup_size: 64
    .name:           _Z26warp_exclusive_scan_kernelIfLj64ELj2EENSt9enable_ifIXsr10test_utilsE35device_test_enabled_for_warp_size_vIXT1_EEEvE4typeEPT_S4_S3_
    .private_segment_fixed_size: 0
    .sgpr_count:     13
    .sgpr_spill_count: 0
    .symbol:         _Z26warp_exclusive_scan_kernelIfLj64ELj2EENSt9enable_ifIXsr10test_utilsE35device_test_enabled_for_warp_size_vIXT1_EEEvE4typeEPT_S4_S3_.kd
    .uniform_work_group_size: 1
    .uses_dynamic_stack: false
    .vgpr_count:     7
    .vgpr_spill_count: 0
    .wavefront_size: 64
  - .args:
      - .address_space:  global
        .offset:         0
        .size:           8
        .value_kind:     global_buffer
      - .address_space:  global
        .offset:         8
        .size:           8
        .value_kind:     global_buffer
      - .offset:         16
        .size:           4
        .value_kind:     by_value
      - .offset:         24
        .size:           4
        .value_kind:     hidden_block_count_x
      - .offset:         28
        .size:           4
        .value_kind:     hidden_block_count_y
      - .offset:         32
        .size:           4
        .value_kind:     hidden_block_count_z
      - .offset:         36
        .size:           2
        .value_kind:     hidden_group_size_x
      - .offset:         38
        .size:           2
        .value_kind:     hidden_group_size_y
      - .offset:         40
        .size:           2
        .value_kind:     hidden_group_size_z
      - .offset:         42
        .size:           2
        .value_kind:     hidden_remainder_x
      - .offset:         44
        .size:           2
        .value_kind:     hidden_remainder_y
      - .offset:         46
        .size:           2
        .value_kind:     hidden_remainder_z
      - .offset:         64
        .size:           8
        .value_kind:     hidden_global_offset_x
      - .offset:         72
        .size:           8
        .value_kind:     hidden_global_offset_y
      - .offset:         80
        .size:           8
        .value_kind:     hidden_global_offset_z
      - .offset:         88
        .size:           2
        .value_kind:     hidden_grid_dims
    .group_segment_fixed_size: 0
    .kernarg_segment_align: 8
    .kernarg_segment_size: 280
    .language:       OpenCL C
    .language_version:
      - 2
      - 0
    .max_flat_workgroup_size: 256
    .name:           _Z26warp_exclusive_scan_kernelIiLj256ELj64EENSt9enable_ifIXsr10test_utilsE35device_test_enabled_for_warp_size_vIXT1_EEEvE4typeEPT_S4_S3_
    .private_segment_fixed_size: 0
    .sgpr_count:     13
    .sgpr_spill_count: 0
    .symbol:         _Z26warp_exclusive_scan_kernelIiLj256ELj64EENSt9enable_ifIXsr10test_utilsE35device_test_enabled_for_warp_size_vIXT1_EEEvE4typeEPT_S4_S3_.kd
    .uniform_work_group_size: 1
    .uses_dynamic_stack: false
    .vgpr_count:     9
    .vgpr_spill_count: 0
    .wavefront_size: 64
  - .args:
      - .address_space:  global
        .offset:         0
        .size:           8
        .value_kind:     global_buffer
      - .address_space:  global
        .offset:         8
        .size:           8
        .value_kind:     global_buffer
      - .offset:         16
        .size:           4
        .value_kind:     by_value
      - .offset:         24
        .size:           4
        .value_kind:     hidden_block_count_x
      - .offset:         28
        .size:           4
        .value_kind:     hidden_block_count_y
      - .offset:         32
        .size:           4
        .value_kind:     hidden_block_count_z
      - .offset:         36
        .size:           2
        .value_kind:     hidden_group_size_x
      - .offset:         38
        .size:           2
        .value_kind:     hidden_group_size_y
      - .offset:         40
        .size:           2
        .value_kind:     hidden_group_size_z
      - .offset:         42
        .size:           2
        .value_kind:     hidden_remainder_x
      - .offset:         44
        .size:           2
        .value_kind:     hidden_remainder_y
      - .offset:         46
        .size:           2
        .value_kind:     hidden_remainder_z
      - .offset:         64
        .size:           8
        .value_kind:     hidden_global_offset_x
      - .offset:         72
        .size:           8
        .value_kind:     hidden_global_offset_y
      - .offset:         80
        .size:           8
        .value_kind:     hidden_global_offset_z
      - .offset:         88
        .size:           2
        .value_kind:     hidden_grid_dims
    .group_segment_fixed_size: 0
    .kernarg_segment_align: 8
    .kernarg_segment_size: 280
    .language:       OpenCL C
    .language_version:
      - 2
      - 0
    .max_flat_workgroup_size: 128
    .name:           _Z26warp_exclusive_scan_kernelIiLj128ELj32EENSt9enable_ifIXsr10test_utilsE35device_test_enabled_for_warp_size_vIXT1_EEEvE4typeEPT_S4_S3_
    .private_segment_fixed_size: 0
    .sgpr_count:     13
    .sgpr_spill_count: 0
    .symbol:         _Z26warp_exclusive_scan_kernelIiLj128ELj32EENSt9enable_ifIXsr10test_utilsE35device_test_enabled_for_warp_size_vIXT1_EEEvE4typeEPT_S4_S3_.kd
    .uniform_work_group_size: 1
    .uses_dynamic_stack: false
    .vgpr_count:     8
    .vgpr_spill_count: 0
    .wavefront_size: 64
  - .args:
      - .address_space:  global
        .offset:         0
        .size:           8
        .value_kind:     global_buffer
      - .address_space:  global
        .offset:         8
        .size:           8
        .value_kind:     global_buffer
      - .offset:         16
        .size:           4
        .value_kind:     by_value
      - .offset:         24
        .size:           4
        .value_kind:     hidden_block_count_x
      - .offset:         28
        .size:           4
        .value_kind:     hidden_block_count_y
      - .offset:         32
        .size:           4
        .value_kind:     hidden_block_count_z
      - .offset:         36
        .size:           2
        .value_kind:     hidden_group_size_x
      - .offset:         38
        .size:           2
        .value_kind:     hidden_group_size_y
      - .offset:         40
        .size:           2
        .value_kind:     hidden_group_size_z
      - .offset:         42
        .size:           2
        .value_kind:     hidden_remainder_x
      - .offset:         44
        .size:           2
        .value_kind:     hidden_remainder_y
      - .offset:         46
        .size:           2
        .value_kind:     hidden_remainder_z
      - .offset:         64
        .size:           8
        .value_kind:     hidden_global_offset_x
      - .offset:         72
        .size:           8
        .value_kind:     hidden_global_offset_y
      - .offset:         80
        .size:           8
        .value_kind:     hidden_global_offset_z
      - .offset:         88
        .size:           2
        .value_kind:     hidden_grid_dims
    .group_segment_fixed_size: 0
    .kernarg_segment_align: 8
    .kernarg_segment_size: 280
    .language:       OpenCL C
    .language_version:
      - 2
      - 0
    .max_flat_workgroup_size: 64
    .name:           _Z26warp_exclusive_scan_kernelIiLj64ELj16EENSt9enable_ifIXsr10test_utilsE35device_test_enabled_for_warp_size_vIXT1_EEEvE4typeEPT_S4_S3_
    .private_segment_fixed_size: 0
    .sgpr_count:     13
    .sgpr_spill_count: 0
    .symbol:         _Z26warp_exclusive_scan_kernelIiLj64ELj16EENSt9enable_ifIXsr10test_utilsE35device_test_enabled_for_warp_size_vIXT1_EEEvE4typeEPT_S4_S3_.kd
    .uniform_work_group_size: 1
    .uses_dynamic_stack: false
    .vgpr_count:     7
    .vgpr_spill_count: 0
    .wavefront_size: 64
  - .args:
      - .address_space:  global
        .offset:         0
        .size:           8
        .value_kind:     global_buffer
      - .address_space:  global
        .offset:         8
        .size:           8
        .value_kind:     global_buffer
      - .offset:         16
        .size:           4
        .value_kind:     by_value
      - .offset:         24
        .size:           4
        .value_kind:     hidden_block_count_x
      - .offset:         28
        .size:           4
        .value_kind:     hidden_block_count_y
      - .offset:         32
        .size:           4
        .value_kind:     hidden_block_count_z
      - .offset:         36
        .size:           2
        .value_kind:     hidden_group_size_x
      - .offset:         38
        .size:           2
        .value_kind:     hidden_group_size_y
      - .offset:         40
        .size:           2
        .value_kind:     hidden_group_size_z
      - .offset:         42
        .size:           2
        .value_kind:     hidden_remainder_x
      - .offset:         44
        .size:           2
        .value_kind:     hidden_remainder_y
      - .offset:         46
        .size:           2
        .value_kind:     hidden_remainder_z
      - .offset:         64
        .size:           8
        .value_kind:     hidden_global_offset_x
      - .offset:         72
        .size:           8
        .value_kind:     hidden_global_offset_y
      - .offset:         80
        .size:           8
        .value_kind:     hidden_global_offset_z
      - .offset:         88
        .size:           2
        .value_kind:     hidden_grid_dims
    .group_segment_fixed_size: 0
    .kernarg_segment_align: 8
    .kernarg_segment_size: 280
    .language:       OpenCL C
    .language_version:
      - 2
      - 0
    .max_flat_workgroup_size: 32
    .name:           _Z26warp_exclusive_scan_kernelIiLj32ELj8EENSt9enable_ifIXsr10test_utilsE35device_test_enabled_for_warp_size_vIXT1_EEEvE4typeEPT_S4_S3_
    .private_segment_fixed_size: 0
    .sgpr_count:     13
    .sgpr_spill_count: 0
    .symbol:         _Z26warp_exclusive_scan_kernelIiLj32ELj8EENSt9enable_ifIXsr10test_utilsE35device_test_enabled_for_warp_size_vIXT1_EEEvE4typeEPT_S4_S3_.kd
    .uniform_work_group_size: 1
    .uses_dynamic_stack: false
    .vgpr_count:     7
    .vgpr_spill_count: 0
    .wavefront_size: 64
  - .args:
      - .address_space:  global
        .offset:         0
        .size:           8
        .value_kind:     global_buffer
      - .address_space:  global
        .offset:         8
        .size:           8
        .value_kind:     global_buffer
      - .offset:         16
        .size:           4
        .value_kind:     by_value
      - .offset:         24
        .size:           4
        .value_kind:     hidden_block_count_x
      - .offset:         28
        .size:           4
        .value_kind:     hidden_block_count_y
      - .offset:         32
        .size:           4
        .value_kind:     hidden_block_count_z
      - .offset:         36
        .size:           2
        .value_kind:     hidden_group_size_x
      - .offset:         38
        .size:           2
        .value_kind:     hidden_group_size_y
      - .offset:         40
        .size:           2
        .value_kind:     hidden_group_size_z
      - .offset:         42
        .size:           2
        .value_kind:     hidden_remainder_x
      - .offset:         44
        .size:           2
        .value_kind:     hidden_remainder_y
      - .offset:         46
        .size:           2
        .value_kind:     hidden_remainder_z
      - .offset:         64
        .size:           8
        .value_kind:     hidden_global_offset_x
      - .offset:         72
        .size:           8
        .value_kind:     hidden_global_offset_y
      - .offset:         80
        .size:           8
        .value_kind:     hidden_global_offset_z
      - .offset:         88
        .size:           2
        .value_kind:     hidden_grid_dims
    .group_segment_fixed_size: 0
    .kernarg_segment_align: 8
    .kernarg_segment_size: 280
    .language:       OpenCL C
    .language_version:
      - 2
      - 0
    .max_flat_workgroup_size: 64
    .name:           _Z26warp_exclusive_scan_kernelIiLj64ELj8EENSt9enable_ifIXsr10test_utilsE35device_test_enabled_for_warp_size_vIXT1_EEEvE4typeEPT_S4_S3_
    .private_segment_fixed_size: 0
    .sgpr_count:     13
    .sgpr_spill_count: 0
    .symbol:         _Z26warp_exclusive_scan_kernelIiLj64ELj8EENSt9enable_ifIXsr10test_utilsE35device_test_enabled_for_warp_size_vIXT1_EEEvE4typeEPT_S4_S3_.kd
    .uniform_work_group_size: 1
    .uses_dynamic_stack: false
    .vgpr_count:     7
    .vgpr_spill_count: 0
    .wavefront_size: 64
  - .args:
      - .address_space:  global
        .offset:         0
        .size:           8
        .value_kind:     global_buffer
      - .address_space:  global
        .offset:         8
        .size:           8
        .value_kind:     global_buffer
      - .offset:         16
        .size:           4
        .value_kind:     by_value
      - .offset:         24
        .size:           4
        .value_kind:     hidden_block_count_x
      - .offset:         28
        .size:           4
        .value_kind:     hidden_block_count_y
      - .offset:         32
        .size:           4
        .value_kind:     hidden_block_count_z
      - .offset:         36
        .size:           2
        .value_kind:     hidden_group_size_x
      - .offset:         38
        .size:           2
        .value_kind:     hidden_group_size_y
      - .offset:         40
        .size:           2
        .value_kind:     hidden_group_size_z
      - .offset:         42
        .size:           2
        .value_kind:     hidden_remainder_x
      - .offset:         44
        .size:           2
        .value_kind:     hidden_remainder_y
      - .offset:         46
        .size:           2
        .value_kind:     hidden_remainder_z
      - .offset:         64
        .size:           8
        .value_kind:     hidden_global_offset_x
      - .offset:         72
        .size:           8
        .value_kind:     hidden_global_offset_y
      - .offset:         80
        .size:           8
        .value_kind:     hidden_global_offset_z
      - .offset:         88
        .size:           2
        .value_kind:     hidden_grid_dims
    .group_segment_fixed_size: 0
    .kernarg_segment_align: 8
    .kernarg_segment_size: 280
    .language:       OpenCL C
    .language_version:
      - 2
      - 0
    .max_flat_workgroup_size: 32
    .name:           _Z26warp_exclusive_scan_kernelIiLj32ELj4EENSt9enable_ifIXsr10test_utilsE35device_test_enabled_for_warp_size_vIXT1_EEEvE4typeEPT_S4_S3_
    .private_segment_fixed_size: 0
    .sgpr_count:     13
    .sgpr_spill_count: 0
    .symbol:         _Z26warp_exclusive_scan_kernelIiLj32ELj4EENSt9enable_ifIXsr10test_utilsE35device_test_enabled_for_warp_size_vIXT1_EEEvE4typeEPT_S4_S3_.kd
    .uniform_work_group_size: 1
    .uses_dynamic_stack: false
    .vgpr_count:     7
    .vgpr_spill_count: 0
    .wavefront_size: 64
  - .args:
      - .address_space:  global
        .offset:         0
        .size:           8
        .value_kind:     global_buffer
      - .address_space:  global
        .offset:         8
        .size:           8
        .value_kind:     global_buffer
      - .offset:         16
        .size:           4
        .value_kind:     by_value
      - .offset:         24
        .size:           4
        .value_kind:     hidden_block_count_x
      - .offset:         28
        .size:           4
        .value_kind:     hidden_block_count_y
      - .offset:         32
        .size:           4
        .value_kind:     hidden_block_count_z
      - .offset:         36
        .size:           2
        .value_kind:     hidden_group_size_x
      - .offset:         38
        .size:           2
        .value_kind:     hidden_group_size_y
      - .offset:         40
        .size:           2
        .value_kind:     hidden_group_size_z
      - .offset:         42
        .size:           2
        .value_kind:     hidden_remainder_x
      - .offset:         44
        .size:           2
        .value_kind:     hidden_remainder_y
      - .offset:         46
        .size:           2
        .value_kind:     hidden_remainder_z
      - .offset:         64
        .size:           8
        .value_kind:     hidden_global_offset_x
      - .offset:         72
        .size:           8
        .value_kind:     hidden_global_offset_y
      - .offset:         80
        .size:           8
        .value_kind:     hidden_global_offset_z
      - .offset:         88
        .size:           2
        .value_kind:     hidden_grid_dims
    .group_segment_fixed_size: 0
    .kernarg_segment_align: 8
    .kernarg_segment_size: 280
    .language:       OpenCL C
    .language_version:
      - 2
      - 0
    .max_flat_workgroup_size: 64
    .name:           _Z26warp_exclusive_scan_kernelIiLj64ELj4EENSt9enable_ifIXsr10test_utilsE35device_test_enabled_for_warp_size_vIXT1_EEEvE4typeEPT_S4_S3_
    .private_segment_fixed_size: 0
    .sgpr_count:     13
    .sgpr_spill_count: 0
    .symbol:         _Z26warp_exclusive_scan_kernelIiLj64ELj4EENSt9enable_ifIXsr10test_utilsE35device_test_enabled_for_warp_size_vIXT1_EEEvE4typeEPT_S4_S3_.kd
    .uniform_work_group_size: 1
    .uses_dynamic_stack: false
    .vgpr_count:     7
    .vgpr_spill_count: 0
    .wavefront_size: 64
  - .args:
      - .address_space:  global
        .offset:         0
        .size:           8
        .value_kind:     global_buffer
      - .address_space:  global
        .offset:         8
        .size:           8
        .value_kind:     global_buffer
      - .offset:         16
        .size:           4
        .value_kind:     by_value
      - .offset:         24
        .size:           4
        .value_kind:     hidden_block_count_x
      - .offset:         28
        .size:           4
        .value_kind:     hidden_block_count_y
      - .offset:         32
        .size:           4
        .value_kind:     hidden_block_count_z
      - .offset:         36
        .size:           2
        .value_kind:     hidden_group_size_x
      - .offset:         38
        .size:           2
        .value_kind:     hidden_group_size_y
      - .offset:         40
        .size:           2
        .value_kind:     hidden_group_size_z
      - .offset:         42
        .size:           2
        .value_kind:     hidden_remainder_x
      - .offset:         44
        .size:           2
        .value_kind:     hidden_remainder_y
      - .offset:         46
        .size:           2
        .value_kind:     hidden_remainder_z
      - .offset:         64
        .size:           8
        .value_kind:     hidden_global_offset_x
      - .offset:         72
        .size:           8
        .value_kind:     hidden_global_offset_y
      - .offset:         80
        .size:           8
        .value_kind:     hidden_global_offset_z
      - .offset:         88
        .size:           2
        .value_kind:     hidden_grid_dims
    .group_segment_fixed_size: 0
    .kernarg_segment_align: 8
    .kernarg_segment_size: 280
    .language:       OpenCL C
    .language_version:
      - 2
      - 0
    .max_flat_workgroup_size: 32
    .name:           _Z26warp_exclusive_scan_kernelIiLj32ELj2EENSt9enable_ifIXsr10test_utilsE35device_test_enabled_for_warp_size_vIXT1_EEEvE4typeEPT_S4_S3_
    .private_segment_fixed_size: 0
    .sgpr_count:     13
    .sgpr_spill_count: 0
    .symbol:         _Z26warp_exclusive_scan_kernelIiLj32ELj2EENSt9enable_ifIXsr10test_utilsE35device_test_enabled_for_warp_size_vIXT1_EEEvE4typeEPT_S4_S3_.kd
    .uniform_work_group_size: 1
    .uses_dynamic_stack: false
    .vgpr_count:     7
    .vgpr_spill_count: 0
    .wavefront_size: 64
  - .args:
      - .address_space:  global
        .offset:         0
        .size:           8
        .value_kind:     global_buffer
      - .address_space:  global
        .offset:         8
        .size:           8
        .value_kind:     global_buffer
      - .offset:         16
        .size:           4
        .value_kind:     by_value
      - .offset:         24
        .size:           4
        .value_kind:     hidden_block_count_x
      - .offset:         28
        .size:           4
        .value_kind:     hidden_block_count_y
      - .offset:         32
        .size:           4
        .value_kind:     hidden_block_count_z
      - .offset:         36
        .size:           2
        .value_kind:     hidden_group_size_x
      - .offset:         38
        .size:           2
        .value_kind:     hidden_group_size_y
      - .offset:         40
        .size:           2
        .value_kind:     hidden_group_size_z
      - .offset:         42
        .size:           2
        .value_kind:     hidden_remainder_x
      - .offset:         44
        .size:           2
        .value_kind:     hidden_remainder_y
      - .offset:         46
        .size:           2
        .value_kind:     hidden_remainder_z
      - .offset:         64
        .size:           8
        .value_kind:     hidden_global_offset_x
      - .offset:         72
        .size:           8
        .value_kind:     hidden_global_offset_y
      - .offset:         80
        .size:           8
        .value_kind:     hidden_global_offset_z
      - .offset:         88
        .size:           2
        .value_kind:     hidden_grid_dims
    .group_segment_fixed_size: 0
    .kernarg_segment_align: 8
    .kernarg_segment_size: 280
    .language:       OpenCL C
    .language_version:
      - 2
      - 0
    .max_flat_workgroup_size: 64
    .name:           _Z26warp_exclusive_scan_kernelIiLj64ELj2EENSt9enable_ifIXsr10test_utilsE35device_test_enabled_for_warp_size_vIXT1_EEEvE4typeEPT_S4_S3_
    .private_segment_fixed_size: 0
    .sgpr_count:     13
    .sgpr_spill_count: 0
    .symbol:         _Z26warp_exclusive_scan_kernelIiLj64ELj2EENSt9enable_ifIXsr10test_utilsE35device_test_enabled_for_warp_size_vIXT1_EEEvE4typeEPT_S4_S3_.kd
    .uniform_work_group_size: 1
    .uses_dynamic_stack: false
    .vgpr_count:     7
    .vgpr_spill_count: 0
    .wavefront_size: 64
  - .args:
      - .address_space:  global
        .offset:         0
        .size:           8
        .value_kind:     global_buffer
      - .address_space:  global
        .offset:         8
        .size:           8
        .value_kind:     global_buffer
      - .address_space:  global
        .offset:         16
        .size:           8
        .value_kind:     global_buffer
      - .offset:         24
        .size:           4
        .value_kind:     by_value
      - .offset:         32
        .size:           4
        .value_kind:     hidden_block_count_x
      - .offset:         36
        .size:           4
        .value_kind:     hidden_block_count_y
      - .offset:         40
        .size:           4
        .value_kind:     hidden_block_count_z
      - .offset:         44
        .size:           2
        .value_kind:     hidden_group_size_x
      - .offset:         46
        .size:           2
        .value_kind:     hidden_group_size_y
      - .offset:         48
        .size:           2
        .value_kind:     hidden_group_size_z
      - .offset:         50
        .size:           2
        .value_kind:     hidden_remainder_x
      - .offset:         52
        .size:           2
        .value_kind:     hidden_remainder_y
      - .offset:         54
        .size:           2
        .value_kind:     hidden_remainder_z
      - .offset:         72
        .size:           8
        .value_kind:     hidden_global_offset_x
      - .offset:         80
        .size:           8
        .value_kind:     hidden_global_offset_y
      - .offset:         88
        .size:           8
        .value_kind:     hidden_global_offset_z
      - .offset:         96
        .size:           2
        .value_kind:     hidden_grid_dims
    .group_segment_fixed_size: 244
    .kernarg_segment_align: 8
    .kernarg_segment_size: 288
    .language:       OpenCL C
    .language_version:
      - 2
      - 0
    .max_flat_workgroup_size: 1
    .name:           _Z33warp_exclusive_scan_reduce_kernelIfLj1ELj61EENSt9enable_ifIXsr10test_utilsE35device_test_enabled_for_warp_size_vIXT1_EEEvE4typeEPT_S4_S4_S3_
    .private_segment_fixed_size: 0
    .sgpr_count:     18
    .sgpr_spill_count: 0
    .symbol:         _Z33warp_exclusive_scan_reduce_kernelIfLj1ELj61EENSt9enable_ifIXsr10test_utilsE35device_test_enabled_for_warp_size_vIXT1_EEEvE4typeEPT_S4_S4_S3_.kd
    .uniform_work_group_size: 1
    .uses_dynamic_stack: false
    .vgpr_count:     4
    .vgpr_spill_count: 0
    .wavefront_size: 64
  - .args:
      - .address_space:  global
        .offset:         0
        .size:           8
        .value_kind:     global_buffer
      - .address_space:  global
        .offset:         8
        .size:           8
        .value_kind:     global_buffer
      - .address_space:  global
        .offset:         16
        .size:           8
        .value_kind:     global_buffer
      - .offset:         24
        .size:           4
        .value_kind:     by_value
      - .offset:         32
        .size:           4
        .value_kind:     hidden_block_count_x
      - .offset:         36
        .size:           4
        .value_kind:     hidden_block_count_y
      - .offset:         40
        .size:           4
        .value_kind:     hidden_block_count_z
      - .offset:         44
        .size:           2
        .value_kind:     hidden_group_size_x
      - .offset:         46
        .size:           2
        .value_kind:     hidden_group_size_y
      - .offset:         48
        .size:           2
        .value_kind:     hidden_group_size_z
      - .offset:         50
        .size:           2
        .value_kind:     hidden_remainder_x
      - .offset:         52
        .size:           2
        .value_kind:     hidden_remainder_y
      - .offset:         54
        .size:           2
        .value_kind:     hidden_remainder_z
      - .offset:         72
        .size:           8
        .value_kind:     hidden_global_offset_x
      - .offset:         80
        .size:           8
        .value_kind:     hidden_global_offset_y
      - .offset:         88
        .size:           8
        .value_kind:     hidden_global_offset_z
      - .offset:         96
        .size:           2
        .value_kind:     hidden_grid_dims
    .group_segment_fixed_size: 244
    .kernarg_segment_align: 8
    .kernarg_segment_size: 288
    .language:       OpenCL C
    .language_version:
      - 2
      - 0
    .max_flat_workgroup_size: 61
    .name:           _Z33warp_exclusive_scan_reduce_kernelIfLj61ELj61EENSt9enable_ifIXsr10test_utilsE35device_test_enabled_for_warp_size_vIXT1_EEEvE4typeEPT_S4_S4_S3_
    .private_segment_fixed_size: 0
    .sgpr_count:     14
    .sgpr_spill_count: 0
    .symbol:         _Z33warp_exclusive_scan_reduce_kernelIfLj61ELj61EENSt9enable_ifIXsr10test_utilsE35device_test_enabled_for_warp_size_vIXT1_EEEvE4typeEPT_S4_S4_S3_.kd
    .uniform_work_group_size: 1
    .uses_dynamic_stack: false
    .vgpr_count:     10
    .vgpr_spill_count: 0
    .wavefront_size: 64
  - .args:
      - .address_space:  global
        .offset:         0
        .size:           8
        .value_kind:     global_buffer
      - .address_space:  global
        .offset:         8
        .size:           8
        .value_kind:     global_buffer
      - .address_space:  global
        .offset:         16
        .size:           8
        .value_kind:     global_buffer
      - .offset:         24
        .size:           4
        .value_kind:     by_value
      - .offset:         32
        .size:           4
        .value_kind:     hidden_block_count_x
      - .offset:         36
        .size:           4
        .value_kind:     hidden_block_count_y
      - .offset:         40
        .size:           4
        .value_kind:     hidden_block_count_z
      - .offset:         44
        .size:           2
        .value_kind:     hidden_group_size_x
      - .offset:         46
        .size:           2
        .value_kind:     hidden_group_size_y
      - .offset:         48
        .size:           2
        .value_kind:     hidden_group_size_z
      - .offset:         50
        .size:           2
        .value_kind:     hidden_remainder_x
      - .offset:         52
        .size:           2
        .value_kind:     hidden_remainder_y
      - .offset:         54
        .size:           2
        .value_kind:     hidden_remainder_z
      - .offset:         72
        .size:           8
        .value_kind:     hidden_global_offset_x
      - .offset:         80
        .size:           8
        .value_kind:     hidden_global_offset_y
      - .offset:         88
        .size:           8
        .value_kind:     hidden_global_offset_z
      - .offset:         96
        .size:           2
        .value_kind:     hidden_grid_dims
    .group_segment_fixed_size: 148
    .kernarg_segment_align: 8
    .kernarg_segment_size: 288
    .language:       OpenCL C
    .language_version:
      - 2
      - 0
    .max_flat_workgroup_size: 1
    .name:           _Z33warp_exclusive_scan_reduce_kernelIfLj1ELj37EENSt9enable_ifIXsr10test_utilsE35device_test_enabled_for_warp_size_vIXT1_EEEvE4typeEPT_S4_S4_S3_
    .private_segment_fixed_size: 0
    .sgpr_count:     18
    .sgpr_spill_count: 0
    .symbol:         _Z33warp_exclusive_scan_reduce_kernelIfLj1ELj37EENSt9enable_ifIXsr10test_utilsE35device_test_enabled_for_warp_size_vIXT1_EEEvE4typeEPT_S4_S4_S3_.kd
    .uniform_work_group_size: 1
    .uses_dynamic_stack: false
    .vgpr_count:     4
    .vgpr_spill_count: 0
    .wavefront_size: 64
  - .args:
      - .address_space:  global
        .offset:         0
        .size:           8
        .value_kind:     global_buffer
      - .address_space:  global
        .offset:         8
        .size:           8
        .value_kind:     global_buffer
      - .address_space:  global
        .offset:         16
        .size:           8
        .value_kind:     global_buffer
      - .offset:         24
        .size:           4
        .value_kind:     by_value
      - .offset:         32
        .size:           4
        .value_kind:     hidden_block_count_x
      - .offset:         36
        .size:           4
        .value_kind:     hidden_block_count_y
      - .offset:         40
        .size:           4
        .value_kind:     hidden_block_count_z
      - .offset:         44
        .size:           2
        .value_kind:     hidden_group_size_x
      - .offset:         46
        .size:           2
        .value_kind:     hidden_group_size_y
      - .offset:         48
        .size:           2
        .value_kind:     hidden_group_size_z
      - .offset:         50
        .size:           2
        .value_kind:     hidden_remainder_x
      - .offset:         52
        .size:           2
        .value_kind:     hidden_remainder_y
      - .offset:         54
        .size:           2
        .value_kind:     hidden_remainder_z
      - .offset:         72
        .size:           8
        .value_kind:     hidden_global_offset_x
      - .offset:         80
        .size:           8
        .value_kind:     hidden_global_offset_y
      - .offset:         88
        .size:           8
        .value_kind:     hidden_global_offset_z
      - .offset:         96
        .size:           2
        .value_kind:     hidden_grid_dims
    .group_segment_fixed_size: 148
    .kernarg_segment_align: 8
    .kernarg_segment_size: 288
    .language:       OpenCL C
    .language_version:
      - 2
      - 0
    .max_flat_workgroup_size: 37
    .name:           _Z33warp_exclusive_scan_reduce_kernelIfLj37ELj37EENSt9enable_ifIXsr10test_utilsE35device_test_enabled_for_warp_size_vIXT1_EEEvE4typeEPT_S4_S4_S3_
    .private_segment_fixed_size: 0
    .sgpr_count:     14
    .sgpr_spill_count: 0
    .symbol:         _Z33warp_exclusive_scan_reduce_kernelIfLj37ELj37EENSt9enable_ifIXsr10test_utilsE35device_test_enabled_for_warp_size_vIXT1_EEEvE4typeEPT_S4_S4_S3_.kd
    .uniform_work_group_size: 1
    .uses_dynamic_stack: false
    .vgpr_count:     10
    .vgpr_spill_count: 0
    .wavefront_size: 64
  - .args:
      - .address_space:  global
        .offset:         0
        .size:           8
        .value_kind:     global_buffer
      - .address_space:  global
        .offset:         8
        .size:           8
        .value_kind:     global_buffer
      - .address_space:  global
        .offset:         16
        .size:           8
        .value_kind:     global_buffer
      - .offset:         24
        .size:           4
        .value_kind:     by_value
      - .offset:         32
        .size:           4
        .value_kind:     hidden_block_count_x
      - .offset:         36
        .size:           4
        .value_kind:     hidden_block_count_y
      - .offset:         40
        .size:           4
        .value_kind:     hidden_block_count_z
      - .offset:         44
        .size:           2
        .value_kind:     hidden_group_size_x
      - .offset:         46
        .size:           2
        .value_kind:     hidden_group_size_y
      - .offset:         48
        .size:           2
        .value_kind:     hidden_group_size_z
      - .offset:         50
        .size:           2
        .value_kind:     hidden_remainder_x
      - .offset:         52
        .size:           2
        .value_kind:     hidden_remainder_y
      - .offset:         54
        .size:           2
        .value_kind:     hidden_remainder_z
      - .offset:         72
        .size:           8
        .value_kind:     hidden_global_offset_x
      - .offset:         80
        .size:           8
        .value_kind:     hidden_global_offset_y
      - .offset:         88
        .size:           8
        .value_kind:     hidden_global_offset_z
      - .offset:         96
        .size:           2
        .value_kind:     hidden_grid_dims
    .group_segment_fixed_size: 120
    .kernarg_segment_align: 8
    .kernarg_segment_size: 288
    .language:       OpenCL C
    .language_version:
      - 2
      - 0
    .max_flat_workgroup_size: 30
    .name:           _Z33warp_exclusive_scan_reduce_kernelIfLj30ELj15EENSt9enable_ifIXsr10test_utilsE35device_test_enabled_for_warp_size_vIXT1_EEEvE4typeEPT_S4_S4_S3_
    .private_segment_fixed_size: 0
    .sgpr_count:     14
    .sgpr_spill_count: 0
    .symbol:         _Z33warp_exclusive_scan_reduce_kernelIfLj30ELj15EENSt9enable_ifIXsr10test_utilsE35device_test_enabled_for_warp_size_vIXT1_EEEvE4typeEPT_S4_S4_S3_.kd
    .uniform_work_group_size: 1
    .uses_dynamic_stack: false
    .vgpr_count:     10
    .vgpr_spill_count: 0
    .wavefront_size: 64
  - .args:
      - .address_space:  global
        .offset:         0
        .size:           8
        .value_kind:     global_buffer
      - .address_space:  global
        .offset:         8
        .size:           8
        .value_kind:     global_buffer
      - .address_space:  global
        .offset:         16
        .size:           8
        .value_kind:     global_buffer
      - .offset:         24
        .size:           4
        .value_kind:     by_value
      - .offset:         32
        .size:           4
        .value_kind:     hidden_block_count_x
      - .offset:         36
        .size:           4
        .value_kind:     hidden_block_count_y
      - .offset:         40
        .size:           4
        .value_kind:     hidden_block_count_z
      - .offset:         44
        .size:           2
        .value_kind:     hidden_group_size_x
      - .offset:         46
        .size:           2
        .value_kind:     hidden_group_size_y
      - .offset:         48
        .size:           2
        .value_kind:     hidden_group_size_z
      - .offset:         50
        .size:           2
        .value_kind:     hidden_remainder_x
      - .offset:         52
        .size:           2
        .value_kind:     hidden_remainder_y
      - .offset:         54
        .size:           2
        .value_kind:     hidden_remainder_z
      - .offset:         72
        .size:           8
        .value_kind:     hidden_global_offset_x
      - .offset:         80
        .size:           8
        .value_kind:     hidden_global_offset_y
      - .offset:         88
        .size:           8
        .value_kind:     hidden_global_offset_z
      - .offset:         96
        .size:           2
        .value_kind:     hidden_grid_dims
    .group_segment_fixed_size: 240
    .kernarg_segment_align: 8
    .kernarg_segment_size: 288
    .language:       OpenCL C
    .language_version:
      - 2
      - 0
    .max_flat_workgroup_size: 60
    .name:           _Z33warp_exclusive_scan_reduce_kernelIfLj60ELj15EENSt9enable_ifIXsr10test_utilsE35device_test_enabled_for_warp_size_vIXT1_EEEvE4typeEPT_S4_S4_S3_
    .private_segment_fixed_size: 0
    .sgpr_count:     14
    .sgpr_spill_count: 0
    .symbol:         _Z33warp_exclusive_scan_reduce_kernelIfLj60ELj15EENSt9enable_ifIXsr10test_utilsE35device_test_enabled_for_warp_size_vIXT1_EEEvE4typeEPT_S4_S4_S3_.kd
    .uniform_work_group_size: 1
    .uses_dynamic_stack: false
    .vgpr_count:     10
    .vgpr_spill_count: 0
    .wavefront_size: 64
  - .args:
      - .address_space:  global
        .offset:         0
        .size:           8
        .value_kind:     global_buffer
      - .address_space:  global
        .offset:         8
        .size:           8
        .value_kind:     global_buffer
      - .address_space:  global
        .offset:         16
        .size:           8
        .value_kind:     global_buffer
      - .offset:         24
        .size:           4
        .value_kind:     by_value
      - .offset:         32
        .size:           4
        .value_kind:     hidden_block_count_x
      - .offset:         36
        .size:           4
        .value_kind:     hidden_block_count_y
      - .offset:         40
        .size:           4
        .value_kind:     hidden_block_count_z
      - .offset:         44
        .size:           2
        .value_kind:     hidden_group_size_x
      - .offset:         46
        .size:           2
        .value_kind:     hidden_group_size_y
      - .offset:         48
        .size:           2
        .value_kind:     hidden_group_size_z
      - .offset:         50
        .size:           2
        .value_kind:     hidden_remainder_x
      - .offset:         52
        .size:           2
        .value_kind:     hidden_remainder_y
      - .offset:         54
        .size:           2
        .value_kind:     hidden_remainder_z
      - .offset:         72
        .size:           8
        .value_kind:     hidden_global_offset_x
      - .offset:         80
        .size:           8
        .value_kind:     hidden_global_offset_y
      - .offset:         88
        .size:           8
        .value_kind:     hidden_global_offset_z
      - .offset:         96
        .size:           2
        .value_kind:     hidden_grid_dims
    .group_segment_fixed_size: 112
    .kernarg_segment_align: 8
    .kernarg_segment_size: 288
    .language:       OpenCL C
    .language_version:
      - 2
      - 0
    .max_flat_workgroup_size: 28
    .name:           _Z33warp_exclusive_scan_reduce_kernelIfLj28ELj7EENSt9enable_ifIXsr10test_utilsE35device_test_enabled_for_warp_size_vIXT1_EEEvE4typeEPT_S4_S4_S3_
    .private_segment_fixed_size: 0
    .sgpr_count:     14
    .sgpr_spill_count: 0
    .symbol:         _Z33warp_exclusive_scan_reduce_kernelIfLj28ELj7EENSt9enable_ifIXsr10test_utilsE35device_test_enabled_for_warp_size_vIXT1_EEEvE4typeEPT_S4_S4_S3_.kd
    .uniform_work_group_size: 1
    .uses_dynamic_stack: false
    .vgpr_count:     10
    .vgpr_spill_count: 0
    .wavefront_size: 64
  - .args:
      - .address_space:  global
        .offset:         0
        .size:           8
        .value_kind:     global_buffer
      - .address_space:  global
        .offset:         8
        .size:           8
        .value_kind:     global_buffer
      - .address_space:  global
        .offset:         16
        .size:           8
        .value_kind:     global_buffer
      - .offset:         24
        .size:           4
        .value_kind:     by_value
      - .offset:         32
        .size:           4
        .value_kind:     hidden_block_count_x
      - .offset:         36
        .size:           4
        .value_kind:     hidden_block_count_y
      - .offset:         40
        .size:           4
        .value_kind:     hidden_block_count_z
      - .offset:         44
        .size:           2
        .value_kind:     hidden_group_size_x
      - .offset:         46
        .size:           2
        .value_kind:     hidden_group_size_y
      - .offset:         48
        .size:           2
        .value_kind:     hidden_group_size_z
      - .offset:         50
        .size:           2
        .value_kind:     hidden_remainder_x
      - .offset:         52
        .size:           2
        .value_kind:     hidden_remainder_y
      - .offset:         54
        .size:           2
        .value_kind:     hidden_remainder_z
      - .offset:         72
        .size:           8
        .value_kind:     hidden_global_offset_x
      - .offset:         80
        .size:           8
        .value_kind:     hidden_global_offset_y
      - .offset:         88
        .size:           8
        .value_kind:     hidden_global_offset_z
      - .offset:         96
        .size:           2
        .value_kind:     hidden_grid_dims
    .group_segment_fixed_size: 252
    .kernarg_segment_align: 8
    .kernarg_segment_size: 288
    .language:       OpenCL C
    .language_version:
      - 2
      - 0
    .max_flat_workgroup_size: 63
    .name:           _Z33warp_exclusive_scan_reduce_kernelIfLj63ELj7EENSt9enable_ifIXsr10test_utilsE35device_test_enabled_for_warp_size_vIXT1_EEEvE4typeEPT_S4_S4_S3_
    .private_segment_fixed_size: 0
    .sgpr_count:     14
    .sgpr_spill_count: 0
    .symbol:         _Z33warp_exclusive_scan_reduce_kernelIfLj63ELj7EENSt9enable_ifIXsr10test_utilsE35device_test_enabled_for_warp_size_vIXT1_EEEvE4typeEPT_S4_S4_S3_.kd
    .uniform_work_group_size: 1
    .uses_dynamic_stack: false
    .vgpr_count:     10
    .vgpr_spill_count: 0
    .wavefront_size: 64
  - .args:
      - .address_space:  global
        .offset:         0
        .size:           8
        .value_kind:     global_buffer
      - .address_space:  global
        .offset:         8
        .size:           8
        .value_kind:     global_buffer
      - .address_space:  global
        .offset:         16
        .size:           8
        .value_kind:     global_buffer
      - .offset:         24
        .size:           4
        .value_kind:     by_value
      - .offset:         32
        .size:           4
        .value_kind:     hidden_block_count_x
      - .offset:         36
        .size:           4
        .value_kind:     hidden_block_count_y
      - .offset:         40
        .size:           4
        .value_kind:     hidden_block_count_z
      - .offset:         44
        .size:           2
        .value_kind:     hidden_group_size_x
      - .offset:         46
        .size:           2
        .value_kind:     hidden_group_size_y
      - .offset:         48
        .size:           2
        .value_kind:     hidden_group_size_z
      - .offset:         50
        .size:           2
        .value_kind:     hidden_remainder_x
      - .offset:         52
        .size:           2
        .value_kind:     hidden_remainder_y
      - .offset:         54
        .size:           2
        .value_kind:     hidden_remainder_z
      - .offset:         72
        .size:           8
        .value_kind:     hidden_global_offset_x
      - .offset:         80
        .size:           8
        .value_kind:     hidden_global_offset_y
      - .offset:         88
        .size:           8
        .value_kind:     hidden_global_offset_z
      - .offset:         96
        .size:           2
        .value_kind:     hidden_grid_dims
    .group_segment_fixed_size: 120
    .kernarg_segment_align: 8
    .kernarg_segment_size: 288
    .language:       OpenCL C
    .language_version:
      - 2
      - 0
    .max_flat_workgroup_size: 30
    .name:           _Z33warp_exclusive_scan_reduce_kernelIfLj30ELj3EENSt9enable_ifIXsr10test_utilsE35device_test_enabled_for_warp_size_vIXT1_EEEvE4typeEPT_S4_S4_S3_
    .private_segment_fixed_size: 0
    .sgpr_count:     14
    .sgpr_spill_count: 0
    .symbol:         _Z33warp_exclusive_scan_reduce_kernelIfLj30ELj3EENSt9enable_ifIXsr10test_utilsE35device_test_enabled_for_warp_size_vIXT1_EEEvE4typeEPT_S4_S4_S3_.kd
    .uniform_work_group_size: 1
    .uses_dynamic_stack: false
    .vgpr_count:     11
    .vgpr_spill_count: 0
    .wavefront_size: 64
  - .args:
      - .address_space:  global
        .offset:         0
        .size:           8
        .value_kind:     global_buffer
      - .address_space:  global
        .offset:         8
        .size:           8
        .value_kind:     global_buffer
      - .address_space:  global
        .offset:         16
        .size:           8
        .value_kind:     global_buffer
      - .offset:         24
        .size:           4
        .value_kind:     by_value
      - .offset:         32
        .size:           4
        .value_kind:     hidden_block_count_x
      - .offset:         36
        .size:           4
        .value_kind:     hidden_block_count_y
      - .offset:         40
        .size:           4
        .value_kind:     hidden_block_count_z
      - .offset:         44
        .size:           2
        .value_kind:     hidden_group_size_x
      - .offset:         46
        .size:           2
        .value_kind:     hidden_group_size_y
      - .offset:         48
        .size:           2
        .value_kind:     hidden_group_size_z
      - .offset:         50
        .size:           2
        .value_kind:     hidden_remainder_x
      - .offset:         52
        .size:           2
        .value_kind:     hidden_remainder_y
      - .offset:         54
        .size:           2
        .value_kind:     hidden_remainder_z
      - .offset:         72
        .size:           8
        .value_kind:     hidden_global_offset_x
      - .offset:         80
        .size:           8
        .value_kind:     hidden_global_offset_y
      - .offset:         88
        .size:           8
        .value_kind:     hidden_global_offset_z
      - .offset:         96
        .size:           2
        .value_kind:     hidden_grid_dims
    .group_segment_fixed_size: 252
    .kernarg_segment_align: 8
    .kernarg_segment_size: 288
    .language:       OpenCL C
    .language_version:
      - 2
      - 0
    .max_flat_workgroup_size: 63
    .name:           _Z33warp_exclusive_scan_reduce_kernelIfLj63ELj3EENSt9enable_ifIXsr10test_utilsE35device_test_enabled_for_warp_size_vIXT1_EEEvE4typeEPT_S4_S4_S3_
    .private_segment_fixed_size: 0
    .sgpr_count:     14
    .sgpr_spill_count: 0
    .symbol:         _Z33warp_exclusive_scan_reduce_kernelIfLj63ELj3EENSt9enable_ifIXsr10test_utilsE35device_test_enabled_for_warp_size_vIXT1_EEEvE4typeEPT_S4_S4_S3_.kd
    .uniform_work_group_size: 1
    .uses_dynamic_stack: false
    .vgpr_count:     11
    .vgpr_spill_count: 0
    .wavefront_size: 64
  - .args:
      - .address_space:  global
        .offset:         0
        .size:           8
        .value_kind:     global_buffer
      - .address_space:  global
        .offset:         8
        .size:           8
        .value_kind:     global_buffer
      - .address_space:  global
        .offset:         16
        .size:           8
        .value_kind:     global_buffer
      - .offset:         24
        .size:           4
        .value_kind:     by_value
      - .offset:         32
        .size:           4
        .value_kind:     hidden_block_count_x
      - .offset:         36
        .size:           4
        .value_kind:     hidden_block_count_y
      - .offset:         40
        .size:           4
        .value_kind:     hidden_block_count_z
      - .offset:         44
        .size:           2
        .value_kind:     hidden_group_size_x
      - .offset:         46
        .size:           2
        .value_kind:     hidden_group_size_y
      - .offset:         48
        .size:           2
        .value_kind:     hidden_group_size_z
      - .offset:         50
        .size:           2
        .value_kind:     hidden_remainder_x
      - .offset:         52
        .size:           2
        .value_kind:     hidden_remainder_y
      - .offset:         54
        .size:           2
        .value_kind:     hidden_remainder_z
      - .offset:         72
        .size:           8
        .value_kind:     hidden_global_offset_x
      - .offset:         80
        .size:           8
        .value_kind:     hidden_global_offset_y
      - .offset:         88
        .size:           8
        .value_kind:     hidden_global_offset_z
      - .offset:         96
        .size:           2
        .value_kind:     hidden_grid_dims
    .group_segment_fixed_size: 244
    .kernarg_segment_align: 8
    .kernarg_segment_size: 288
    .language:       OpenCL C
    .language_version:
      - 2
      - 0
    .max_flat_workgroup_size: 1
    .name:           _Z33warp_exclusive_scan_reduce_kernelIiLj1ELj61EENSt9enable_ifIXsr10test_utilsE35device_test_enabled_for_warp_size_vIXT1_EEEvE4typeEPT_S4_S4_S3_
    .private_segment_fixed_size: 0
    .sgpr_count:     18
    .sgpr_spill_count: 0
    .symbol:         _Z33warp_exclusive_scan_reduce_kernelIiLj1ELj61EENSt9enable_ifIXsr10test_utilsE35device_test_enabled_for_warp_size_vIXT1_EEEvE4typeEPT_S4_S4_S3_.kd
    .uniform_work_group_size: 1
    .uses_dynamic_stack: false
    .vgpr_count:     4
    .vgpr_spill_count: 0
    .wavefront_size: 64
  - .args:
      - .address_space:  global
        .offset:         0
        .size:           8
        .value_kind:     global_buffer
      - .address_space:  global
        .offset:         8
        .size:           8
        .value_kind:     global_buffer
      - .address_space:  global
        .offset:         16
        .size:           8
        .value_kind:     global_buffer
      - .offset:         24
        .size:           4
        .value_kind:     by_value
      - .offset:         32
        .size:           4
        .value_kind:     hidden_block_count_x
      - .offset:         36
        .size:           4
        .value_kind:     hidden_block_count_y
      - .offset:         40
        .size:           4
        .value_kind:     hidden_block_count_z
      - .offset:         44
        .size:           2
        .value_kind:     hidden_group_size_x
      - .offset:         46
        .size:           2
        .value_kind:     hidden_group_size_y
      - .offset:         48
        .size:           2
        .value_kind:     hidden_group_size_z
      - .offset:         50
        .size:           2
        .value_kind:     hidden_remainder_x
      - .offset:         52
        .size:           2
        .value_kind:     hidden_remainder_y
      - .offset:         54
        .size:           2
        .value_kind:     hidden_remainder_z
      - .offset:         72
        .size:           8
        .value_kind:     hidden_global_offset_x
      - .offset:         80
        .size:           8
        .value_kind:     hidden_global_offset_y
      - .offset:         88
        .size:           8
        .value_kind:     hidden_global_offset_z
      - .offset:         96
        .size:           2
        .value_kind:     hidden_grid_dims
    .group_segment_fixed_size: 244
    .kernarg_segment_align: 8
    .kernarg_segment_size: 288
    .language:       OpenCL C
    .language_version:
      - 2
      - 0
    .max_flat_workgroup_size: 61
    .name:           _Z33warp_exclusive_scan_reduce_kernelIiLj61ELj61EENSt9enable_ifIXsr10test_utilsE35device_test_enabled_for_warp_size_vIXT1_EEEvE4typeEPT_S4_S4_S3_
    .private_segment_fixed_size: 0
    .sgpr_count:     14
    .sgpr_spill_count: 0
    .symbol:         _Z33warp_exclusive_scan_reduce_kernelIiLj61ELj61EENSt9enable_ifIXsr10test_utilsE35device_test_enabled_for_warp_size_vIXT1_EEEvE4typeEPT_S4_S4_S3_.kd
    .uniform_work_group_size: 1
    .uses_dynamic_stack: false
    .vgpr_count:     10
    .vgpr_spill_count: 0
    .wavefront_size: 64
  - .args:
      - .address_space:  global
        .offset:         0
        .size:           8
        .value_kind:     global_buffer
      - .address_space:  global
        .offset:         8
        .size:           8
        .value_kind:     global_buffer
      - .address_space:  global
        .offset:         16
        .size:           8
        .value_kind:     global_buffer
      - .offset:         24
        .size:           4
        .value_kind:     by_value
      - .offset:         32
        .size:           4
        .value_kind:     hidden_block_count_x
      - .offset:         36
        .size:           4
        .value_kind:     hidden_block_count_y
      - .offset:         40
        .size:           4
        .value_kind:     hidden_block_count_z
      - .offset:         44
        .size:           2
        .value_kind:     hidden_group_size_x
      - .offset:         46
        .size:           2
        .value_kind:     hidden_group_size_y
      - .offset:         48
        .size:           2
        .value_kind:     hidden_group_size_z
      - .offset:         50
        .size:           2
        .value_kind:     hidden_remainder_x
      - .offset:         52
        .size:           2
        .value_kind:     hidden_remainder_y
      - .offset:         54
        .size:           2
        .value_kind:     hidden_remainder_z
      - .offset:         72
        .size:           8
        .value_kind:     hidden_global_offset_x
      - .offset:         80
        .size:           8
        .value_kind:     hidden_global_offset_y
      - .offset:         88
        .size:           8
        .value_kind:     hidden_global_offset_z
      - .offset:         96
        .size:           2
        .value_kind:     hidden_grid_dims
    .group_segment_fixed_size: 148
    .kernarg_segment_align: 8
    .kernarg_segment_size: 288
    .language:       OpenCL C
    .language_version:
      - 2
      - 0
    .max_flat_workgroup_size: 1
    .name:           _Z33warp_exclusive_scan_reduce_kernelIiLj1ELj37EENSt9enable_ifIXsr10test_utilsE35device_test_enabled_for_warp_size_vIXT1_EEEvE4typeEPT_S4_S4_S3_
    .private_segment_fixed_size: 0
    .sgpr_count:     18
    .sgpr_spill_count: 0
    .symbol:         _Z33warp_exclusive_scan_reduce_kernelIiLj1ELj37EENSt9enable_ifIXsr10test_utilsE35device_test_enabled_for_warp_size_vIXT1_EEEvE4typeEPT_S4_S4_S3_.kd
    .uniform_work_group_size: 1
    .uses_dynamic_stack: false
    .vgpr_count:     4
    .vgpr_spill_count: 0
    .wavefront_size: 64
  - .args:
      - .address_space:  global
        .offset:         0
        .size:           8
        .value_kind:     global_buffer
      - .address_space:  global
        .offset:         8
        .size:           8
        .value_kind:     global_buffer
      - .address_space:  global
        .offset:         16
        .size:           8
        .value_kind:     global_buffer
      - .offset:         24
        .size:           4
        .value_kind:     by_value
      - .offset:         32
        .size:           4
        .value_kind:     hidden_block_count_x
      - .offset:         36
        .size:           4
        .value_kind:     hidden_block_count_y
      - .offset:         40
        .size:           4
        .value_kind:     hidden_block_count_z
      - .offset:         44
        .size:           2
        .value_kind:     hidden_group_size_x
      - .offset:         46
        .size:           2
        .value_kind:     hidden_group_size_y
      - .offset:         48
        .size:           2
        .value_kind:     hidden_group_size_z
      - .offset:         50
        .size:           2
        .value_kind:     hidden_remainder_x
      - .offset:         52
        .size:           2
        .value_kind:     hidden_remainder_y
      - .offset:         54
        .size:           2
        .value_kind:     hidden_remainder_z
      - .offset:         72
        .size:           8
        .value_kind:     hidden_global_offset_x
      - .offset:         80
        .size:           8
        .value_kind:     hidden_global_offset_y
      - .offset:         88
        .size:           8
        .value_kind:     hidden_global_offset_z
      - .offset:         96
        .size:           2
        .value_kind:     hidden_grid_dims
    .group_segment_fixed_size: 148
    .kernarg_segment_align: 8
    .kernarg_segment_size: 288
    .language:       OpenCL C
    .language_version:
      - 2
      - 0
    .max_flat_workgroup_size: 37
    .name:           _Z33warp_exclusive_scan_reduce_kernelIiLj37ELj37EENSt9enable_ifIXsr10test_utilsE35device_test_enabled_for_warp_size_vIXT1_EEEvE4typeEPT_S4_S4_S3_
    .private_segment_fixed_size: 0
    .sgpr_count:     14
    .sgpr_spill_count: 0
    .symbol:         _Z33warp_exclusive_scan_reduce_kernelIiLj37ELj37EENSt9enable_ifIXsr10test_utilsE35device_test_enabled_for_warp_size_vIXT1_EEEvE4typeEPT_S4_S4_S3_.kd
    .uniform_work_group_size: 1
    .uses_dynamic_stack: false
    .vgpr_count:     10
    .vgpr_spill_count: 0
    .wavefront_size: 64
  - .args:
      - .address_space:  global
        .offset:         0
        .size:           8
        .value_kind:     global_buffer
      - .address_space:  global
        .offset:         8
        .size:           8
        .value_kind:     global_buffer
      - .address_space:  global
        .offset:         16
        .size:           8
        .value_kind:     global_buffer
      - .offset:         24
        .size:           4
        .value_kind:     by_value
      - .offset:         32
        .size:           4
        .value_kind:     hidden_block_count_x
      - .offset:         36
        .size:           4
        .value_kind:     hidden_block_count_y
      - .offset:         40
        .size:           4
        .value_kind:     hidden_block_count_z
      - .offset:         44
        .size:           2
        .value_kind:     hidden_group_size_x
      - .offset:         46
        .size:           2
        .value_kind:     hidden_group_size_y
      - .offset:         48
        .size:           2
        .value_kind:     hidden_group_size_z
      - .offset:         50
        .size:           2
        .value_kind:     hidden_remainder_x
      - .offset:         52
        .size:           2
        .value_kind:     hidden_remainder_y
      - .offset:         54
        .size:           2
        .value_kind:     hidden_remainder_z
      - .offset:         72
        .size:           8
        .value_kind:     hidden_global_offset_x
      - .offset:         80
        .size:           8
        .value_kind:     hidden_global_offset_y
      - .offset:         88
        .size:           8
        .value_kind:     hidden_global_offset_z
      - .offset:         96
        .size:           2
        .value_kind:     hidden_grid_dims
    .group_segment_fixed_size: 120
    .kernarg_segment_align: 8
    .kernarg_segment_size: 288
    .language:       OpenCL C
    .language_version:
      - 2
      - 0
    .max_flat_workgroup_size: 30
    .name:           _Z33warp_exclusive_scan_reduce_kernelIiLj30ELj15EENSt9enable_ifIXsr10test_utilsE35device_test_enabled_for_warp_size_vIXT1_EEEvE4typeEPT_S4_S4_S3_
    .private_segment_fixed_size: 0
    .sgpr_count:     14
    .sgpr_spill_count: 0
    .symbol:         _Z33warp_exclusive_scan_reduce_kernelIiLj30ELj15EENSt9enable_ifIXsr10test_utilsE35device_test_enabled_for_warp_size_vIXT1_EEEvE4typeEPT_S4_S4_S3_.kd
    .uniform_work_group_size: 1
    .uses_dynamic_stack: false
    .vgpr_count:     10
    .vgpr_spill_count: 0
    .wavefront_size: 64
  - .args:
      - .address_space:  global
        .offset:         0
        .size:           8
        .value_kind:     global_buffer
      - .address_space:  global
        .offset:         8
        .size:           8
        .value_kind:     global_buffer
      - .address_space:  global
        .offset:         16
        .size:           8
        .value_kind:     global_buffer
      - .offset:         24
        .size:           4
        .value_kind:     by_value
      - .offset:         32
        .size:           4
        .value_kind:     hidden_block_count_x
      - .offset:         36
        .size:           4
        .value_kind:     hidden_block_count_y
      - .offset:         40
        .size:           4
        .value_kind:     hidden_block_count_z
      - .offset:         44
        .size:           2
        .value_kind:     hidden_group_size_x
      - .offset:         46
        .size:           2
        .value_kind:     hidden_group_size_y
      - .offset:         48
        .size:           2
        .value_kind:     hidden_group_size_z
      - .offset:         50
        .size:           2
        .value_kind:     hidden_remainder_x
      - .offset:         52
        .size:           2
        .value_kind:     hidden_remainder_y
      - .offset:         54
        .size:           2
        .value_kind:     hidden_remainder_z
      - .offset:         72
        .size:           8
        .value_kind:     hidden_global_offset_x
      - .offset:         80
        .size:           8
        .value_kind:     hidden_global_offset_y
      - .offset:         88
        .size:           8
        .value_kind:     hidden_global_offset_z
      - .offset:         96
        .size:           2
        .value_kind:     hidden_grid_dims
    .group_segment_fixed_size: 240
    .kernarg_segment_align: 8
    .kernarg_segment_size: 288
    .language:       OpenCL C
    .language_version:
      - 2
      - 0
    .max_flat_workgroup_size: 60
    .name:           _Z33warp_exclusive_scan_reduce_kernelIiLj60ELj15EENSt9enable_ifIXsr10test_utilsE35device_test_enabled_for_warp_size_vIXT1_EEEvE4typeEPT_S4_S4_S3_
    .private_segment_fixed_size: 0
    .sgpr_count:     14
    .sgpr_spill_count: 0
    .symbol:         _Z33warp_exclusive_scan_reduce_kernelIiLj60ELj15EENSt9enable_ifIXsr10test_utilsE35device_test_enabled_for_warp_size_vIXT1_EEEvE4typeEPT_S4_S4_S3_.kd
    .uniform_work_group_size: 1
    .uses_dynamic_stack: false
    .vgpr_count:     10
    .vgpr_spill_count: 0
    .wavefront_size: 64
  - .args:
      - .address_space:  global
        .offset:         0
        .size:           8
        .value_kind:     global_buffer
      - .address_space:  global
        .offset:         8
        .size:           8
        .value_kind:     global_buffer
      - .address_space:  global
        .offset:         16
        .size:           8
        .value_kind:     global_buffer
      - .offset:         24
        .size:           4
        .value_kind:     by_value
      - .offset:         32
        .size:           4
        .value_kind:     hidden_block_count_x
      - .offset:         36
        .size:           4
        .value_kind:     hidden_block_count_y
      - .offset:         40
        .size:           4
        .value_kind:     hidden_block_count_z
      - .offset:         44
        .size:           2
        .value_kind:     hidden_group_size_x
      - .offset:         46
        .size:           2
        .value_kind:     hidden_group_size_y
      - .offset:         48
        .size:           2
        .value_kind:     hidden_group_size_z
      - .offset:         50
        .size:           2
        .value_kind:     hidden_remainder_x
      - .offset:         52
        .size:           2
        .value_kind:     hidden_remainder_y
      - .offset:         54
        .size:           2
        .value_kind:     hidden_remainder_z
      - .offset:         72
        .size:           8
        .value_kind:     hidden_global_offset_x
      - .offset:         80
        .size:           8
        .value_kind:     hidden_global_offset_y
      - .offset:         88
        .size:           8
        .value_kind:     hidden_global_offset_z
      - .offset:         96
        .size:           2
        .value_kind:     hidden_grid_dims
    .group_segment_fixed_size: 112
    .kernarg_segment_align: 8
    .kernarg_segment_size: 288
    .language:       OpenCL C
    .language_version:
      - 2
      - 0
    .max_flat_workgroup_size: 28
    .name:           _Z33warp_exclusive_scan_reduce_kernelIiLj28ELj7EENSt9enable_ifIXsr10test_utilsE35device_test_enabled_for_warp_size_vIXT1_EEEvE4typeEPT_S4_S4_S3_
    .private_segment_fixed_size: 0
    .sgpr_count:     14
    .sgpr_spill_count: 0
    .symbol:         _Z33warp_exclusive_scan_reduce_kernelIiLj28ELj7EENSt9enable_ifIXsr10test_utilsE35device_test_enabled_for_warp_size_vIXT1_EEEvE4typeEPT_S4_S4_S3_.kd
    .uniform_work_group_size: 1
    .uses_dynamic_stack: false
    .vgpr_count:     10
    .vgpr_spill_count: 0
    .wavefront_size: 64
  - .args:
      - .address_space:  global
        .offset:         0
        .size:           8
        .value_kind:     global_buffer
      - .address_space:  global
        .offset:         8
        .size:           8
        .value_kind:     global_buffer
      - .address_space:  global
        .offset:         16
        .size:           8
        .value_kind:     global_buffer
      - .offset:         24
        .size:           4
        .value_kind:     by_value
      - .offset:         32
        .size:           4
        .value_kind:     hidden_block_count_x
      - .offset:         36
        .size:           4
        .value_kind:     hidden_block_count_y
      - .offset:         40
        .size:           4
        .value_kind:     hidden_block_count_z
      - .offset:         44
        .size:           2
        .value_kind:     hidden_group_size_x
      - .offset:         46
        .size:           2
        .value_kind:     hidden_group_size_y
      - .offset:         48
        .size:           2
        .value_kind:     hidden_group_size_z
      - .offset:         50
        .size:           2
        .value_kind:     hidden_remainder_x
      - .offset:         52
        .size:           2
        .value_kind:     hidden_remainder_y
      - .offset:         54
        .size:           2
        .value_kind:     hidden_remainder_z
      - .offset:         72
        .size:           8
        .value_kind:     hidden_global_offset_x
      - .offset:         80
        .size:           8
        .value_kind:     hidden_global_offset_y
      - .offset:         88
        .size:           8
        .value_kind:     hidden_global_offset_z
      - .offset:         96
        .size:           2
        .value_kind:     hidden_grid_dims
    .group_segment_fixed_size: 252
    .kernarg_segment_align: 8
    .kernarg_segment_size: 288
    .language:       OpenCL C
    .language_version:
      - 2
      - 0
    .max_flat_workgroup_size: 63
    .name:           _Z33warp_exclusive_scan_reduce_kernelIiLj63ELj7EENSt9enable_ifIXsr10test_utilsE35device_test_enabled_for_warp_size_vIXT1_EEEvE4typeEPT_S4_S4_S3_
    .private_segment_fixed_size: 0
    .sgpr_count:     14
    .sgpr_spill_count: 0
    .symbol:         _Z33warp_exclusive_scan_reduce_kernelIiLj63ELj7EENSt9enable_ifIXsr10test_utilsE35device_test_enabled_for_warp_size_vIXT1_EEEvE4typeEPT_S4_S4_S3_.kd
    .uniform_work_group_size: 1
    .uses_dynamic_stack: false
    .vgpr_count:     10
    .vgpr_spill_count: 0
    .wavefront_size: 64
  - .args:
      - .address_space:  global
        .offset:         0
        .size:           8
        .value_kind:     global_buffer
      - .address_space:  global
        .offset:         8
        .size:           8
        .value_kind:     global_buffer
      - .address_space:  global
        .offset:         16
        .size:           8
        .value_kind:     global_buffer
      - .offset:         24
        .size:           4
        .value_kind:     by_value
      - .offset:         32
        .size:           4
        .value_kind:     hidden_block_count_x
      - .offset:         36
        .size:           4
        .value_kind:     hidden_block_count_y
      - .offset:         40
        .size:           4
        .value_kind:     hidden_block_count_z
      - .offset:         44
        .size:           2
        .value_kind:     hidden_group_size_x
      - .offset:         46
        .size:           2
        .value_kind:     hidden_group_size_y
      - .offset:         48
        .size:           2
        .value_kind:     hidden_group_size_z
      - .offset:         50
        .size:           2
        .value_kind:     hidden_remainder_x
      - .offset:         52
        .size:           2
        .value_kind:     hidden_remainder_y
      - .offset:         54
        .size:           2
        .value_kind:     hidden_remainder_z
      - .offset:         72
        .size:           8
        .value_kind:     hidden_global_offset_x
      - .offset:         80
        .size:           8
        .value_kind:     hidden_global_offset_y
      - .offset:         88
        .size:           8
        .value_kind:     hidden_global_offset_z
      - .offset:         96
        .size:           2
        .value_kind:     hidden_grid_dims
    .group_segment_fixed_size: 120
    .kernarg_segment_align: 8
    .kernarg_segment_size: 288
    .language:       OpenCL C
    .language_version:
      - 2
      - 0
    .max_flat_workgroup_size: 30
    .name:           _Z33warp_exclusive_scan_reduce_kernelIiLj30ELj3EENSt9enable_ifIXsr10test_utilsE35device_test_enabled_for_warp_size_vIXT1_EEEvE4typeEPT_S4_S4_S3_
    .private_segment_fixed_size: 0
    .sgpr_count:     14
    .sgpr_spill_count: 0
    .symbol:         _Z33warp_exclusive_scan_reduce_kernelIiLj30ELj3EENSt9enable_ifIXsr10test_utilsE35device_test_enabled_for_warp_size_vIXT1_EEEvE4typeEPT_S4_S4_S3_.kd
    .uniform_work_group_size: 1
    .uses_dynamic_stack: false
    .vgpr_count:     11
    .vgpr_spill_count: 0
    .wavefront_size: 64
  - .args:
      - .address_space:  global
        .offset:         0
        .size:           8
        .value_kind:     global_buffer
      - .address_space:  global
        .offset:         8
        .size:           8
        .value_kind:     global_buffer
      - .address_space:  global
        .offset:         16
        .size:           8
        .value_kind:     global_buffer
      - .offset:         24
        .size:           4
        .value_kind:     by_value
      - .offset:         32
        .size:           4
        .value_kind:     hidden_block_count_x
      - .offset:         36
        .size:           4
        .value_kind:     hidden_block_count_y
      - .offset:         40
        .size:           4
        .value_kind:     hidden_block_count_z
      - .offset:         44
        .size:           2
        .value_kind:     hidden_group_size_x
      - .offset:         46
        .size:           2
        .value_kind:     hidden_group_size_y
      - .offset:         48
        .size:           2
        .value_kind:     hidden_group_size_z
      - .offset:         50
        .size:           2
        .value_kind:     hidden_remainder_x
      - .offset:         52
        .size:           2
        .value_kind:     hidden_remainder_y
      - .offset:         54
        .size:           2
        .value_kind:     hidden_remainder_z
      - .offset:         72
        .size:           8
        .value_kind:     hidden_global_offset_x
      - .offset:         80
        .size:           8
        .value_kind:     hidden_global_offset_y
      - .offset:         88
        .size:           8
        .value_kind:     hidden_global_offset_z
      - .offset:         96
        .size:           2
        .value_kind:     hidden_grid_dims
    .group_segment_fixed_size: 252
    .kernarg_segment_align: 8
    .kernarg_segment_size: 288
    .language:       OpenCL C
    .language_version:
      - 2
      - 0
    .max_flat_workgroup_size: 63
    .name:           _Z33warp_exclusive_scan_reduce_kernelIiLj63ELj3EENSt9enable_ifIXsr10test_utilsE35device_test_enabled_for_warp_size_vIXT1_EEEvE4typeEPT_S4_S4_S3_
    .private_segment_fixed_size: 0
    .sgpr_count:     14
    .sgpr_spill_count: 0
    .symbol:         _Z33warp_exclusive_scan_reduce_kernelIiLj63ELj3EENSt9enable_ifIXsr10test_utilsE35device_test_enabled_for_warp_size_vIXT1_EEEvE4typeEPT_S4_S4_S3_.kd
    .uniform_work_group_size: 1
    .uses_dynamic_stack: false
    .vgpr_count:     11
    .vgpr_spill_count: 0
    .wavefront_size: 64
  - .args:
      - .address_space:  global
        .offset:         0
        .size:           8
        .value_kind:     global_buffer
      - .address_space:  global
        .offset:         8
        .size:           8
        .value_kind:     global_buffer
      - .address_space:  global
        .offset:         16
        .size:           8
        .value_kind:     global_buffer
      - .offset:         24
        .size:           2
        .value_kind:     by_value
      - .offset:         32
        .size:           4
        .value_kind:     hidden_block_count_x
      - .offset:         36
        .size:           4
        .value_kind:     hidden_block_count_y
      - .offset:         40
        .size:           4
        .value_kind:     hidden_block_count_z
      - .offset:         44
        .size:           2
        .value_kind:     hidden_group_size_x
      - .offset:         46
        .size:           2
        .value_kind:     hidden_group_size_y
      - .offset:         48
        .size:           2
        .value_kind:     hidden_group_size_z
      - .offset:         50
        .size:           2
        .value_kind:     hidden_remainder_x
      - .offset:         52
        .size:           2
        .value_kind:     hidden_remainder_y
      - .offset:         54
        .size:           2
        .value_kind:     hidden_remainder_z
      - .offset:         72
        .size:           8
        .value_kind:     hidden_global_offset_x
      - .offset:         80
        .size:           8
        .value_kind:     hidden_global_offset_y
      - .offset:         88
        .size:           8
        .value_kind:     hidden_global_offset_z
      - .offset:         96
        .size:           2
        .value_kind:     hidden_grid_dims
    .group_segment_fixed_size: 0
    .kernarg_segment_align: 8
    .kernarg_segment_size: 288
    .language:       OpenCL C
    .language_version:
      - 2
      - 0
    .max_flat_workgroup_size: 256
    .name:           _Z33warp_exclusive_scan_reduce_kernelI12hip_bfloat16Lj256ELj64EENSt9enable_ifIXsr10test_utilsE35device_test_enabled_for_warp_size_vIXT1_EEEvE4typeEPT_S5_S5_S4_
    .private_segment_fixed_size: 0
    .sgpr_count:     12
    .sgpr_spill_count: 0
    .symbol:         _Z33warp_exclusive_scan_reduce_kernelI12hip_bfloat16Lj256ELj64EENSt9enable_ifIXsr10test_utilsE35device_test_enabled_for_warp_size_vIXT1_EEEvE4typeEPT_S5_S5_S4_.kd
    .uniform_work_group_size: 1
    .uses_dynamic_stack: false
    .vgpr_count:     11
    .vgpr_spill_count: 0
    .wavefront_size: 64
  - .args:
      - .address_space:  global
        .offset:         0
        .size:           8
        .value_kind:     global_buffer
      - .address_space:  global
        .offset:         8
        .size:           8
        .value_kind:     global_buffer
      - .address_space:  global
        .offset:         16
        .size:           8
        .value_kind:     global_buffer
      - .offset:         24
        .size:           2
        .value_kind:     by_value
      - .offset:         32
        .size:           4
        .value_kind:     hidden_block_count_x
      - .offset:         36
        .size:           4
        .value_kind:     hidden_block_count_y
      - .offset:         40
        .size:           4
        .value_kind:     hidden_block_count_z
      - .offset:         44
        .size:           2
        .value_kind:     hidden_group_size_x
      - .offset:         46
        .size:           2
        .value_kind:     hidden_group_size_y
      - .offset:         48
        .size:           2
        .value_kind:     hidden_group_size_z
      - .offset:         50
        .size:           2
        .value_kind:     hidden_remainder_x
      - .offset:         52
        .size:           2
        .value_kind:     hidden_remainder_y
      - .offset:         54
        .size:           2
        .value_kind:     hidden_remainder_z
      - .offset:         72
        .size:           8
        .value_kind:     hidden_global_offset_x
      - .offset:         80
        .size:           8
        .value_kind:     hidden_global_offset_y
      - .offset:         88
        .size:           8
        .value_kind:     hidden_global_offset_z
      - .offset:         96
        .size:           2
        .value_kind:     hidden_grid_dims
    .group_segment_fixed_size: 0
    .kernarg_segment_align: 8
    .kernarg_segment_size: 288
    .language:       OpenCL C
    .language_version:
      - 2
      - 0
    .max_flat_workgroup_size: 128
    .name:           _Z33warp_exclusive_scan_reduce_kernelI12hip_bfloat16Lj128ELj32EENSt9enable_ifIXsr10test_utilsE35device_test_enabled_for_warp_size_vIXT1_EEEvE4typeEPT_S5_S5_S4_
    .private_segment_fixed_size: 0
    .sgpr_count:     12
    .sgpr_spill_count: 0
    .symbol:         _Z33warp_exclusive_scan_reduce_kernelI12hip_bfloat16Lj128ELj32EENSt9enable_ifIXsr10test_utilsE35device_test_enabled_for_warp_size_vIXT1_EEEvE4typeEPT_S5_S5_S4_.kd
    .uniform_work_group_size: 1
    .uses_dynamic_stack: false
    .vgpr_count:     11
    .vgpr_spill_count: 0
    .wavefront_size: 64
  - .args:
      - .address_space:  global
        .offset:         0
        .size:           8
        .value_kind:     global_buffer
      - .address_space:  global
        .offset:         8
        .size:           8
        .value_kind:     global_buffer
      - .address_space:  global
        .offset:         16
        .size:           8
        .value_kind:     global_buffer
      - .offset:         24
        .size:           2
        .value_kind:     by_value
      - .offset:         32
        .size:           4
        .value_kind:     hidden_block_count_x
      - .offset:         36
        .size:           4
        .value_kind:     hidden_block_count_y
      - .offset:         40
        .size:           4
        .value_kind:     hidden_block_count_z
      - .offset:         44
        .size:           2
        .value_kind:     hidden_group_size_x
      - .offset:         46
        .size:           2
        .value_kind:     hidden_group_size_y
      - .offset:         48
        .size:           2
        .value_kind:     hidden_group_size_z
      - .offset:         50
        .size:           2
        .value_kind:     hidden_remainder_x
      - .offset:         52
        .size:           2
        .value_kind:     hidden_remainder_y
      - .offset:         54
        .size:           2
        .value_kind:     hidden_remainder_z
      - .offset:         72
        .size:           8
        .value_kind:     hidden_global_offset_x
      - .offset:         80
        .size:           8
        .value_kind:     hidden_global_offset_y
      - .offset:         88
        .size:           8
        .value_kind:     hidden_global_offset_z
      - .offset:         96
        .size:           2
        .value_kind:     hidden_grid_dims
    .group_segment_fixed_size: 0
    .kernarg_segment_align: 8
    .kernarg_segment_size: 288
    .language:       OpenCL C
    .language_version:
      - 2
      - 0
    .max_flat_workgroup_size: 64
    .name:           _Z33warp_exclusive_scan_reduce_kernelI12hip_bfloat16Lj64ELj16EENSt9enable_ifIXsr10test_utilsE35device_test_enabled_for_warp_size_vIXT1_EEEvE4typeEPT_S5_S5_S4_
    .private_segment_fixed_size: 0
    .sgpr_count:     14
    .sgpr_spill_count: 0
    .symbol:         _Z33warp_exclusive_scan_reduce_kernelI12hip_bfloat16Lj64ELj16EENSt9enable_ifIXsr10test_utilsE35device_test_enabled_for_warp_size_vIXT1_EEEvE4typeEPT_S5_S5_S4_.kd
    .uniform_work_group_size: 1
    .uses_dynamic_stack: false
    .vgpr_count:     11
    .vgpr_spill_count: 0
    .wavefront_size: 64
  - .args:
      - .address_space:  global
        .offset:         0
        .size:           8
        .value_kind:     global_buffer
      - .address_space:  global
        .offset:         8
        .size:           8
        .value_kind:     global_buffer
      - .address_space:  global
        .offset:         16
        .size:           8
        .value_kind:     global_buffer
      - .offset:         24
        .size:           2
        .value_kind:     by_value
      - .offset:         32
        .size:           4
        .value_kind:     hidden_block_count_x
      - .offset:         36
        .size:           4
        .value_kind:     hidden_block_count_y
      - .offset:         40
        .size:           4
        .value_kind:     hidden_block_count_z
      - .offset:         44
        .size:           2
        .value_kind:     hidden_group_size_x
      - .offset:         46
        .size:           2
        .value_kind:     hidden_group_size_y
      - .offset:         48
        .size:           2
        .value_kind:     hidden_group_size_z
      - .offset:         50
        .size:           2
        .value_kind:     hidden_remainder_x
      - .offset:         52
        .size:           2
        .value_kind:     hidden_remainder_y
      - .offset:         54
        .size:           2
        .value_kind:     hidden_remainder_z
      - .offset:         72
        .size:           8
        .value_kind:     hidden_global_offset_x
      - .offset:         80
        .size:           8
        .value_kind:     hidden_global_offset_y
      - .offset:         88
        .size:           8
        .value_kind:     hidden_global_offset_z
      - .offset:         96
        .size:           2
        .value_kind:     hidden_grid_dims
    .group_segment_fixed_size: 0
    .kernarg_segment_align: 8
    .kernarg_segment_size: 288
    .language:       OpenCL C
    .language_version:
      - 2
      - 0
    .max_flat_workgroup_size: 32
    .name:           _Z33warp_exclusive_scan_reduce_kernelI12hip_bfloat16Lj32ELj8EENSt9enable_ifIXsr10test_utilsE35device_test_enabled_for_warp_size_vIXT1_EEEvE4typeEPT_S5_S5_S4_
    .private_segment_fixed_size: 0
    .sgpr_count:     14
    .sgpr_spill_count: 0
    .symbol:         _Z33warp_exclusive_scan_reduce_kernelI12hip_bfloat16Lj32ELj8EENSt9enable_ifIXsr10test_utilsE35device_test_enabled_for_warp_size_vIXT1_EEEvE4typeEPT_S5_S5_S4_.kd
    .uniform_work_group_size: 1
    .uses_dynamic_stack: false
    .vgpr_count:     11
    .vgpr_spill_count: 0
    .wavefront_size: 64
  - .args:
      - .address_space:  global
        .offset:         0
        .size:           8
        .value_kind:     global_buffer
      - .address_space:  global
        .offset:         8
        .size:           8
        .value_kind:     global_buffer
      - .address_space:  global
        .offset:         16
        .size:           8
        .value_kind:     global_buffer
      - .offset:         24
        .size:           2
        .value_kind:     by_value
      - .offset:         32
        .size:           4
        .value_kind:     hidden_block_count_x
      - .offset:         36
        .size:           4
        .value_kind:     hidden_block_count_y
      - .offset:         40
        .size:           4
        .value_kind:     hidden_block_count_z
      - .offset:         44
        .size:           2
        .value_kind:     hidden_group_size_x
      - .offset:         46
        .size:           2
        .value_kind:     hidden_group_size_y
      - .offset:         48
        .size:           2
        .value_kind:     hidden_group_size_z
      - .offset:         50
        .size:           2
        .value_kind:     hidden_remainder_x
      - .offset:         52
        .size:           2
        .value_kind:     hidden_remainder_y
      - .offset:         54
        .size:           2
        .value_kind:     hidden_remainder_z
      - .offset:         72
        .size:           8
        .value_kind:     hidden_global_offset_x
      - .offset:         80
        .size:           8
        .value_kind:     hidden_global_offset_y
      - .offset:         88
        .size:           8
        .value_kind:     hidden_global_offset_z
      - .offset:         96
        .size:           2
        .value_kind:     hidden_grid_dims
    .group_segment_fixed_size: 0
    .kernarg_segment_align: 8
    .kernarg_segment_size: 288
    .language:       OpenCL C
    .language_version:
      - 2
      - 0
    .max_flat_workgroup_size: 64
    .name:           _Z33warp_exclusive_scan_reduce_kernelI12hip_bfloat16Lj64ELj8EENSt9enable_ifIXsr10test_utilsE35device_test_enabled_for_warp_size_vIXT1_EEEvE4typeEPT_S5_S5_S4_
    .private_segment_fixed_size: 0
    .sgpr_count:     14
    .sgpr_spill_count: 0
    .symbol:         _Z33warp_exclusive_scan_reduce_kernelI12hip_bfloat16Lj64ELj8EENSt9enable_ifIXsr10test_utilsE35device_test_enabled_for_warp_size_vIXT1_EEEvE4typeEPT_S5_S5_S4_.kd
    .uniform_work_group_size: 1
    .uses_dynamic_stack: false
    .vgpr_count:     11
    .vgpr_spill_count: 0
    .wavefront_size: 64
  - .args:
      - .address_space:  global
        .offset:         0
        .size:           8
        .value_kind:     global_buffer
      - .address_space:  global
        .offset:         8
        .size:           8
        .value_kind:     global_buffer
      - .address_space:  global
        .offset:         16
        .size:           8
        .value_kind:     global_buffer
      - .offset:         24
        .size:           2
        .value_kind:     by_value
      - .offset:         32
        .size:           4
        .value_kind:     hidden_block_count_x
      - .offset:         36
        .size:           4
        .value_kind:     hidden_block_count_y
      - .offset:         40
        .size:           4
        .value_kind:     hidden_block_count_z
      - .offset:         44
        .size:           2
        .value_kind:     hidden_group_size_x
      - .offset:         46
        .size:           2
        .value_kind:     hidden_group_size_y
      - .offset:         48
        .size:           2
        .value_kind:     hidden_group_size_z
      - .offset:         50
        .size:           2
        .value_kind:     hidden_remainder_x
      - .offset:         52
        .size:           2
        .value_kind:     hidden_remainder_y
      - .offset:         54
        .size:           2
        .value_kind:     hidden_remainder_z
      - .offset:         72
        .size:           8
        .value_kind:     hidden_global_offset_x
      - .offset:         80
        .size:           8
        .value_kind:     hidden_global_offset_y
      - .offset:         88
        .size:           8
        .value_kind:     hidden_global_offset_z
      - .offset:         96
        .size:           2
        .value_kind:     hidden_grid_dims
    .group_segment_fixed_size: 0
    .kernarg_segment_align: 8
    .kernarg_segment_size: 288
    .language:       OpenCL C
    .language_version:
      - 2
      - 0
    .max_flat_workgroup_size: 32
    .name:           _Z33warp_exclusive_scan_reduce_kernelI12hip_bfloat16Lj32ELj4EENSt9enable_ifIXsr10test_utilsE35device_test_enabled_for_warp_size_vIXT1_EEEvE4typeEPT_S5_S5_S4_
    .private_segment_fixed_size: 0
    .sgpr_count:     14
    .sgpr_spill_count: 0
    .symbol:         _Z33warp_exclusive_scan_reduce_kernelI12hip_bfloat16Lj32ELj4EENSt9enable_ifIXsr10test_utilsE35device_test_enabled_for_warp_size_vIXT1_EEEvE4typeEPT_S5_S5_S4_.kd
    .uniform_work_group_size: 1
    .uses_dynamic_stack: false
    .vgpr_count:     10
    .vgpr_spill_count: 0
    .wavefront_size: 64
  - .args:
      - .address_space:  global
        .offset:         0
        .size:           8
        .value_kind:     global_buffer
      - .address_space:  global
        .offset:         8
        .size:           8
        .value_kind:     global_buffer
      - .address_space:  global
        .offset:         16
        .size:           8
        .value_kind:     global_buffer
      - .offset:         24
        .size:           2
        .value_kind:     by_value
      - .offset:         32
        .size:           4
        .value_kind:     hidden_block_count_x
      - .offset:         36
        .size:           4
        .value_kind:     hidden_block_count_y
      - .offset:         40
        .size:           4
        .value_kind:     hidden_block_count_z
      - .offset:         44
        .size:           2
        .value_kind:     hidden_group_size_x
      - .offset:         46
        .size:           2
        .value_kind:     hidden_group_size_y
      - .offset:         48
        .size:           2
        .value_kind:     hidden_group_size_z
      - .offset:         50
        .size:           2
        .value_kind:     hidden_remainder_x
      - .offset:         52
        .size:           2
        .value_kind:     hidden_remainder_y
      - .offset:         54
        .size:           2
        .value_kind:     hidden_remainder_z
      - .offset:         72
        .size:           8
        .value_kind:     hidden_global_offset_x
      - .offset:         80
        .size:           8
        .value_kind:     hidden_global_offset_y
      - .offset:         88
        .size:           8
        .value_kind:     hidden_global_offset_z
      - .offset:         96
        .size:           2
        .value_kind:     hidden_grid_dims
    .group_segment_fixed_size: 0
    .kernarg_segment_align: 8
    .kernarg_segment_size: 288
    .language:       OpenCL C
    .language_version:
      - 2
      - 0
    .max_flat_workgroup_size: 64
    .name:           _Z33warp_exclusive_scan_reduce_kernelI12hip_bfloat16Lj64ELj4EENSt9enable_ifIXsr10test_utilsE35device_test_enabled_for_warp_size_vIXT1_EEEvE4typeEPT_S5_S5_S4_
    .private_segment_fixed_size: 0
    .sgpr_count:     14
    .sgpr_spill_count: 0
    .symbol:         _Z33warp_exclusive_scan_reduce_kernelI12hip_bfloat16Lj64ELj4EENSt9enable_ifIXsr10test_utilsE35device_test_enabled_for_warp_size_vIXT1_EEEvE4typeEPT_S5_S5_S4_.kd
    .uniform_work_group_size: 1
    .uses_dynamic_stack: false
    .vgpr_count:     10
    .vgpr_spill_count: 0
    .wavefront_size: 64
  - .args:
      - .address_space:  global
        .offset:         0
        .size:           8
        .value_kind:     global_buffer
      - .address_space:  global
        .offset:         8
        .size:           8
        .value_kind:     global_buffer
      - .address_space:  global
        .offset:         16
        .size:           8
        .value_kind:     global_buffer
      - .offset:         24
        .size:           2
        .value_kind:     by_value
      - .offset:         32
        .size:           4
        .value_kind:     hidden_block_count_x
      - .offset:         36
        .size:           4
        .value_kind:     hidden_block_count_y
      - .offset:         40
        .size:           4
        .value_kind:     hidden_block_count_z
      - .offset:         44
        .size:           2
        .value_kind:     hidden_group_size_x
      - .offset:         46
        .size:           2
        .value_kind:     hidden_group_size_y
      - .offset:         48
        .size:           2
        .value_kind:     hidden_group_size_z
      - .offset:         50
        .size:           2
        .value_kind:     hidden_remainder_x
      - .offset:         52
        .size:           2
        .value_kind:     hidden_remainder_y
      - .offset:         54
        .size:           2
        .value_kind:     hidden_remainder_z
      - .offset:         72
        .size:           8
        .value_kind:     hidden_global_offset_x
      - .offset:         80
        .size:           8
        .value_kind:     hidden_global_offset_y
      - .offset:         88
        .size:           8
        .value_kind:     hidden_global_offset_z
      - .offset:         96
        .size:           2
        .value_kind:     hidden_grid_dims
    .group_segment_fixed_size: 0
    .kernarg_segment_align: 8
    .kernarg_segment_size: 288
    .language:       OpenCL C
    .language_version:
      - 2
      - 0
    .max_flat_workgroup_size: 32
    .name:           _Z33warp_exclusive_scan_reduce_kernelI12hip_bfloat16Lj32ELj2EENSt9enable_ifIXsr10test_utilsE35device_test_enabled_for_warp_size_vIXT1_EEEvE4typeEPT_S5_S5_S4_
    .private_segment_fixed_size: 0
    .sgpr_count:     13
    .sgpr_spill_count: 0
    .symbol:         _Z33warp_exclusive_scan_reduce_kernelI12hip_bfloat16Lj32ELj2EENSt9enable_ifIXsr10test_utilsE35device_test_enabled_for_warp_size_vIXT1_EEEvE4typeEPT_S5_S5_S4_.kd
    .uniform_work_group_size: 1
    .uses_dynamic_stack: false
    .vgpr_count:     9
    .vgpr_spill_count: 0
    .wavefront_size: 64
  - .args:
      - .address_space:  global
        .offset:         0
        .size:           8
        .value_kind:     global_buffer
      - .address_space:  global
        .offset:         8
        .size:           8
        .value_kind:     global_buffer
      - .address_space:  global
        .offset:         16
        .size:           8
        .value_kind:     global_buffer
      - .offset:         24
        .size:           2
        .value_kind:     by_value
      - .offset:         32
        .size:           4
        .value_kind:     hidden_block_count_x
      - .offset:         36
        .size:           4
        .value_kind:     hidden_block_count_y
      - .offset:         40
        .size:           4
        .value_kind:     hidden_block_count_z
      - .offset:         44
        .size:           2
        .value_kind:     hidden_group_size_x
      - .offset:         46
        .size:           2
        .value_kind:     hidden_group_size_y
      - .offset:         48
        .size:           2
        .value_kind:     hidden_group_size_z
      - .offset:         50
        .size:           2
        .value_kind:     hidden_remainder_x
      - .offset:         52
        .size:           2
        .value_kind:     hidden_remainder_y
      - .offset:         54
        .size:           2
        .value_kind:     hidden_remainder_z
      - .offset:         72
        .size:           8
        .value_kind:     hidden_global_offset_x
      - .offset:         80
        .size:           8
        .value_kind:     hidden_global_offset_y
      - .offset:         88
        .size:           8
        .value_kind:     hidden_global_offset_z
      - .offset:         96
        .size:           2
        .value_kind:     hidden_grid_dims
    .group_segment_fixed_size: 0
    .kernarg_segment_align: 8
    .kernarg_segment_size: 288
    .language:       OpenCL C
    .language_version:
      - 2
      - 0
    .max_flat_workgroup_size: 64
    .name:           _Z33warp_exclusive_scan_reduce_kernelI12hip_bfloat16Lj64ELj2EENSt9enable_ifIXsr10test_utilsE35device_test_enabled_for_warp_size_vIXT1_EEEvE4typeEPT_S5_S5_S4_
    .private_segment_fixed_size: 0
    .sgpr_count:     13
    .sgpr_spill_count: 0
    .symbol:         _Z33warp_exclusive_scan_reduce_kernelI12hip_bfloat16Lj64ELj2EENSt9enable_ifIXsr10test_utilsE35device_test_enabled_for_warp_size_vIXT1_EEEvE4typeEPT_S5_S5_S4_.kd
    .uniform_work_group_size: 1
    .uses_dynamic_stack: false
    .vgpr_count:     9
    .vgpr_spill_count: 0
    .wavefront_size: 64
  - .args:
      - .address_space:  global
        .offset:         0
        .size:           8
        .value_kind:     global_buffer
      - .address_space:  global
        .offset:         8
        .size:           8
        .value_kind:     global_buffer
      - .address_space:  global
        .offset:         16
        .size:           8
        .value_kind:     global_buffer
      - .offset:         24
        .size:           2
        .value_kind:     by_value
      - .offset:         32
        .size:           4
        .value_kind:     hidden_block_count_x
      - .offset:         36
        .size:           4
        .value_kind:     hidden_block_count_y
      - .offset:         40
        .size:           4
        .value_kind:     hidden_block_count_z
      - .offset:         44
        .size:           2
        .value_kind:     hidden_group_size_x
      - .offset:         46
        .size:           2
        .value_kind:     hidden_group_size_y
      - .offset:         48
        .size:           2
        .value_kind:     hidden_group_size_z
      - .offset:         50
        .size:           2
        .value_kind:     hidden_remainder_x
      - .offset:         52
        .size:           2
        .value_kind:     hidden_remainder_y
      - .offset:         54
        .size:           2
        .value_kind:     hidden_remainder_z
      - .offset:         72
        .size:           8
        .value_kind:     hidden_global_offset_x
      - .offset:         80
        .size:           8
        .value_kind:     hidden_global_offset_y
      - .offset:         88
        .size:           8
        .value_kind:     hidden_global_offset_z
      - .offset:         96
        .size:           2
        .value_kind:     hidden_grid_dims
    .group_segment_fixed_size: 0
    .kernarg_segment_align: 8
    .kernarg_segment_size: 288
    .language:       OpenCL C
    .language_version:
      - 2
      - 0
    .max_flat_workgroup_size: 256
    .name:           _Z33warp_exclusive_scan_reduce_kernelI6__halfLj256ELj64EENSt9enable_ifIXsr10test_utilsE35device_test_enabled_for_warp_size_vIXT1_EEEvE4typeEPT_S5_S5_S4_
    .private_segment_fixed_size: 0
    .sgpr_count:     13
    .sgpr_spill_count: 0
    .symbol:         _Z33warp_exclusive_scan_reduce_kernelI6__halfLj256ELj64EENSt9enable_ifIXsr10test_utilsE35device_test_enabled_for_warp_size_vIXT1_EEEvE4typeEPT_S5_S5_S4_.kd
    .uniform_work_group_size: 1
    .uses_dynamic_stack: false
    .vgpr_count:     13
    .vgpr_spill_count: 0
    .wavefront_size: 64
  - .args:
      - .address_space:  global
        .offset:         0
        .size:           8
        .value_kind:     global_buffer
      - .address_space:  global
        .offset:         8
        .size:           8
        .value_kind:     global_buffer
      - .address_space:  global
        .offset:         16
        .size:           8
        .value_kind:     global_buffer
      - .offset:         24
        .size:           2
        .value_kind:     by_value
      - .offset:         32
        .size:           4
        .value_kind:     hidden_block_count_x
      - .offset:         36
        .size:           4
        .value_kind:     hidden_block_count_y
      - .offset:         40
        .size:           4
        .value_kind:     hidden_block_count_z
      - .offset:         44
        .size:           2
        .value_kind:     hidden_group_size_x
      - .offset:         46
        .size:           2
        .value_kind:     hidden_group_size_y
      - .offset:         48
        .size:           2
        .value_kind:     hidden_group_size_z
      - .offset:         50
        .size:           2
        .value_kind:     hidden_remainder_x
      - .offset:         52
        .size:           2
        .value_kind:     hidden_remainder_y
      - .offset:         54
        .size:           2
        .value_kind:     hidden_remainder_z
      - .offset:         72
        .size:           8
        .value_kind:     hidden_global_offset_x
      - .offset:         80
        .size:           8
        .value_kind:     hidden_global_offset_y
      - .offset:         88
        .size:           8
        .value_kind:     hidden_global_offset_z
      - .offset:         96
        .size:           2
        .value_kind:     hidden_grid_dims
    .group_segment_fixed_size: 0
    .kernarg_segment_align: 8
    .kernarg_segment_size: 288
    .language:       OpenCL C
    .language_version:
      - 2
      - 0
    .max_flat_workgroup_size: 128
    .name:           _Z33warp_exclusive_scan_reduce_kernelI6__halfLj128ELj32EENSt9enable_ifIXsr10test_utilsE35device_test_enabled_for_warp_size_vIXT1_EEEvE4typeEPT_S5_S5_S4_
    .private_segment_fixed_size: 0
    .sgpr_count:     13
    .sgpr_spill_count: 0
    .symbol:         _Z33warp_exclusive_scan_reduce_kernelI6__halfLj128ELj32EENSt9enable_ifIXsr10test_utilsE35device_test_enabled_for_warp_size_vIXT1_EEEvE4typeEPT_S5_S5_S4_.kd
    .uniform_work_group_size: 1
    .uses_dynamic_stack: false
    .vgpr_count:     13
    .vgpr_spill_count: 0
    .wavefront_size: 64
  - .args:
      - .address_space:  global
        .offset:         0
        .size:           8
        .value_kind:     global_buffer
      - .address_space:  global
        .offset:         8
        .size:           8
        .value_kind:     global_buffer
      - .address_space:  global
        .offset:         16
        .size:           8
        .value_kind:     global_buffer
      - .offset:         24
        .size:           2
        .value_kind:     by_value
      - .offset:         32
        .size:           4
        .value_kind:     hidden_block_count_x
      - .offset:         36
        .size:           4
        .value_kind:     hidden_block_count_y
      - .offset:         40
        .size:           4
        .value_kind:     hidden_block_count_z
      - .offset:         44
        .size:           2
        .value_kind:     hidden_group_size_x
      - .offset:         46
        .size:           2
        .value_kind:     hidden_group_size_y
      - .offset:         48
        .size:           2
        .value_kind:     hidden_group_size_z
      - .offset:         50
        .size:           2
        .value_kind:     hidden_remainder_x
      - .offset:         52
        .size:           2
        .value_kind:     hidden_remainder_y
      - .offset:         54
        .size:           2
        .value_kind:     hidden_remainder_z
      - .offset:         72
        .size:           8
        .value_kind:     hidden_global_offset_x
      - .offset:         80
        .size:           8
        .value_kind:     hidden_global_offset_y
      - .offset:         88
        .size:           8
        .value_kind:     hidden_global_offset_z
      - .offset:         96
        .size:           2
        .value_kind:     hidden_grid_dims
    .group_segment_fixed_size: 0
    .kernarg_segment_align: 8
    .kernarg_segment_size: 288
    .language:       OpenCL C
    .language_version:
      - 2
      - 0
    .max_flat_workgroup_size: 64
    .name:           _Z33warp_exclusive_scan_reduce_kernelI6__halfLj64ELj16EENSt9enable_ifIXsr10test_utilsE35device_test_enabled_for_warp_size_vIXT1_EEEvE4typeEPT_S5_S5_S4_
    .private_segment_fixed_size: 0
    .sgpr_count:     13
    .sgpr_spill_count: 0
    .symbol:         _Z33warp_exclusive_scan_reduce_kernelI6__halfLj64ELj16EENSt9enable_ifIXsr10test_utilsE35device_test_enabled_for_warp_size_vIXT1_EEEvE4typeEPT_S5_S5_S4_.kd
    .uniform_work_group_size: 1
    .uses_dynamic_stack: false
    .vgpr_count:     11
    .vgpr_spill_count: 0
    .wavefront_size: 64
  - .args:
      - .address_space:  global
        .offset:         0
        .size:           8
        .value_kind:     global_buffer
      - .address_space:  global
        .offset:         8
        .size:           8
        .value_kind:     global_buffer
      - .address_space:  global
        .offset:         16
        .size:           8
        .value_kind:     global_buffer
      - .offset:         24
        .size:           2
        .value_kind:     by_value
      - .offset:         32
        .size:           4
        .value_kind:     hidden_block_count_x
      - .offset:         36
        .size:           4
        .value_kind:     hidden_block_count_y
      - .offset:         40
        .size:           4
        .value_kind:     hidden_block_count_z
      - .offset:         44
        .size:           2
        .value_kind:     hidden_group_size_x
      - .offset:         46
        .size:           2
        .value_kind:     hidden_group_size_y
      - .offset:         48
        .size:           2
        .value_kind:     hidden_group_size_z
      - .offset:         50
        .size:           2
        .value_kind:     hidden_remainder_x
      - .offset:         52
        .size:           2
        .value_kind:     hidden_remainder_y
      - .offset:         54
        .size:           2
        .value_kind:     hidden_remainder_z
      - .offset:         72
        .size:           8
        .value_kind:     hidden_global_offset_x
      - .offset:         80
        .size:           8
        .value_kind:     hidden_global_offset_y
      - .offset:         88
        .size:           8
        .value_kind:     hidden_global_offset_z
      - .offset:         96
        .size:           2
        .value_kind:     hidden_grid_dims
    .group_segment_fixed_size: 0
    .kernarg_segment_align: 8
    .kernarg_segment_size: 288
    .language:       OpenCL C
    .language_version:
      - 2
      - 0
    .max_flat_workgroup_size: 32
    .name:           _Z33warp_exclusive_scan_reduce_kernelI6__halfLj32ELj8EENSt9enable_ifIXsr10test_utilsE35device_test_enabled_for_warp_size_vIXT1_EEEvE4typeEPT_S5_S5_S4_
    .private_segment_fixed_size: 0
    .sgpr_count:     13
    .sgpr_spill_count: 0
    .symbol:         _Z33warp_exclusive_scan_reduce_kernelI6__halfLj32ELj8EENSt9enable_ifIXsr10test_utilsE35device_test_enabled_for_warp_size_vIXT1_EEEvE4typeEPT_S5_S5_S4_.kd
    .uniform_work_group_size: 1
    .uses_dynamic_stack: false
    .vgpr_count:     11
    .vgpr_spill_count: 0
    .wavefront_size: 64
  - .args:
      - .address_space:  global
        .offset:         0
        .size:           8
        .value_kind:     global_buffer
      - .address_space:  global
        .offset:         8
        .size:           8
        .value_kind:     global_buffer
      - .address_space:  global
        .offset:         16
        .size:           8
        .value_kind:     global_buffer
      - .offset:         24
        .size:           2
        .value_kind:     by_value
      - .offset:         32
        .size:           4
        .value_kind:     hidden_block_count_x
      - .offset:         36
        .size:           4
        .value_kind:     hidden_block_count_y
      - .offset:         40
        .size:           4
        .value_kind:     hidden_block_count_z
      - .offset:         44
        .size:           2
        .value_kind:     hidden_group_size_x
      - .offset:         46
        .size:           2
        .value_kind:     hidden_group_size_y
      - .offset:         48
        .size:           2
        .value_kind:     hidden_group_size_z
      - .offset:         50
        .size:           2
        .value_kind:     hidden_remainder_x
      - .offset:         52
        .size:           2
        .value_kind:     hidden_remainder_y
      - .offset:         54
        .size:           2
        .value_kind:     hidden_remainder_z
      - .offset:         72
        .size:           8
        .value_kind:     hidden_global_offset_x
      - .offset:         80
        .size:           8
        .value_kind:     hidden_global_offset_y
      - .offset:         88
        .size:           8
        .value_kind:     hidden_global_offset_z
      - .offset:         96
        .size:           2
        .value_kind:     hidden_grid_dims
    .group_segment_fixed_size: 0
    .kernarg_segment_align: 8
    .kernarg_segment_size: 288
    .language:       OpenCL C
    .language_version:
      - 2
      - 0
    .max_flat_workgroup_size: 64
    .name:           _Z33warp_exclusive_scan_reduce_kernelI6__halfLj64ELj8EENSt9enable_ifIXsr10test_utilsE35device_test_enabled_for_warp_size_vIXT1_EEEvE4typeEPT_S5_S5_S4_
    .private_segment_fixed_size: 0
    .sgpr_count:     13
    .sgpr_spill_count: 0
    .symbol:         _Z33warp_exclusive_scan_reduce_kernelI6__halfLj64ELj8EENSt9enable_ifIXsr10test_utilsE35device_test_enabled_for_warp_size_vIXT1_EEEvE4typeEPT_S5_S5_S4_.kd
    .uniform_work_group_size: 1
    .uses_dynamic_stack: false
    .vgpr_count:     11
    .vgpr_spill_count: 0
    .wavefront_size: 64
  - .args:
      - .address_space:  global
        .offset:         0
        .size:           8
        .value_kind:     global_buffer
      - .address_space:  global
        .offset:         8
        .size:           8
        .value_kind:     global_buffer
      - .address_space:  global
        .offset:         16
        .size:           8
        .value_kind:     global_buffer
      - .offset:         24
        .size:           2
        .value_kind:     by_value
      - .offset:         32
        .size:           4
        .value_kind:     hidden_block_count_x
      - .offset:         36
        .size:           4
        .value_kind:     hidden_block_count_y
      - .offset:         40
        .size:           4
        .value_kind:     hidden_block_count_z
      - .offset:         44
        .size:           2
        .value_kind:     hidden_group_size_x
      - .offset:         46
        .size:           2
        .value_kind:     hidden_group_size_y
      - .offset:         48
        .size:           2
        .value_kind:     hidden_group_size_z
      - .offset:         50
        .size:           2
        .value_kind:     hidden_remainder_x
      - .offset:         52
        .size:           2
        .value_kind:     hidden_remainder_y
      - .offset:         54
        .size:           2
        .value_kind:     hidden_remainder_z
      - .offset:         72
        .size:           8
        .value_kind:     hidden_global_offset_x
      - .offset:         80
        .size:           8
        .value_kind:     hidden_global_offset_y
      - .offset:         88
        .size:           8
        .value_kind:     hidden_global_offset_z
      - .offset:         96
        .size:           2
        .value_kind:     hidden_grid_dims
    .group_segment_fixed_size: 0
    .kernarg_segment_align: 8
    .kernarg_segment_size: 288
    .language:       OpenCL C
    .language_version:
      - 2
      - 0
    .max_flat_workgroup_size: 32
    .name:           _Z33warp_exclusive_scan_reduce_kernelI6__halfLj32ELj4EENSt9enable_ifIXsr10test_utilsE35device_test_enabled_for_warp_size_vIXT1_EEEvE4typeEPT_S5_S5_S4_
    .private_segment_fixed_size: 0
    .sgpr_count:     13
    .sgpr_spill_count: 0
    .symbol:         _Z33warp_exclusive_scan_reduce_kernelI6__halfLj32ELj4EENSt9enable_ifIXsr10test_utilsE35device_test_enabled_for_warp_size_vIXT1_EEEvE4typeEPT_S5_S5_S4_.kd
    .uniform_work_group_size: 1
    .uses_dynamic_stack: false
    .vgpr_count:     11
    .vgpr_spill_count: 0
    .wavefront_size: 64
  - .args:
      - .address_space:  global
        .offset:         0
        .size:           8
        .value_kind:     global_buffer
      - .address_space:  global
        .offset:         8
        .size:           8
        .value_kind:     global_buffer
      - .address_space:  global
        .offset:         16
        .size:           8
        .value_kind:     global_buffer
      - .offset:         24
        .size:           2
        .value_kind:     by_value
      - .offset:         32
        .size:           4
        .value_kind:     hidden_block_count_x
      - .offset:         36
        .size:           4
        .value_kind:     hidden_block_count_y
      - .offset:         40
        .size:           4
        .value_kind:     hidden_block_count_z
      - .offset:         44
        .size:           2
        .value_kind:     hidden_group_size_x
      - .offset:         46
        .size:           2
        .value_kind:     hidden_group_size_y
      - .offset:         48
        .size:           2
        .value_kind:     hidden_group_size_z
      - .offset:         50
        .size:           2
        .value_kind:     hidden_remainder_x
      - .offset:         52
        .size:           2
        .value_kind:     hidden_remainder_y
      - .offset:         54
        .size:           2
        .value_kind:     hidden_remainder_z
      - .offset:         72
        .size:           8
        .value_kind:     hidden_global_offset_x
      - .offset:         80
        .size:           8
        .value_kind:     hidden_global_offset_y
      - .offset:         88
        .size:           8
        .value_kind:     hidden_global_offset_z
      - .offset:         96
        .size:           2
        .value_kind:     hidden_grid_dims
    .group_segment_fixed_size: 0
    .kernarg_segment_align: 8
    .kernarg_segment_size: 288
    .language:       OpenCL C
    .language_version:
      - 2
      - 0
    .max_flat_workgroup_size: 64
    .name:           _Z33warp_exclusive_scan_reduce_kernelI6__halfLj64ELj4EENSt9enable_ifIXsr10test_utilsE35device_test_enabled_for_warp_size_vIXT1_EEEvE4typeEPT_S5_S5_S4_
    .private_segment_fixed_size: 0
    .sgpr_count:     13
    .sgpr_spill_count: 0
    .symbol:         _Z33warp_exclusive_scan_reduce_kernelI6__halfLj64ELj4EENSt9enable_ifIXsr10test_utilsE35device_test_enabled_for_warp_size_vIXT1_EEEvE4typeEPT_S5_S5_S4_.kd
    .uniform_work_group_size: 1
    .uses_dynamic_stack: false
    .vgpr_count:     11
    .vgpr_spill_count: 0
    .wavefront_size: 64
  - .args:
      - .address_space:  global
        .offset:         0
        .size:           8
        .value_kind:     global_buffer
      - .address_space:  global
        .offset:         8
        .size:           8
        .value_kind:     global_buffer
      - .address_space:  global
        .offset:         16
        .size:           8
        .value_kind:     global_buffer
      - .offset:         24
        .size:           2
        .value_kind:     by_value
      - .offset:         32
        .size:           4
        .value_kind:     hidden_block_count_x
      - .offset:         36
        .size:           4
        .value_kind:     hidden_block_count_y
      - .offset:         40
        .size:           4
        .value_kind:     hidden_block_count_z
      - .offset:         44
        .size:           2
        .value_kind:     hidden_group_size_x
      - .offset:         46
        .size:           2
        .value_kind:     hidden_group_size_y
      - .offset:         48
        .size:           2
        .value_kind:     hidden_group_size_z
      - .offset:         50
        .size:           2
        .value_kind:     hidden_remainder_x
      - .offset:         52
        .size:           2
        .value_kind:     hidden_remainder_y
      - .offset:         54
        .size:           2
        .value_kind:     hidden_remainder_z
      - .offset:         72
        .size:           8
        .value_kind:     hidden_global_offset_x
      - .offset:         80
        .size:           8
        .value_kind:     hidden_global_offset_y
      - .offset:         88
        .size:           8
        .value_kind:     hidden_global_offset_z
      - .offset:         96
        .size:           2
        .value_kind:     hidden_grid_dims
    .group_segment_fixed_size: 0
    .kernarg_segment_align: 8
    .kernarg_segment_size: 288
    .language:       OpenCL C
    .language_version:
      - 2
      - 0
    .max_flat_workgroup_size: 32
    .name:           _Z33warp_exclusive_scan_reduce_kernelI6__halfLj32ELj2EENSt9enable_ifIXsr10test_utilsE35device_test_enabled_for_warp_size_vIXT1_EEEvE4typeEPT_S5_S5_S4_
    .private_segment_fixed_size: 0
    .sgpr_count:     13
    .sgpr_spill_count: 0
    .symbol:         _Z33warp_exclusive_scan_reduce_kernelI6__halfLj32ELj2EENSt9enable_ifIXsr10test_utilsE35device_test_enabled_for_warp_size_vIXT1_EEEvE4typeEPT_S5_S5_S4_.kd
    .uniform_work_group_size: 1
    .uses_dynamic_stack: false
    .vgpr_count:     11
    .vgpr_spill_count: 0
    .wavefront_size: 64
  - .args:
      - .address_space:  global
        .offset:         0
        .size:           8
        .value_kind:     global_buffer
      - .address_space:  global
        .offset:         8
        .size:           8
        .value_kind:     global_buffer
      - .address_space:  global
        .offset:         16
        .size:           8
        .value_kind:     global_buffer
      - .offset:         24
        .size:           2
        .value_kind:     by_value
      - .offset:         32
        .size:           4
        .value_kind:     hidden_block_count_x
      - .offset:         36
        .size:           4
        .value_kind:     hidden_block_count_y
      - .offset:         40
        .size:           4
        .value_kind:     hidden_block_count_z
      - .offset:         44
        .size:           2
        .value_kind:     hidden_group_size_x
      - .offset:         46
        .size:           2
        .value_kind:     hidden_group_size_y
      - .offset:         48
        .size:           2
        .value_kind:     hidden_group_size_z
      - .offset:         50
        .size:           2
        .value_kind:     hidden_remainder_x
      - .offset:         52
        .size:           2
        .value_kind:     hidden_remainder_y
      - .offset:         54
        .size:           2
        .value_kind:     hidden_remainder_z
      - .offset:         72
        .size:           8
        .value_kind:     hidden_global_offset_x
      - .offset:         80
        .size:           8
        .value_kind:     hidden_global_offset_y
      - .offset:         88
        .size:           8
        .value_kind:     hidden_global_offset_z
      - .offset:         96
        .size:           2
        .value_kind:     hidden_grid_dims
    .group_segment_fixed_size: 0
    .kernarg_segment_align: 8
    .kernarg_segment_size: 288
    .language:       OpenCL C
    .language_version:
      - 2
      - 0
    .max_flat_workgroup_size: 64
    .name:           _Z33warp_exclusive_scan_reduce_kernelI6__halfLj64ELj2EENSt9enable_ifIXsr10test_utilsE35device_test_enabled_for_warp_size_vIXT1_EEEvE4typeEPT_S5_S5_S4_
    .private_segment_fixed_size: 0
    .sgpr_count:     13
    .sgpr_spill_count: 0
    .symbol:         _Z33warp_exclusive_scan_reduce_kernelI6__halfLj64ELj2EENSt9enable_ifIXsr10test_utilsE35device_test_enabled_for_warp_size_vIXT1_EEEvE4typeEPT_S5_S5_S4_.kd
    .uniform_work_group_size: 1
    .uses_dynamic_stack: false
    .vgpr_count:     11
    .vgpr_spill_count: 0
    .wavefront_size: 64
  - .args:
      - .address_space:  global
        .offset:         0
        .size:           8
        .value_kind:     global_buffer
      - .address_space:  global
        .offset:         8
        .size:           8
        .value_kind:     global_buffer
      - .address_space:  global
        .offset:         16
        .size:           8
        .value_kind:     global_buffer
      - .offset:         24
        .size:           4
        .value_kind:     by_value
      - .offset:         32
        .size:           4
        .value_kind:     hidden_block_count_x
      - .offset:         36
        .size:           4
        .value_kind:     hidden_block_count_y
      - .offset:         40
        .size:           4
        .value_kind:     hidden_block_count_z
      - .offset:         44
        .size:           2
        .value_kind:     hidden_group_size_x
      - .offset:         46
        .size:           2
        .value_kind:     hidden_group_size_y
      - .offset:         48
        .size:           2
        .value_kind:     hidden_group_size_z
      - .offset:         50
        .size:           2
        .value_kind:     hidden_remainder_x
      - .offset:         52
        .size:           2
        .value_kind:     hidden_remainder_y
      - .offset:         54
        .size:           2
        .value_kind:     hidden_remainder_z
      - .offset:         72
        .size:           8
        .value_kind:     hidden_global_offset_x
      - .offset:         80
        .size:           8
        .value_kind:     hidden_global_offset_y
      - .offset:         88
        .size:           8
        .value_kind:     hidden_global_offset_z
      - .offset:         96
        .size:           2
        .value_kind:     hidden_grid_dims
    .group_segment_fixed_size: 0
    .kernarg_segment_align: 8
    .kernarg_segment_size: 288
    .language:       OpenCL C
    .language_version:
      - 2
      - 0
    .max_flat_workgroup_size: 256
    .name:           _Z33warp_exclusive_scan_reduce_kernelIfLj256ELj64EENSt9enable_ifIXsr10test_utilsE35device_test_enabled_for_warp_size_vIXT1_EEEvE4typeEPT_S4_S4_S3_
    .private_segment_fixed_size: 0
    .sgpr_count:     13
    .sgpr_spill_count: 0
    .symbol:         _Z33warp_exclusive_scan_reduce_kernelIfLj256ELj64EENSt9enable_ifIXsr10test_utilsE35device_test_enabled_for_warp_size_vIXT1_EEEvE4typeEPT_S4_S4_S3_.kd
    .uniform_work_group_size: 1
    .uses_dynamic_stack: false
    .vgpr_count:     13
    .vgpr_spill_count: 0
    .wavefront_size: 64
  - .args:
      - .address_space:  global
        .offset:         0
        .size:           8
        .value_kind:     global_buffer
      - .address_space:  global
        .offset:         8
        .size:           8
        .value_kind:     global_buffer
      - .address_space:  global
        .offset:         16
        .size:           8
        .value_kind:     global_buffer
      - .offset:         24
        .size:           4
        .value_kind:     by_value
      - .offset:         32
        .size:           4
        .value_kind:     hidden_block_count_x
      - .offset:         36
        .size:           4
        .value_kind:     hidden_block_count_y
      - .offset:         40
        .size:           4
        .value_kind:     hidden_block_count_z
      - .offset:         44
        .size:           2
        .value_kind:     hidden_group_size_x
      - .offset:         46
        .size:           2
        .value_kind:     hidden_group_size_y
      - .offset:         48
        .size:           2
        .value_kind:     hidden_group_size_z
      - .offset:         50
        .size:           2
        .value_kind:     hidden_remainder_x
      - .offset:         52
        .size:           2
        .value_kind:     hidden_remainder_y
      - .offset:         54
        .size:           2
        .value_kind:     hidden_remainder_z
      - .offset:         72
        .size:           8
        .value_kind:     hidden_global_offset_x
      - .offset:         80
        .size:           8
        .value_kind:     hidden_global_offset_y
      - .offset:         88
        .size:           8
        .value_kind:     hidden_global_offset_z
      - .offset:         96
        .size:           2
        .value_kind:     hidden_grid_dims
    .group_segment_fixed_size: 0
    .kernarg_segment_align: 8
    .kernarg_segment_size: 288
    .language:       OpenCL C
    .language_version:
      - 2
      - 0
    .max_flat_workgroup_size: 128
    .name:           _Z33warp_exclusive_scan_reduce_kernelIfLj128ELj32EENSt9enable_ifIXsr10test_utilsE35device_test_enabled_for_warp_size_vIXT1_EEEvE4typeEPT_S4_S4_S3_
    .private_segment_fixed_size: 0
    .sgpr_count:     13
    .sgpr_spill_count: 0
    .symbol:         _Z33warp_exclusive_scan_reduce_kernelIfLj128ELj32EENSt9enable_ifIXsr10test_utilsE35device_test_enabled_for_warp_size_vIXT1_EEEvE4typeEPT_S4_S4_S3_.kd
    .uniform_work_group_size: 1
    .uses_dynamic_stack: false
    .vgpr_count:     13
    .vgpr_spill_count: 0
    .wavefront_size: 64
  - .args:
      - .address_space:  global
        .offset:         0
        .size:           8
        .value_kind:     global_buffer
      - .address_space:  global
        .offset:         8
        .size:           8
        .value_kind:     global_buffer
      - .address_space:  global
        .offset:         16
        .size:           8
        .value_kind:     global_buffer
      - .offset:         24
        .size:           4
        .value_kind:     by_value
      - .offset:         32
        .size:           4
        .value_kind:     hidden_block_count_x
      - .offset:         36
        .size:           4
        .value_kind:     hidden_block_count_y
      - .offset:         40
        .size:           4
        .value_kind:     hidden_block_count_z
      - .offset:         44
        .size:           2
        .value_kind:     hidden_group_size_x
      - .offset:         46
        .size:           2
        .value_kind:     hidden_group_size_y
      - .offset:         48
        .size:           2
        .value_kind:     hidden_group_size_z
      - .offset:         50
        .size:           2
        .value_kind:     hidden_remainder_x
      - .offset:         52
        .size:           2
        .value_kind:     hidden_remainder_y
      - .offset:         54
        .size:           2
        .value_kind:     hidden_remainder_z
      - .offset:         72
        .size:           8
        .value_kind:     hidden_global_offset_x
      - .offset:         80
        .size:           8
        .value_kind:     hidden_global_offset_y
      - .offset:         88
        .size:           8
        .value_kind:     hidden_global_offset_z
      - .offset:         96
        .size:           2
        .value_kind:     hidden_grid_dims
    .group_segment_fixed_size: 0
    .kernarg_segment_align: 8
    .kernarg_segment_size: 288
    .language:       OpenCL C
    .language_version:
      - 2
      - 0
    .max_flat_workgroup_size: 64
    .name:           _Z33warp_exclusive_scan_reduce_kernelIfLj64ELj16EENSt9enable_ifIXsr10test_utilsE35device_test_enabled_for_warp_size_vIXT1_EEEvE4typeEPT_S4_S4_S3_
    .private_segment_fixed_size: 0
    .sgpr_count:     13
    .sgpr_spill_count: 0
    .symbol:         _Z33warp_exclusive_scan_reduce_kernelIfLj64ELj16EENSt9enable_ifIXsr10test_utilsE35device_test_enabled_for_warp_size_vIXT1_EEEvE4typeEPT_S4_S4_S3_.kd
    .uniform_work_group_size: 1
    .uses_dynamic_stack: false
    .vgpr_count:     11
    .vgpr_spill_count: 0
    .wavefront_size: 64
  - .args:
      - .address_space:  global
        .offset:         0
        .size:           8
        .value_kind:     global_buffer
      - .address_space:  global
        .offset:         8
        .size:           8
        .value_kind:     global_buffer
      - .address_space:  global
        .offset:         16
        .size:           8
        .value_kind:     global_buffer
      - .offset:         24
        .size:           4
        .value_kind:     by_value
      - .offset:         32
        .size:           4
        .value_kind:     hidden_block_count_x
      - .offset:         36
        .size:           4
        .value_kind:     hidden_block_count_y
      - .offset:         40
        .size:           4
        .value_kind:     hidden_block_count_z
      - .offset:         44
        .size:           2
        .value_kind:     hidden_group_size_x
      - .offset:         46
        .size:           2
        .value_kind:     hidden_group_size_y
      - .offset:         48
        .size:           2
        .value_kind:     hidden_group_size_z
      - .offset:         50
        .size:           2
        .value_kind:     hidden_remainder_x
      - .offset:         52
        .size:           2
        .value_kind:     hidden_remainder_y
      - .offset:         54
        .size:           2
        .value_kind:     hidden_remainder_z
      - .offset:         72
        .size:           8
        .value_kind:     hidden_global_offset_x
      - .offset:         80
        .size:           8
        .value_kind:     hidden_global_offset_y
      - .offset:         88
        .size:           8
        .value_kind:     hidden_global_offset_z
      - .offset:         96
        .size:           2
        .value_kind:     hidden_grid_dims
    .group_segment_fixed_size: 0
    .kernarg_segment_align: 8
    .kernarg_segment_size: 288
    .language:       OpenCL C
    .language_version:
      - 2
      - 0
    .max_flat_workgroup_size: 32
    .name:           _Z33warp_exclusive_scan_reduce_kernelIfLj32ELj8EENSt9enable_ifIXsr10test_utilsE35device_test_enabled_for_warp_size_vIXT1_EEEvE4typeEPT_S4_S4_S3_
    .private_segment_fixed_size: 0
    .sgpr_count:     13
    .sgpr_spill_count: 0
    .symbol:         _Z33warp_exclusive_scan_reduce_kernelIfLj32ELj8EENSt9enable_ifIXsr10test_utilsE35device_test_enabled_for_warp_size_vIXT1_EEEvE4typeEPT_S4_S4_S3_.kd
    .uniform_work_group_size: 1
    .uses_dynamic_stack: false
    .vgpr_count:     11
    .vgpr_spill_count: 0
    .wavefront_size: 64
  - .args:
      - .address_space:  global
        .offset:         0
        .size:           8
        .value_kind:     global_buffer
      - .address_space:  global
        .offset:         8
        .size:           8
        .value_kind:     global_buffer
      - .address_space:  global
        .offset:         16
        .size:           8
        .value_kind:     global_buffer
      - .offset:         24
        .size:           4
        .value_kind:     by_value
      - .offset:         32
        .size:           4
        .value_kind:     hidden_block_count_x
      - .offset:         36
        .size:           4
        .value_kind:     hidden_block_count_y
      - .offset:         40
        .size:           4
        .value_kind:     hidden_block_count_z
      - .offset:         44
        .size:           2
        .value_kind:     hidden_group_size_x
      - .offset:         46
        .size:           2
        .value_kind:     hidden_group_size_y
      - .offset:         48
        .size:           2
        .value_kind:     hidden_group_size_z
      - .offset:         50
        .size:           2
        .value_kind:     hidden_remainder_x
      - .offset:         52
        .size:           2
        .value_kind:     hidden_remainder_y
      - .offset:         54
        .size:           2
        .value_kind:     hidden_remainder_z
      - .offset:         72
        .size:           8
        .value_kind:     hidden_global_offset_x
      - .offset:         80
        .size:           8
        .value_kind:     hidden_global_offset_y
      - .offset:         88
        .size:           8
        .value_kind:     hidden_global_offset_z
      - .offset:         96
        .size:           2
        .value_kind:     hidden_grid_dims
    .group_segment_fixed_size: 0
    .kernarg_segment_align: 8
    .kernarg_segment_size: 288
    .language:       OpenCL C
    .language_version:
      - 2
      - 0
    .max_flat_workgroup_size: 64
    .name:           _Z33warp_exclusive_scan_reduce_kernelIfLj64ELj8EENSt9enable_ifIXsr10test_utilsE35device_test_enabled_for_warp_size_vIXT1_EEEvE4typeEPT_S4_S4_S3_
    .private_segment_fixed_size: 0
    .sgpr_count:     13
    .sgpr_spill_count: 0
    .symbol:         _Z33warp_exclusive_scan_reduce_kernelIfLj64ELj8EENSt9enable_ifIXsr10test_utilsE35device_test_enabled_for_warp_size_vIXT1_EEEvE4typeEPT_S4_S4_S3_.kd
    .uniform_work_group_size: 1
    .uses_dynamic_stack: false
    .vgpr_count:     11
    .vgpr_spill_count: 0
    .wavefront_size: 64
  - .args:
      - .address_space:  global
        .offset:         0
        .size:           8
        .value_kind:     global_buffer
      - .address_space:  global
        .offset:         8
        .size:           8
        .value_kind:     global_buffer
      - .address_space:  global
        .offset:         16
        .size:           8
        .value_kind:     global_buffer
      - .offset:         24
        .size:           4
        .value_kind:     by_value
      - .offset:         32
        .size:           4
        .value_kind:     hidden_block_count_x
      - .offset:         36
        .size:           4
        .value_kind:     hidden_block_count_y
      - .offset:         40
        .size:           4
        .value_kind:     hidden_block_count_z
      - .offset:         44
        .size:           2
        .value_kind:     hidden_group_size_x
      - .offset:         46
        .size:           2
        .value_kind:     hidden_group_size_y
      - .offset:         48
        .size:           2
        .value_kind:     hidden_group_size_z
      - .offset:         50
        .size:           2
        .value_kind:     hidden_remainder_x
      - .offset:         52
        .size:           2
        .value_kind:     hidden_remainder_y
      - .offset:         54
        .size:           2
        .value_kind:     hidden_remainder_z
      - .offset:         72
        .size:           8
        .value_kind:     hidden_global_offset_x
      - .offset:         80
        .size:           8
        .value_kind:     hidden_global_offset_y
      - .offset:         88
        .size:           8
        .value_kind:     hidden_global_offset_z
      - .offset:         96
        .size:           2
        .value_kind:     hidden_grid_dims
    .group_segment_fixed_size: 0
    .kernarg_segment_align: 8
    .kernarg_segment_size: 288
    .language:       OpenCL C
    .language_version:
      - 2
      - 0
    .max_flat_workgroup_size: 32
    .name:           _Z33warp_exclusive_scan_reduce_kernelIfLj32ELj4EENSt9enable_ifIXsr10test_utilsE35device_test_enabled_for_warp_size_vIXT1_EEEvE4typeEPT_S4_S4_S3_
    .private_segment_fixed_size: 0
    .sgpr_count:     13
    .sgpr_spill_count: 0
    .symbol:         _Z33warp_exclusive_scan_reduce_kernelIfLj32ELj4EENSt9enable_ifIXsr10test_utilsE35device_test_enabled_for_warp_size_vIXT1_EEEvE4typeEPT_S4_S4_S3_.kd
    .uniform_work_group_size: 1
    .uses_dynamic_stack: false
    .vgpr_count:     11
    .vgpr_spill_count: 0
    .wavefront_size: 64
  - .args:
      - .address_space:  global
        .offset:         0
        .size:           8
        .value_kind:     global_buffer
      - .address_space:  global
        .offset:         8
        .size:           8
        .value_kind:     global_buffer
      - .address_space:  global
        .offset:         16
        .size:           8
        .value_kind:     global_buffer
      - .offset:         24
        .size:           4
        .value_kind:     by_value
      - .offset:         32
        .size:           4
        .value_kind:     hidden_block_count_x
      - .offset:         36
        .size:           4
        .value_kind:     hidden_block_count_y
      - .offset:         40
        .size:           4
        .value_kind:     hidden_block_count_z
      - .offset:         44
        .size:           2
        .value_kind:     hidden_group_size_x
      - .offset:         46
        .size:           2
        .value_kind:     hidden_group_size_y
      - .offset:         48
        .size:           2
        .value_kind:     hidden_group_size_z
      - .offset:         50
        .size:           2
        .value_kind:     hidden_remainder_x
      - .offset:         52
        .size:           2
        .value_kind:     hidden_remainder_y
      - .offset:         54
        .size:           2
        .value_kind:     hidden_remainder_z
      - .offset:         72
        .size:           8
        .value_kind:     hidden_global_offset_x
      - .offset:         80
        .size:           8
        .value_kind:     hidden_global_offset_y
      - .offset:         88
        .size:           8
        .value_kind:     hidden_global_offset_z
      - .offset:         96
        .size:           2
        .value_kind:     hidden_grid_dims
    .group_segment_fixed_size: 0
    .kernarg_segment_align: 8
    .kernarg_segment_size: 288
    .language:       OpenCL C
    .language_version:
      - 2
      - 0
    .max_flat_workgroup_size: 64
    .name:           _Z33warp_exclusive_scan_reduce_kernelIfLj64ELj4EENSt9enable_ifIXsr10test_utilsE35device_test_enabled_for_warp_size_vIXT1_EEEvE4typeEPT_S4_S4_S3_
    .private_segment_fixed_size: 0
    .sgpr_count:     13
    .sgpr_spill_count: 0
    .symbol:         _Z33warp_exclusive_scan_reduce_kernelIfLj64ELj4EENSt9enable_ifIXsr10test_utilsE35device_test_enabled_for_warp_size_vIXT1_EEEvE4typeEPT_S4_S4_S3_.kd
    .uniform_work_group_size: 1
    .uses_dynamic_stack: false
    .vgpr_count:     11
    .vgpr_spill_count: 0
    .wavefront_size: 64
  - .args:
      - .address_space:  global
        .offset:         0
        .size:           8
        .value_kind:     global_buffer
      - .address_space:  global
        .offset:         8
        .size:           8
        .value_kind:     global_buffer
      - .address_space:  global
        .offset:         16
        .size:           8
        .value_kind:     global_buffer
      - .offset:         24
        .size:           4
        .value_kind:     by_value
      - .offset:         32
        .size:           4
        .value_kind:     hidden_block_count_x
      - .offset:         36
        .size:           4
        .value_kind:     hidden_block_count_y
      - .offset:         40
        .size:           4
        .value_kind:     hidden_block_count_z
      - .offset:         44
        .size:           2
        .value_kind:     hidden_group_size_x
      - .offset:         46
        .size:           2
        .value_kind:     hidden_group_size_y
      - .offset:         48
        .size:           2
        .value_kind:     hidden_group_size_z
      - .offset:         50
        .size:           2
        .value_kind:     hidden_remainder_x
      - .offset:         52
        .size:           2
        .value_kind:     hidden_remainder_y
      - .offset:         54
        .size:           2
        .value_kind:     hidden_remainder_z
      - .offset:         72
        .size:           8
        .value_kind:     hidden_global_offset_x
      - .offset:         80
        .size:           8
        .value_kind:     hidden_global_offset_y
      - .offset:         88
        .size:           8
        .value_kind:     hidden_global_offset_z
      - .offset:         96
        .size:           2
        .value_kind:     hidden_grid_dims
    .group_segment_fixed_size: 0
    .kernarg_segment_align: 8
    .kernarg_segment_size: 288
    .language:       OpenCL C
    .language_version:
      - 2
      - 0
    .max_flat_workgroup_size: 32
    .name:           _Z33warp_exclusive_scan_reduce_kernelIfLj32ELj2EENSt9enable_ifIXsr10test_utilsE35device_test_enabled_for_warp_size_vIXT1_EEEvE4typeEPT_S4_S4_S3_
    .private_segment_fixed_size: 0
    .sgpr_count:     13
    .sgpr_spill_count: 0
    .symbol:         _Z33warp_exclusive_scan_reduce_kernelIfLj32ELj2EENSt9enable_ifIXsr10test_utilsE35device_test_enabled_for_warp_size_vIXT1_EEEvE4typeEPT_S4_S4_S3_.kd
    .uniform_work_group_size: 1
    .uses_dynamic_stack: false
    .vgpr_count:     12
    .vgpr_spill_count: 0
    .wavefront_size: 64
  - .args:
      - .address_space:  global
        .offset:         0
        .size:           8
        .value_kind:     global_buffer
      - .address_space:  global
        .offset:         8
        .size:           8
        .value_kind:     global_buffer
      - .address_space:  global
        .offset:         16
        .size:           8
        .value_kind:     global_buffer
      - .offset:         24
        .size:           4
        .value_kind:     by_value
      - .offset:         32
        .size:           4
        .value_kind:     hidden_block_count_x
      - .offset:         36
        .size:           4
        .value_kind:     hidden_block_count_y
      - .offset:         40
        .size:           4
        .value_kind:     hidden_block_count_z
      - .offset:         44
        .size:           2
        .value_kind:     hidden_group_size_x
      - .offset:         46
        .size:           2
        .value_kind:     hidden_group_size_y
      - .offset:         48
        .size:           2
        .value_kind:     hidden_group_size_z
      - .offset:         50
        .size:           2
        .value_kind:     hidden_remainder_x
      - .offset:         52
        .size:           2
        .value_kind:     hidden_remainder_y
      - .offset:         54
        .size:           2
        .value_kind:     hidden_remainder_z
      - .offset:         72
        .size:           8
        .value_kind:     hidden_global_offset_x
      - .offset:         80
        .size:           8
        .value_kind:     hidden_global_offset_y
      - .offset:         88
        .size:           8
        .value_kind:     hidden_global_offset_z
      - .offset:         96
        .size:           2
        .value_kind:     hidden_grid_dims
    .group_segment_fixed_size: 0
    .kernarg_segment_align: 8
    .kernarg_segment_size: 288
    .language:       OpenCL C
    .language_version:
      - 2
      - 0
    .max_flat_workgroup_size: 64
    .name:           _Z33warp_exclusive_scan_reduce_kernelIfLj64ELj2EENSt9enable_ifIXsr10test_utilsE35device_test_enabled_for_warp_size_vIXT1_EEEvE4typeEPT_S4_S4_S3_
    .private_segment_fixed_size: 0
    .sgpr_count:     13
    .sgpr_spill_count: 0
    .symbol:         _Z33warp_exclusive_scan_reduce_kernelIfLj64ELj2EENSt9enable_ifIXsr10test_utilsE35device_test_enabled_for_warp_size_vIXT1_EEEvE4typeEPT_S4_S4_S3_.kd
    .uniform_work_group_size: 1
    .uses_dynamic_stack: false
    .vgpr_count:     12
    .vgpr_spill_count: 0
    .wavefront_size: 64
  - .args:
      - .address_space:  global
        .offset:         0
        .size:           8
        .value_kind:     global_buffer
      - .address_space:  global
        .offset:         8
        .size:           8
        .value_kind:     global_buffer
      - .address_space:  global
        .offset:         16
        .size:           8
        .value_kind:     global_buffer
      - .offset:         24
        .size:           4
        .value_kind:     by_value
      - .offset:         32
        .size:           4
        .value_kind:     hidden_block_count_x
      - .offset:         36
        .size:           4
        .value_kind:     hidden_block_count_y
      - .offset:         40
        .size:           4
        .value_kind:     hidden_block_count_z
      - .offset:         44
        .size:           2
        .value_kind:     hidden_group_size_x
      - .offset:         46
        .size:           2
        .value_kind:     hidden_group_size_y
      - .offset:         48
        .size:           2
        .value_kind:     hidden_group_size_z
      - .offset:         50
        .size:           2
        .value_kind:     hidden_remainder_x
      - .offset:         52
        .size:           2
        .value_kind:     hidden_remainder_y
      - .offset:         54
        .size:           2
        .value_kind:     hidden_remainder_z
      - .offset:         72
        .size:           8
        .value_kind:     hidden_global_offset_x
      - .offset:         80
        .size:           8
        .value_kind:     hidden_global_offset_y
      - .offset:         88
        .size:           8
        .value_kind:     hidden_global_offset_z
      - .offset:         96
        .size:           2
        .value_kind:     hidden_grid_dims
    .group_segment_fixed_size: 0
    .kernarg_segment_align: 8
    .kernarg_segment_size: 288
    .language:       OpenCL C
    .language_version:
      - 2
      - 0
    .max_flat_workgroup_size: 256
    .name:           _Z33warp_exclusive_scan_reduce_kernelIiLj256ELj64EENSt9enable_ifIXsr10test_utilsE35device_test_enabled_for_warp_size_vIXT1_EEEvE4typeEPT_S4_S4_S3_
    .private_segment_fixed_size: 0
    .sgpr_count:     13
    .sgpr_spill_count: 0
    .symbol:         _Z33warp_exclusive_scan_reduce_kernelIiLj256ELj64EENSt9enable_ifIXsr10test_utilsE35device_test_enabled_for_warp_size_vIXT1_EEEvE4typeEPT_S4_S4_S3_.kd
    .uniform_work_group_size: 1
    .uses_dynamic_stack: false
    .vgpr_count:     13
    .vgpr_spill_count: 0
    .wavefront_size: 64
  - .args:
      - .address_space:  global
        .offset:         0
        .size:           8
        .value_kind:     global_buffer
      - .address_space:  global
        .offset:         8
        .size:           8
        .value_kind:     global_buffer
      - .address_space:  global
        .offset:         16
        .size:           8
        .value_kind:     global_buffer
      - .offset:         24
        .size:           4
        .value_kind:     by_value
      - .offset:         32
        .size:           4
        .value_kind:     hidden_block_count_x
      - .offset:         36
        .size:           4
        .value_kind:     hidden_block_count_y
      - .offset:         40
        .size:           4
        .value_kind:     hidden_block_count_z
      - .offset:         44
        .size:           2
        .value_kind:     hidden_group_size_x
      - .offset:         46
        .size:           2
        .value_kind:     hidden_group_size_y
      - .offset:         48
        .size:           2
        .value_kind:     hidden_group_size_z
      - .offset:         50
        .size:           2
        .value_kind:     hidden_remainder_x
      - .offset:         52
        .size:           2
        .value_kind:     hidden_remainder_y
      - .offset:         54
        .size:           2
        .value_kind:     hidden_remainder_z
      - .offset:         72
        .size:           8
        .value_kind:     hidden_global_offset_x
      - .offset:         80
        .size:           8
        .value_kind:     hidden_global_offset_y
      - .offset:         88
        .size:           8
        .value_kind:     hidden_global_offset_z
      - .offset:         96
        .size:           2
        .value_kind:     hidden_grid_dims
    .group_segment_fixed_size: 0
    .kernarg_segment_align: 8
    .kernarg_segment_size: 288
    .language:       OpenCL C
    .language_version:
      - 2
      - 0
    .max_flat_workgroup_size: 128
    .name:           _Z33warp_exclusive_scan_reduce_kernelIiLj128ELj32EENSt9enable_ifIXsr10test_utilsE35device_test_enabled_for_warp_size_vIXT1_EEEvE4typeEPT_S4_S4_S3_
    .private_segment_fixed_size: 0
    .sgpr_count:     13
    .sgpr_spill_count: 0
    .symbol:         _Z33warp_exclusive_scan_reduce_kernelIiLj128ELj32EENSt9enable_ifIXsr10test_utilsE35device_test_enabled_for_warp_size_vIXT1_EEEvE4typeEPT_S4_S4_S3_.kd
    .uniform_work_group_size: 1
    .uses_dynamic_stack: false
    .vgpr_count:     13
    .vgpr_spill_count: 0
    .wavefront_size: 64
  - .args:
      - .address_space:  global
        .offset:         0
        .size:           8
        .value_kind:     global_buffer
      - .address_space:  global
        .offset:         8
        .size:           8
        .value_kind:     global_buffer
      - .address_space:  global
        .offset:         16
        .size:           8
        .value_kind:     global_buffer
      - .offset:         24
        .size:           4
        .value_kind:     by_value
      - .offset:         32
        .size:           4
        .value_kind:     hidden_block_count_x
      - .offset:         36
        .size:           4
        .value_kind:     hidden_block_count_y
      - .offset:         40
        .size:           4
        .value_kind:     hidden_block_count_z
      - .offset:         44
        .size:           2
        .value_kind:     hidden_group_size_x
      - .offset:         46
        .size:           2
        .value_kind:     hidden_group_size_y
      - .offset:         48
        .size:           2
        .value_kind:     hidden_group_size_z
      - .offset:         50
        .size:           2
        .value_kind:     hidden_remainder_x
      - .offset:         52
        .size:           2
        .value_kind:     hidden_remainder_y
      - .offset:         54
        .size:           2
        .value_kind:     hidden_remainder_z
      - .offset:         72
        .size:           8
        .value_kind:     hidden_global_offset_x
      - .offset:         80
        .size:           8
        .value_kind:     hidden_global_offset_y
      - .offset:         88
        .size:           8
        .value_kind:     hidden_global_offset_z
      - .offset:         96
        .size:           2
        .value_kind:     hidden_grid_dims
    .group_segment_fixed_size: 0
    .kernarg_segment_align: 8
    .kernarg_segment_size: 288
    .language:       OpenCL C
    .language_version:
      - 2
      - 0
    .max_flat_workgroup_size: 64
    .name:           _Z33warp_exclusive_scan_reduce_kernelIiLj64ELj16EENSt9enable_ifIXsr10test_utilsE35device_test_enabled_for_warp_size_vIXT1_EEEvE4typeEPT_S4_S4_S3_
    .private_segment_fixed_size: 0
    .sgpr_count:     13
    .sgpr_spill_count: 0
    .symbol:         _Z33warp_exclusive_scan_reduce_kernelIiLj64ELj16EENSt9enable_ifIXsr10test_utilsE35device_test_enabled_for_warp_size_vIXT1_EEEvE4typeEPT_S4_S4_S3_.kd
    .uniform_work_group_size: 1
    .uses_dynamic_stack: false
    .vgpr_count:     11
    .vgpr_spill_count: 0
    .wavefront_size: 64
  - .args:
      - .address_space:  global
        .offset:         0
        .size:           8
        .value_kind:     global_buffer
      - .address_space:  global
        .offset:         8
        .size:           8
        .value_kind:     global_buffer
      - .address_space:  global
        .offset:         16
        .size:           8
        .value_kind:     global_buffer
      - .offset:         24
        .size:           4
        .value_kind:     by_value
      - .offset:         32
        .size:           4
        .value_kind:     hidden_block_count_x
      - .offset:         36
        .size:           4
        .value_kind:     hidden_block_count_y
      - .offset:         40
        .size:           4
        .value_kind:     hidden_block_count_z
      - .offset:         44
        .size:           2
        .value_kind:     hidden_group_size_x
      - .offset:         46
        .size:           2
        .value_kind:     hidden_group_size_y
      - .offset:         48
        .size:           2
        .value_kind:     hidden_group_size_z
      - .offset:         50
        .size:           2
        .value_kind:     hidden_remainder_x
      - .offset:         52
        .size:           2
        .value_kind:     hidden_remainder_y
      - .offset:         54
        .size:           2
        .value_kind:     hidden_remainder_z
      - .offset:         72
        .size:           8
        .value_kind:     hidden_global_offset_x
      - .offset:         80
        .size:           8
        .value_kind:     hidden_global_offset_y
      - .offset:         88
        .size:           8
        .value_kind:     hidden_global_offset_z
      - .offset:         96
        .size:           2
        .value_kind:     hidden_grid_dims
    .group_segment_fixed_size: 0
    .kernarg_segment_align: 8
    .kernarg_segment_size: 288
    .language:       OpenCL C
    .language_version:
      - 2
      - 0
    .max_flat_workgroup_size: 32
    .name:           _Z33warp_exclusive_scan_reduce_kernelIiLj32ELj8EENSt9enable_ifIXsr10test_utilsE35device_test_enabled_for_warp_size_vIXT1_EEEvE4typeEPT_S4_S4_S3_
    .private_segment_fixed_size: 0
    .sgpr_count:     13
    .sgpr_spill_count: 0
    .symbol:         _Z33warp_exclusive_scan_reduce_kernelIiLj32ELj8EENSt9enable_ifIXsr10test_utilsE35device_test_enabled_for_warp_size_vIXT1_EEEvE4typeEPT_S4_S4_S3_.kd
    .uniform_work_group_size: 1
    .uses_dynamic_stack: false
    .vgpr_count:     11
    .vgpr_spill_count: 0
    .wavefront_size: 64
  - .args:
      - .address_space:  global
        .offset:         0
        .size:           8
        .value_kind:     global_buffer
      - .address_space:  global
        .offset:         8
        .size:           8
        .value_kind:     global_buffer
      - .address_space:  global
        .offset:         16
        .size:           8
        .value_kind:     global_buffer
      - .offset:         24
        .size:           4
        .value_kind:     by_value
      - .offset:         32
        .size:           4
        .value_kind:     hidden_block_count_x
      - .offset:         36
        .size:           4
        .value_kind:     hidden_block_count_y
      - .offset:         40
        .size:           4
        .value_kind:     hidden_block_count_z
      - .offset:         44
        .size:           2
        .value_kind:     hidden_group_size_x
      - .offset:         46
        .size:           2
        .value_kind:     hidden_group_size_y
      - .offset:         48
        .size:           2
        .value_kind:     hidden_group_size_z
      - .offset:         50
        .size:           2
        .value_kind:     hidden_remainder_x
      - .offset:         52
        .size:           2
        .value_kind:     hidden_remainder_y
      - .offset:         54
        .size:           2
        .value_kind:     hidden_remainder_z
      - .offset:         72
        .size:           8
        .value_kind:     hidden_global_offset_x
      - .offset:         80
        .size:           8
        .value_kind:     hidden_global_offset_y
      - .offset:         88
        .size:           8
        .value_kind:     hidden_global_offset_z
      - .offset:         96
        .size:           2
        .value_kind:     hidden_grid_dims
    .group_segment_fixed_size: 0
    .kernarg_segment_align: 8
    .kernarg_segment_size: 288
    .language:       OpenCL C
    .language_version:
      - 2
      - 0
    .max_flat_workgroup_size: 64
    .name:           _Z33warp_exclusive_scan_reduce_kernelIiLj64ELj8EENSt9enable_ifIXsr10test_utilsE35device_test_enabled_for_warp_size_vIXT1_EEEvE4typeEPT_S4_S4_S3_
    .private_segment_fixed_size: 0
    .sgpr_count:     13
    .sgpr_spill_count: 0
    .symbol:         _Z33warp_exclusive_scan_reduce_kernelIiLj64ELj8EENSt9enable_ifIXsr10test_utilsE35device_test_enabled_for_warp_size_vIXT1_EEEvE4typeEPT_S4_S4_S3_.kd
    .uniform_work_group_size: 1
    .uses_dynamic_stack: false
    .vgpr_count:     11
    .vgpr_spill_count: 0
    .wavefront_size: 64
  - .args:
      - .address_space:  global
        .offset:         0
        .size:           8
        .value_kind:     global_buffer
      - .address_space:  global
        .offset:         8
        .size:           8
        .value_kind:     global_buffer
      - .address_space:  global
        .offset:         16
        .size:           8
        .value_kind:     global_buffer
      - .offset:         24
        .size:           4
        .value_kind:     by_value
      - .offset:         32
        .size:           4
        .value_kind:     hidden_block_count_x
      - .offset:         36
        .size:           4
        .value_kind:     hidden_block_count_y
      - .offset:         40
        .size:           4
        .value_kind:     hidden_block_count_z
      - .offset:         44
        .size:           2
        .value_kind:     hidden_group_size_x
      - .offset:         46
        .size:           2
        .value_kind:     hidden_group_size_y
      - .offset:         48
        .size:           2
        .value_kind:     hidden_group_size_z
      - .offset:         50
        .size:           2
        .value_kind:     hidden_remainder_x
      - .offset:         52
        .size:           2
        .value_kind:     hidden_remainder_y
      - .offset:         54
        .size:           2
        .value_kind:     hidden_remainder_z
      - .offset:         72
        .size:           8
        .value_kind:     hidden_global_offset_x
      - .offset:         80
        .size:           8
        .value_kind:     hidden_global_offset_y
      - .offset:         88
        .size:           8
        .value_kind:     hidden_global_offset_z
      - .offset:         96
        .size:           2
        .value_kind:     hidden_grid_dims
    .group_segment_fixed_size: 0
    .kernarg_segment_align: 8
    .kernarg_segment_size: 288
    .language:       OpenCL C
    .language_version:
      - 2
      - 0
    .max_flat_workgroup_size: 32
    .name:           _Z33warp_exclusive_scan_reduce_kernelIiLj32ELj4EENSt9enable_ifIXsr10test_utilsE35device_test_enabled_for_warp_size_vIXT1_EEEvE4typeEPT_S4_S4_S3_
    .private_segment_fixed_size: 0
    .sgpr_count:     13
    .sgpr_spill_count: 0
    .symbol:         _Z33warp_exclusive_scan_reduce_kernelIiLj32ELj4EENSt9enable_ifIXsr10test_utilsE35device_test_enabled_for_warp_size_vIXT1_EEEvE4typeEPT_S4_S4_S3_.kd
    .uniform_work_group_size: 1
    .uses_dynamic_stack: false
    .vgpr_count:     11
    .vgpr_spill_count: 0
    .wavefront_size: 64
  - .args:
      - .address_space:  global
        .offset:         0
        .size:           8
        .value_kind:     global_buffer
      - .address_space:  global
        .offset:         8
        .size:           8
        .value_kind:     global_buffer
      - .address_space:  global
        .offset:         16
        .size:           8
        .value_kind:     global_buffer
      - .offset:         24
        .size:           4
        .value_kind:     by_value
      - .offset:         32
        .size:           4
        .value_kind:     hidden_block_count_x
      - .offset:         36
        .size:           4
        .value_kind:     hidden_block_count_y
      - .offset:         40
        .size:           4
        .value_kind:     hidden_block_count_z
      - .offset:         44
        .size:           2
        .value_kind:     hidden_group_size_x
      - .offset:         46
        .size:           2
        .value_kind:     hidden_group_size_y
      - .offset:         48
        .size:           2
        .value_kind:     hidden_group_size_z
      - .offset:         50
        .size:           2
        .value_kind:     hidden_remainder_x
      - .offset:         52
        .size:           2
        .value_kind:     hidden_remainder_y
      - .offset:         54
        .size:           2
        .value_kind:     hidden_remainder_z
      - .offset:         72
        .size:           8
        .value_kind:     hidden_global_offset_x
      - .offset:         80
        .size:           8
        .value_kind:     hidden_global_offset_y
      - .offset:         88
        .size:           8
        .value_kind:     hidden_global_offset_z
      - .offset:         96
        .size:           2
        .value_kind:     hidden_grid_dims
    .group_segment_fixed_size: 0
    .kernarg_segment_align: 8
    .kernarg_segment_size: 288
    .language:       OpenCL C
    .language_version:
      - 2
      - 0
    .max_flat_workgroup_size: 64
    .name:           _Z33warp_exclusive_scan_reduce_kernelIiLj64ELj4EENSt9enable_ifIXsr10test_utilsE35device_test_enabled_for_warp_size_vIXT1_EEEvE4typeEPT_S4_S4_S3_
    .private_segment_fixed_size: 0
    .sgpr_count:     13
    .sgpr_spill_count: 0
    .symbol:         _Z33warp_exclusive_scan_reduce_kernelIiLj64ELj4EENSt9enable_ifIXsr10test_utilsE35device_test_enabled_for_warp_size_vIXT1_EEEvE4typeEPT_S4_S4_S3_.kd
    .uniform_work_group_size: 1
    .uses_dynamic_stack: false
    .vgpr_count:     11
    .vgpr_spill_count: 0
    .wavefront_size: 64
  - .args:
      - .address_space:  global
        .offset:         0
        .size:           8
        .value_kind:     global_buffer
      - .address_space:  global
        .offset:         8
        .size:           8
        .value_kind:     global_buffer
      - .address_space:  global
        .offset:         16
        .size:           8
        .value_kind:     global_buffer
      - .offset:         24
        .size:           4
        .value_kind:     by_value
      - .offset:         32
        .size:           4
        .value_kind:     hidden_block_count_x
      - .offset:         36
        .size:           4
        .value_kind:     hidden_block_count_y
      - .offset:         40
        .size:           4
        .value_kind:     hidden_block_count_z
      - .offset:         44
        .size:           2
        .value_kind:     hidden_group_size_x
      - .offset:         46
        .size:           2
        .value_kind:     hidden_group_size_y
      - .offset:         48
        .size:           2
        .value_kind:     hidden_group_size_z
      - .offset:         50
        .size:           2
        .value_kind:     hidden_remainder_x
      - .offset:         52
        .size:           2
        .value_kind:     hidden_remainder_y
      - .offset:         54
        .size:           2
        .value_kind:     hidden_remainder_z
      - .offset:         72
        .size:           8
        .value_kind:     hidden_global_offset_x
      - .offset:         80
        .size:           8
        .value_kind:     hidden_global_offset_y
      - .offset:         88
        .size:           8
        .value_kind:     hidden_global_offset_z
      - .offset:         96
        .size:           2
        .value_kind:     hidden_grid_dims
    .group_segment_fixed_size: 0
    .kernarg_segment_align: 8
    .kernarg_segment_size: 288
    .language:       OpenCL C
    .language_version:
      - 2
      - 0
    .max_flat_workgroup_size: 32
    .name:           _Z33warp_exclusive_scan_reduce_kernelIiLj32ELj2EENSt9enable_ifIXsr10test_utilsE35device_test_enabled_for_warp_size_vIXT1_EEEvE4typeEPT_S4_S4_S3_
    .private_segment_fixed_size: 0
    .sgpr_count:     13
    .sgpr_spill_count: 0
    .symbol:         _Z33warp_exclusive_scan_reduce_kernelIiLj32ELj2EENSt9enable_ifIXsr10test_utilsE35device_test_enabled_for_warp_size_vIXT1_EEEvE4typeEPT_S4_S4_S3_.kd
    .uniform_work_group_size: 1
    .uses_dynamic_stack: false
    .vgpr_count:     13
    .vgpr_spill_count: 0
    .wavefront_size: 64
  - .args:
      - .address_space:  global
        .offset:         0
        .size:           8
        .value_kind:     global_buffer
      - .address_space:  global
        .offset:         8
        .size:           8
        .value_kind:     global_buffer
      - .address_space:  global
        .offset:         16
        .size:           8
        .value_kind:     global_buffer
      - .offset:         24
        .size:           4
        .value_kind:     by_value
      - .offset:         32
        .size:           4
        .value_kind:     hidden_block_count_x
      - .offset:         36
        .size:           4
        .value_kind:     hidden_block_count_y
      - .offset:         40
        .size:           4
        .value_kind:     hidden_block_count_z
      - .offset:         44
        .size:           2
        .value_kind:     hidden_group_size_x
      - .offset:         46
        .size:           2
        .value_kind:     hidden_group_size_y
      - .offset:         48
        .size:           2
        .value_kind:     hidden_group_size_z
      - .offset:         50
        .size:           2
        .value_kind:     hidden_remainder_x
      - .offset:         52
        .size:           2
        .value_kind:     hidden_remainder_y
      - .offset:         54
        .size:           2
        .value_kind:     hidden_remainder_z
      - .offset:         72
        .size:           8
        .value_kind:     hidden_global_offset_x
      - .offset:         80
        .size:           8
        .value_kind:     hidden_global_offset_y
      - .offset:         88
        .size:           8
        .value_kind:     hidden_global_offset_z
      - .offset:         96
        .size:           2
        .value_kind:     hidden_grid_dims
    .group_segment_fixed_size: 0
    .kernarg_segment_align: 8
    .kernarg_segment_size: 288
    .language:       OpenCL C
    .language_version:
      - 2
      - 0
    .max_flat_workgroup_size: 64
    .name:           _Z33warp_exclusive_scan_reduce_kernelIiLj64ELj2EENSt9enable_ifIXsr10test_utilsE35device_test_enabled_for_warp_size_vIXT1_EEEvE4typeEPT_S4_S4_S3_
    .private_segment_fixed_size: 0
    .sgpr_count:     13
    .sgpr_spill_count: 0
    .symbol:         _Z33warp_exclusive_scan_reduce_kernelIiLj64ELj2EENSt9enable_ifIXsr10test_utilsE35device_test_enabled_for_warp_size_vIXT1_EEEvE4typeEPT_S4_S4_S3_.kd
    .uniform_work_group_size: 1
    .uses_dynamic_stack: false
    .vgpr_count:     13
    .vgpr_spill_count: 0
    .wavefront_size: 64
  - .args:
      - .address_space:  global
        .offset:         0
        .size:           8
        .value_kind:     global_buffer
      - .address_space:  global
        .offset:         8
        .size:           8
        .value_kind:     global_buffer
      - .address_space:  global
        .offset:         16
        .size:           8
        .value_kind:     global_buffer
      - .offset:         24
        .size:           4
        .value_kind:     by_value
      - .offset:         32
        .size:           4
        .value_kind:     hidden_block_count_x
      - .offset:         36
        .size:           4
        .value_kind:     hidden_block_count_y
      - .offset:         40
        .size:           4
        .value_kind:     hidden_block_count_z
      - .offset:         44
        .size:           2
        .value_kind:     hidden_group_size_x
      - .offset:         46
        .size:           2
        .value_kind:     hidden_group_size_y
      - .offset:         48
        .size:           2
        .value_kind:     hidden_group_size_z
      - .offset:         50
        .size:           2
        .value_kind:     hidden_remainder_x
      - .offset:         52
        .size:           2
        .value_kind:     hidden_remainder_y
      - .offset:         54
        .size:           2
        .value_kind:     hidden_remainder_z
      - .offset:         72
        .size:           8
        .value_kind:     hidden_global_offset_x
      - .offset:         80
        .size:           8
        .value_kind:     hidden_global_offset_y
      - .offset:         88
        .size:           8
        .value_kind:     hidden_global_offset_z
      - .offset:         96
        .size:           2
        .value_kind:     hidden_grid_dims
    .group_segment_fixed_size: 244
    .kernarg_segment_align: 8
    .kernarg_segment_size: 288
    .language:       OpenCL C
    .language_version:
      - 2
      - 0
    .max_flat_workgroup_size: 1
    .name:           _Z16warp_scan_kernelIfLj1ELj61EENSt9enable_ifIXsr10test_utilsE35device_test_enabled_for_warp_size_vIXT1_EEEvE4typeEPT_S4_S4_S3_
    .private_segment_fixed_size: 0
    .sgpr_count:     17
    .sgpr_spill_count: 0
    .symbol:         _Z16warp_scan_kernelIfLj1ELj61EENSt9enable_ifIXsr10test_utilsE35device_test_enabled_for_warp_size_vIXT1_EEEvE4typeEPT_S4_S4_S3_.kd
    .uniform_work_group_size: 1
    .uses_dynamic_stack: false
    .vgpr_count:     4
    .vgpr_spill_count: 0
    .wavefront_size: 64
  - .args:
      - .address_space:  global
        .offset:         0
        .size:           8
        .value_kind:     global_buffer
      - .address_space:  global
        .offset:         8
        .size:           8
        .value_kind:     global_buffer
      - .address_space:  global
        .offset:         16
        .size:           8
        .value_kind:     global_buffer
      - .offset:         24
        .size:           4
        .value_kind:     by_value
      - .offset:         32
        .size:           4
        .value_kind:     hidden_block_count_x
      - .offset:         36
        .size:           4
        .value_kind:     hidden_block_count_y
      - .offset:         40
        .size:           4
        .value_kind:     hidden_block_count_z
      - .offset:         44
        .size:           2
        .value_kind:     hidden_group_size_x
      - .offset:         46
        .size:           2
        .value_kind:     hidden_group_size_y
      - .offset:         48
        .size:           2
        .value_kind:     hidden_group_size_z
      - .offset:         50
        .size:           2
        .value_kind:     hidden_remainder_x
      - .offset:         52
        .size:           2
        .value_kind:     hidden_remainder_y
      - .offset:         54
        .size:           2
        .value_kind:     hidden_remainder_z
      - .offset:         72
        .size:           8
        .value_kind:     hidden_global_offset_x
      - .offset:         80
        .size:           8
        .value_kind:     hidden_global_offset_y
      - .offset:         88
        .size:           8
        .value_kind:     hidden_global_offset_z
      - .offset:         96
        .size:           2
        .value_kind:     hidden_grid_dims
    .group_segment_fixed_size: 244
    .kernarg_segment_align: 8
    .kernarg_segment_size: 288
    .language:       OpenCL C
    .language_version:
      - 2
      - 0
    .max_flat_workgroup_size: 61
    .name:           _Z16warp_scan_kernelIfLj61ELj61EENSt9enable_ifIXsr10test_utilsE35device_test_enabled_for_warp_size_vIXT1_EEEvE4typeEPT_S4_S4_S3_
    .private_segment_fixed_size: 0
    .sgpr_count:     14
    .sgpr_spill_count: 0
    .symbol:         _Z16warp_scan_kernelIfLj61ELj61EENSt9enable_ifIXsr10test_utilsE35device_test_enabled_for_warp_size_vIXT1_EEEvE4typeEPT_S4_S4_S3_.kd
    .uniform_work_group_size: 1
    .uses_dynamic_stack: false
    .vgpr_count:     7
    .vgpr_spill_count: 0
    .wavefront_size: 64
  - .args:
      - .address_space:  global
        .offset:         0
        .size:           8
        .value_kind:     global_buffer
      - .address_space:  global
        .offset:         8
        .size:           8
        .value_kind:     global_buffer
      - .address_space:  global
        .offset:         16
        .size:           8
        .value_kind:     global_buffer
      - .offset:         24
        .size:           4
        .value_kind:     by_value
      - .offset:         32
        .size:           4
        .value_kind:     hidden_block_count_x
      - .offset:         36
        .size:           4
        .value_kind:     hidden_block_count_y
      - .offset:         40
        .size:           4
        .value_kind:     hidden_block_count_z
      - .offset:         44
        .size:           2
        .value_kind:     hidden_group_size_x
      - .offset:         46
        .size:           2
        .value_kind:     hidden_group_size_y
      - .offset:         48
        .size:           2
        .value_kind:     hidden_group_size_z
      - .offset:         50
        .size:           2
        .value_kind:     hidden_remainder_x
      - .offset:         52
        .size:           2
        .value_kind:     hidden_remainder_y
      - .offset:         54
        .size:           2
        .value_kind:     hidden_remainder_z
      - .offset:         72
        .size:           8
        .value_kind:     hidden_global_offset_x
      - .offset:         80
        .size:           8
        .value_kind:     hidden_global_offset_y
      - .offset:         88
        .size:           8
        .value_kind:     hidden_global_offset_z
      - .offset:         96
        .size:           2
        .value_kind:     hidden_grid_dims
    .group_segment_fixed_size: 148
    .kernarg_segment_align: 8
    .kernarg_segment_size: 288
    .language:       OpenCL C
    .language_version:
      - 2
      - 0
    .max_flat_workgroup_size: 1
    .name:           _Z16warp_scan_kernelIfLj1ELj37EENSt9enable_ifIXsr10test_utilsE35device_test_enabled_for_warp_size_vIXT1_EEEvE4typeEPT_S4_S4_S3_
    .private_segment_fixed_size: 0
    .sgpr_count:     17
    .sgpr_spill_count: 0
    .symbol:         _Z16warp_scan_kernelIfLj1ELj37EENSt9enable_ifIXsr10test_utilsE35device_test_enabled_for_warp_size_vIXT1_EEEvE4typeEPT_S4_S4_S3_.kd
    .uniform_work_group_size: 1
    .uses_dynamic_stack: false
    .vgpr_count:     4
    .vgpr_spill_count: 0
    .wavefront_size: 64
  - .args:
      - .address_space:  global
        .offset:         0
        .size:           8
        .value_kind:     global_buffer
      - .address_space:  global
        .offset:         8
        .size:           8
        .value_kind:     global_buffer
      - .address_space:  global
        .offset:         16
        .size:           8
        .value_kind:     global_buffer
      - .offset:         24
        .size:           4
        .value_kind:     by_value
      - .offset:         32
        .size:           4
        .value_kind:     hidden_block_count_x
      - .offset:         36
        .size:           4
        .value_kind:     hidden_block_count_y
      - .offset:         40
        .size:           4
        .value_kind:     hidden_block_count_z
      - .offset:         44
        .size:           2
        .value_kind:     hidden_group_size_x
      - .offset:         46
        .size:           2
        .value_kind:     hidden_group_size_y
      - .offset:         48
        .size:           2
        .value_kind:     hidden_group_size_z
      - .offset:         50
        .size:           2
        .value_kind:     hidden_remainder_x
      - .offset:         52
        .size:           2
        .value_kind:     hidden_remainder_y
      - .offset:         54
        .size:           2
        .value_kind:     hidden_remainder_z
      - .offset:         72
        .size:           8
        .value_kind:     hidden_global_offset_x
      - .offset:         80
        .size:           8
        .value_kind:     hidden_global_offset_y
      - .offset:         88
        .size:           8
        .value_kind:     hidden_global_offset_z
      - .offset:         96
        .size:           2
        .value_kind:     hidden_grid_dims
    .group_segment_fixed_size: 148
    .kernarg_segment_align: 8
    .kernarg_segment_size: 288
    .language:       OpenCL C
    .language_version:
      - 2
      - 0
    .max_flat_workgroup_size: 37
    .name:           _Z16warp_scan_kernelIfLj37ELj37EENSt9enable_ifIXsr10test_utilsE35device_test_enabled_for_warp_size_vIXT1_EEEvE4typeEPT_S4_S4_S3_
    .private_segment_fixed_size: 0
    .sgpr_count:     14
    .sgpr_spill_count: 0
    .symbol:         _Z16warp_scan_kernelIfLj37ELj37EENSt9enable_ifIXsr10test_utilsE35device_test_enabled_for_warp_size_vIXT1_EEEvE4typeEPT_S4_S4_S3_.kd
    .uniform_work_group_size: 1
    .uses_dynamic_stack: false
    .vgpr_count:     7
    .vgpr_spill_count: 0
    .wavefront_size: 64
  - .args:
      - .address_space:  global
        .offset:         0
        .size:           8
        .value_kind:     global_buffer
      - .address_space:  global
        .offset:         8
        .size:           8
        .value_kind:     global_buffer
      - .address_space:  global
        .offset:         16
        .size:           8
        .value_kind:     global_buffer
      - .offset:         24
        .size:           4
        .value_kind:     by_value
      - .offset:         32
        .size:           4
        .value_kind:     hidden_block_count_x
      - .offset:         36
        .size:           4
        .value_kind:     hidden_block_count_y
      - .offset:         40
        .size:           4
        .value_kind:     hidden_block_count_z
      - .offset:         44
        .size:           2
        .value_kind:     hidden_group_size_x
      - .offset:         46
        .size:           2
        .value_kind:     hidden_group_size_y
      - .offset:         48
        .size:           2
        .value_kind:     hidden_group_size_z
      - .offset:         50
        .size:           2
        .value_kind:     hidden_remainder_x
      - .offset:         52
        .size:           2
        .value_kind:     hidden_remainder_y
      - .offset:         54
        .size:           2
        .value_kind:     hidden_remainder_z
      - .offset:         72
        .size:           8
        .value_kind:     hidden_global_offset_x
      - .offset:         80
        .size:           8
        .value_kind:     hidden_global_offset_y
      - .offset:         88
        .size:           8
        .value_kind:     hidden_global_offset_z
      - .offset:         96
        .size:           2
        .value_kind:     hidden_grid_dims
    .group_segment_fixed_size: 120
    .kernarg_segment_align: 8
    .kernarg_segment_size: 288
    .language:       OpenCL C
    .language_version:
      - 2
      - 0
    .max_flat_workgroup_size: 30
    .name:           _Z16warp_scan_kernelIfLj30ELj15EENSt9enable_ifIXsr10test_utilsE35device_test_enabled_for_warp_size_vIXT1_EEEvE4typeEPT_S4_S4_S3_
    .private_segment_fixed_size: 0
    .sgpr_count:     14
    .sgpr_spill_count: 0
    .symbol:         _Z16warp_scan_kernelIfLj30ELj15EENSt9enable_ifIXsr10test_utilsE35device_test_enabled_for_warp_size_vIXT1_EEEvE4typeEPT_S4_S4_S3_.kd
    .uniform_work_group_size: 1
    .uses_dynamic_stack: false
    .vgpr_count:     7
    .vgpr_spill_count: 0
    .wavefront_size: 64
  - .args:
      - .address_space:  global
        .offset:         0
        .size:           8
        .value_kind:     global_buffer
      - .address_space:  global
        .offset:         8
        .size:           8
        .value_kind:     global_buffer
      - .address_space:  global
        .offset:         16
        .size:           8
        .value_kind:     global_buffer
      - .offset:         24
        .size:           4
        .value_kind:     by_value
      - .offset:         32
        .size:           4
        .value_kind:     hidden_block_count_x
      - .offset:         36
        .size:           4
        .value_kind:     hidden_block_count_y
      - .offset:         40
        .size:           4
        .value_kind:     hidden_block_count_z
      - .offset:         44
        .size:           2
        .value_kind:     hidden_group_size_x
      - .offset:         46
        .size:           2
        .value_kind:     hidden_group_size_y
      - .offset:         48
        .size:           2
        .value_kind:     hidden_group_size_z
      - .offset:         50
        .size:           2
        .value_kind:     hidden_remainder_x
      - .offset:         52
        .size:           2
        .value_kind:     hidden_remainder_y
      - .offset:         54
        .size:           2
        .value_kind:     hidden_remainder_z
      - .offset:         72
        .size:           8
        .value_kind:     hidden_global_offset_x
      - .offset:         80
        .size:           8
        .value_kind:     hidden_global_offset_y
      - .offset:         88
        .size:           8
        .value_kind:     hidden_global_offset_z
      - .offset:         96
        .size:           2
        .value_kind:     hidden_grid_dims
    .group_segment_fixed_size: 240
    .kernarg_segment_align: 8
    .kernarg_segment_size: 288
    .language:       OpenCL C
    .language_version:
      - 2
      - 0
    .max_flat_workgroup_size: 60
    .name:           _Z16warp_scan_kernelIfLj60ELj15EENSt9enable_ifIXsr10test_utilsE35device_test_enabled_for_warp_size_vIXT1_EEEvE4typeEPT_S4_S4_S3_
    .private_segment_fixed_size: 0
    .sgpr_count:     14
    .sgpr_spill_count: 0
    .symbol:         _Z16warp_scan_kernelIfLj60ELj15EENSt9enable_ifIXsr10test_utilsE35device_test_enabled_for_warp_size_vIXT1_EEEvE4typeEPT_S4_S4_S3_.kd
    .uniform_work_group_size: 1
    .uses_dynamic_stack: false
    .vgpr_count:     7
    .vgpr_spill_count: 0
    .wavefront_size: 64
  - .args:
      - .address_space:  global
        .offset:         0
        .size:           8
        .value_kind:     global_buffer
      - .address_space:  global
        .offset:         8
        .size:           8
        .value_kind:     global_buffer
      - .address_space:  global
        .offset:         16
        .size:           8
        .value_kind:     global_buffer
      - .offset:         24
        .size:           4
        .value_kind:     by_value
      - .offset:         32
        .size:           4
        .value_kind:     hidden_block_count_x
      - .offset:         36
        .size:           4
        .value_kind:     hidden_block_count_y
      - .offset:         40
        .size:           4
        .value_kind:     hidden_block_count_z
      - .offset:         44
        .size:           2
        .value_kind:     hidden_group_size_x
      - .offset:         46
        .size:           2
        .value_kind:     hidden_group_size_y
      - .offset:         48
        .size:           2
        .value_kind:     hidden_group_size_z
      - .offset:         50
        .size:           2
        .value_kind:     hidden_remainder_x
      - .offset:         52
        .size:           2
        .value_kind:     hidden_remainder_y
      - .offset:         54
        .size:           2
        .value_kind:     hidden_remainder_z
      - .offset:         72
        .size:           8
        .value_kind:     hidden_global_offset_x
      - .offset:         80
        .size:           8
        .value_kind:     hidden_global_offset_y
      - .offset:         88
        .size:           8
        .value_kind:     hidden_global_offset_z
      - .offset:         96
        .size:           2
        .value_kind:     hidden_grid_dims
    .group_segment_fixed_size: 112
    .kernarg_segment_align: 8
    .kernarg_segment_size: 288
    .language:       OpenCL C
    .language_version:
      - 2
      - 0
    .max_flat_workgroup_size: 28
    .name:           _Z16warp_scan_kernelIfLj28ELj7EENSt9enable_ifIXsr10test_utilsE35device_test_enabled_for_warp_size_vIXT1_EEEvE4typeEPT_S4_S4_S3_
    .private_segment_fixed_size: 0
    .sgpr_count:     14
    .sgpr_spill_count: 0
    .symbol:         _Z16warp_scan_kernelIfLj28ELj7EENSt9enable_ifIXsr10test_utilsE35device_test_enabled_for_warp_size_vIXT1_EEEvE4typeEPT_S4_S4_S3_.kd
    .uniform_work_group_size: 1
    .uses_dynamic_stack: false
    .vgpr_count:     7
    .vgpr_spill_count: 0
    .wavefront_size: 64
  - .args:
      - .address_space:  global
        .offset:         0
        .size:           8
        .value_kind:     global_buffer
      - .address_space:  global
        .offset:         8
        .size:           8
        .value_kind:     global_buffer
      - .address_space:  global
        .offset:         16
        .size:           8
        .value_kind:     global_buffer
      - .offset:         24
        .size:           4
        .value_kind:     by_value
      - .offset:         32
        .size:           4
        .value_kind:     hidden_block_count_x
      - .offset:         36
        .size:           4
        .value_kind:     hidden_block_count_y
      - .offset:         40
        .size:           4
        .value_kind:     hidden_block_count_z
      - .offset:         44
        .size:           2
        .value_kind:     hidden_group_size_x
      - .offset:         46
        .size:           2
        .value_kind:     hidden_group_size_y
      - .offset:         48
        .size:           2
        .value_kind:     hidden_group_size_z
      - .offset:         50
        .size:           2
        .value_kind:     hidden_remainder_x
      - .offset:         52
        .size:           2
        .value_kind:     hidden_remainder_y
      - .offset:         54
        .size:           2
        .value_kind:     hidden_remainder_z
      - .offset:         72
        .size:           8
        .value_kind:     hidden_global_offset_x
      - .offset:         80
        .size:           8
        .value_kind:     hidden_global_offset_y
      - .offset:         88
        .size:           8
        .value_kind:     hidden_global_offset_z
      - .offset:         96
        .size:           2
        .value_kind:     hidden_grid_dims
    .group_segment_fixed_size: 252
    .kernarg_segment_align: 8
    .kernarg_segment_size: 288
    .language:       OpenCL C
    .language_version:
      - 2
      - 0
    .max_flat_workgroup_size: 63
    .name:           _Z16warp_scan_kernelIfLj63ELj7EENSt9enable_ifIXsr10test_utilsE35device_test_enabled_for_warp_size_vIXT1_EEEvE4typeEPT_S4_S4_S3_
    .private_segment_fixed_size: 0
    .sgpr_count:     14
    .sgpr_spill_count: 0
    .symbol:         _Z16warp_scan_kernelIfLj63ELj7EENSt9enable_ifIXsr10test_utilsE35device_test_enabled_for_warp_size_vIXT1_EEEvE4typeEPT_S4_S4_S3_.kd
    .uniform_work_group_size: 1
    .uses_dynamic_stack: false
    .vgpr_count:     7
    .vgpr_spill_count: 0
    .wavefront_size: 64
  - .args:
      - .address_space:  global
        .offset:         0
        .size:           8
        .value_kind:     global_buffer
      - .address_space:  global
        .offset:         8
        .size:           8
        .value_kind:     global_buffer
      - .address_space:  global
        .offset:         16
        .size:           8
        .value_kind:     global_buffer
      - .offset:         24
        .size:           4
        .value_kind:     by_value
      - .offset:         32
        .size:           4
        .value_kind:     hidden_block_count_x
      - .offset:         36
        .size:           4
        .value_kind:     hidden_block_count_y
      - .offset:         40
        .size:           4
        .value_kind:     hidden_block_count_z
      - .offset:         44
        .size:           2
        .value_kind:     hidden_group_size_x
      - .offset:         46
        .size:           2
        .value_kind:     hidden_group_size_y
      - .offset:         48
        .size:           2
        .value_kind:     hidden_group_size_z
      - .offset:         50
        .size:           2
        .value_kind:     hidden_remainder_x
      - .offset:         52
        .size:           2
        .value_kind:     hidden_remainder_y
      - .offset:         54
        .size:           2
        .value_kind:     hidden_remainder_z
      - .offset:         72
        .size:           8
        .value_kind:     hidden_global_offset_x
      - .offset:         80
        .size:           8
        .value_kind:     hidden_global_offset_y
      - .offset:         88
        .size:           8
        .value_kind:     hidden_global_offset_z
      - .offset:         96
        .size:           2
        .value_kind:     hidden_grid_dims
    .group_segment_fixed_size: 120
    .kernarg_segment_align: 8
    .kernarg_segment_size: 288
    .language:       OpenCL C
    .language_version:
      - 2
      - 0
    .max_flat_workgroup_size: 30
    .name:           _Z16warp_scan_kernelIfLj30ELj3EENSt9enable_ifIXsr10test_utilsE35device_test_enabled_for_warp_size_vIXT1_EEEvE4typeEPT_S4_S4_S3_
    .private_segment_fixed_size: 0
    .sgpr_count:     16
    .sgpr_spill_count: 0
    .symbol:         _Z16warp_scan_kernelIfLj30ELj3EENSt9enable_ifIXsr10test_utilsE35device_test_enabled_for_warp_size_vIXT1_EEEvE4typeEPT_S4_S4_S3_.kd
    .uniform_work_group_size: 1
    .uses_dynamic_stack: false
    .vgpr_count:     8
    .vgpr_spill_count: 0
    .wavefront_size: 64
  - .args:
      - .address_space:  global
        .offset:         0
        .size:           8
        .value_kind:     global_buffer
      - .address_space:  global
        .offset:         8
        .size:           8
        .value_kind:     global_buffer
      - .address_space:  global
        .offset:         16
        .size:           8
        .value_kind:     global_buffer
      - .offset:         24
        .size:           4
        .value_kind:     by_value
      - .offset:         32
        .size:           4
        .value_kind:     hidden_block_count_x
      - .offset:         36
        .size:           4
        .value_kind:     hidden_block_count_y
      - .offset:         40
        .size:           4
        .value_kind:     hidden_block_count_z
      - .offset:         44
        .size:           2
        .value_kind:     hidden_group_size_x
      - .offset:         46
        .size:           2
        .value_kind:     hidden_group_size_y
      - .offset:         48
        .size:           2
        .value_kind:     hidden_group_size_z
      - .offset:         50
        .size:           2
        .value_kind:     hidden_remainder_x
      - .offset:         52
        .size:           2
        .value_kind:     hidden_remainder_y
      - .offset:         54
        .size:           2
        .value_kind:     hidden_remainder_z
      - .offset:         72
        .size:           8
        .value_kind:     hidden_global_offset_x
      - .offset:         80
        .size:           8
        .value_kind:     hidden_global_offset_y
      - .offset:         88
        .size:           8
        .value_kind:     hidden_global_offset_z
      - .offset:         96
        .size:           2
        .value_kind:     hidden_grid_dims
    .group_segment_fixed_size: 252
    .kernarg_segment_align: 8
    .kernarg_segment_size: 288
    .language:       OpenCL C
    .language_version:
      - 2
      - 0
    .max_flat_workgroup_size: 63
    .name:           _Z16warp_scan_kernelIfLj63ELj3EENSt9enable_ifIXsr10test_utilsE35device_test_enabled_for_warp_size_vIXT1_EEEvE4typeEPT_S4_S4_S3_
    .private_segment_fixed_size: 0
    .sgpr_count:     16
    .sgpr_spill_count: 0
    .symbol:         _Z16warp_scan_kernelIfLj63ELj3EENSt9enable_ifIXsr10test_utilsE35device_test_enabled_for_warp_size_vIXT1_EEEvE4typeEPT_S4_S4_S3_.kd
    .uniform_work_group_size: 1
    .uses_dynamic_stack: false
    .vgpr_count:     8
    .vgpr_spill_count: 0
    .wavefront_size: 64
  - .args:
      - .address_space:  global
        .offset:         0
        .size:           8
        .value_kind:     global_buffer
      - .address_space:  global
        .offset:         8
        .size:           8
        .value_kind:     global_buffer
      - .address_space:  global
        .offset:         16
        .size:           8
        .value_kind:     global_buffer
      - .offset:         24
        .size:           4
        .value_kind:     by_value
      - .offset:         32
        .size:           4
        .value_kind:     hidden_block_count_x
      - .offset:         36
        .size:           4
        .value_kind:     hidden_block_count_y
      - .offset:         40
        .size:           4
        .value_kind:     hidden_block_count_z
      - .offset:         44
        .size:           2
        .value_kind:     hidden_group_size_x
      - .offset:         46
        .size:           2
        .value_kind:     hidden_group_size_y
      - .offset:         48
        .size:           2
        .value_kind:     hidden_group_size_z
      - .offset:         50
        .size:           2
        .value_kind:     hidden_remainder_x
      - .offset:         52
        .size:           2
        .value_kind:     hidden_remainder_y
      - .offset:         54
        .size:           2
        .value_kind:     hidden_remainder_z
      - .offset:         72
        .size:           8
        .value_kind:     hidden_global_offset_x
      - .offset:         80
        .size:           8
        .value_kind:     hidden_global_offset_y
      - .offset:         88
        .size:           8
        .value_kind:     hidden_global_offset_z
      - .offset:         96
        .size:           2
        .value_kind:     hidden_grid_dims
    .group_segment_fixed_size: 244
    .kernarg_segment_align: 8
    .kernarg_segment_size: 288
    .language:       OpenCL C
    .language_version:
      - 2
      - 0
    .max_flat_workgroup_size: 1
    .name:           _Z16warp_scan_kernelIiLj1ELj61EENSt9enable_ifIXsr10test_utilsE35device_test_enabled_for_warp_size_vIXT1_EEEvE4typeEPT_S4_S4_S3_
    .private_segment_fixed_size: 0
    .sgpr_count:     17
    .sgpr_spill_count: 0
    .symbol:         _Z16warp_scan_kernelIiLj1ELj61EENSt9enable_ifIXsr10test_utilsE35device_test_enabled_for_warp_size_vIXT1_EEEvE4typeEPT_S4_S4_S3_.kd
    .uniform_work_group_size: 1
    .uses_dynamic_stack: false
    .vgpr_count:     4
    .vgpr_spill_count: 0
    .wavefront_size: 64
  - .args:
      - .address_space:  global
        .offset:         0
        .size:           8
        .value_kind:     global_buffer
      - .address_space:  global
        .offset:         8
        .size:           8
        .value_kind:     global_buffer
      - .address_space:  global
        .offset:         16
        .size:           8
        .value_kind:     global_buffer
      - .offset:         24
        .size:           4
        .value_kind:     by_value
      - .offset:         32
        .size:           4
        .value_kind:     hidden_block_count_x
      - .offset:         36
        .size:           4
        .value_kind:     hidden_block_count_y
      - .offset:         40
        .size:           4
        .value_kind:     hidden_block_count_z
      - .offset:         44
        .size:           2
        .value_kind:     hidden_group_size_x
      - .offset:         46
        .size:           2
        .value_kind:     hidden_group_size_y
      - .offset:         48
        .size:           2
        .value_kind:     hidden_group_size_z
      - .offset:         50
        .size:           2
        .value_kind:     hidden_remainder_x
      - .offset:         52
        .size:           2
        .value_kind:     hidden_remainder_y
      - .offset:         54
        .size:           2
        .value_kind:     hidden_remainder_z
      - .offset:         72
        .size:           8
        .value_kind:     hidden_global_offset_x
      - .offset:         80
        .size:           8
        .value_kind:     hidden_global_offset_y
      - .offset:         88
        .size:           8
        .value_kind:     hidden_global_offset_z
      - .offset:         96
        .size:           2
        .value_kind:     hidden_grid_dims
    .group_segment_fixed_size: 244
    .kernarg_segment_align: 8
    .kernarg_segment_size: 288
    .language:       OpenCL C
    .language_version:
      - 2
      - 0
    .max_flat_workgroup_size: 61
    .name:           _Z16warp_scan_kernelIiLj61ELj61EENSt9enable_ifIXsr10test_utilsE35device_test_enabled_for_warp_size_vIXT1_EEEvE4typeEPT_S4_S4_S3_
    .private_segment_fixed_size: 0
    .sgpr_count:     14
    .sgpr_spill_count: 0
    .symbol:         _Z16warp_scan_kernelIiLj61ELj61EENSt9enable_ifIXsr10test_utilsE35device_test_enabled_for_warp_size_vIXT1_EEEvE4typeEPT_S4_S4_S3_.kd
    .uniform_work_group_size: 1
    .uses_dynamic_stack: false
    .vgpr_count:     7
    .vgpr_spill_count: 0
    .wavefront_size: 64
  - .args:
      - .address_space:  global
        .offset:         0
        .size:           8
        .value_kind:     global_buffer
      - .address_space:  global
        .offset:         8
        .size:           8
        .value_kind:     global_buffer
      - .address_space:  global
        .offset:         16
        .size:           8
        .value_kind:     global_buffer
      - .offset:         24
        .size:           4
        .value_kind:     by_value
      - .offset:         32
        .size:           4
        .value_kind:     hidden_block_count_x
      - .offset:         36
        .size:           4
        .value_kind:     hidden_block_count_y
      - .offset:         40
        .size:           4
        .value_kind:     hidden_block_count_z
      - .offset:         44
        .size:           2
        .value_kind:     hidden_group_size_x
      - .offset:         46
        .size:           2
        .value_kind:     hidden_group_size_y
      - .offset:         48
        .size:           2
        .value_kind:     hidden_group_size_z
      - .offset:         50
        .size:           2
        .value_kind:     hidden_remainder_x
      - .offset:         52
        .size:           2
        .value_kind:     hidden_remainder_y
      - .offset:         54
        .size:           2
        .value_kind:     hidden_remainder_z
      - .offset:         72
        .size:           8
        .value_kind:     hidden_global_offset_x
      - .offset:         80
        .size:           8
        .value_kind:     hidden_global_offset_y
      - .offset:         88
        .size:           8
        .value_kind:     hidden_global_offset_z
      - .offset:         96
        .size:           2
        .value_kind:     hidden_grid_dims
    .group_segment_fixed_size: 148
    .kernarg_segment_align: 8
    .kernarg_segment_size: 288
    .language:       OpenCL C
    .language_version:
      - 2
      - 0
    .max_flat_workgroup_size: 1
    .name:           _Z16warp_scan_kernelIiLj1ELj37EENSt9enable_ifIXsr10test_utilsE35device_test_enabled_for_warp_size_vIXT1_EEEvE4typeEPT_S4_S4_S3_
    .private_segment_fixed_size: 0
    .sgpr_count:     17
    .sgpr_spill_count: 0
    .symbol:         _Z16warp_scan_kernelIiLj1ELj37EENSt9enable_ifIXsr10test_utilsE35device_test_enabled_for_warp_size_vIXT1_EEEvE4typeEPT_S4_S4_S3_.kd
    .uniform_work_group_size: 1
    .uses_dynamic_stack: false
    .vgpr_count:     4
    .vgpr_spill_count: 0
    .wavefront_size: 64
  - .args:
      - .address_space:  global
        .offset:         0
        .size:           8
        .value_kind:     global_buffer
      - .address_space:  global
        .offset:         8
        .size:           8
        .value_kind:     global_buffer
      - .address_space:  global
        .offset:         16
        .size:           8
        .value_kind:     global_buffer
      - .offset:         24
        .size:           4
        .value_kind:     by_value
      - .offset:         32
        .size:           4
        .value_kind:     hidden_block_count_x
      - .offset:         36
        .size:           4
        .value_kind:     hidden_block_count_y
      - .offset:         40
        .size:           4
        .value_kind:     hidden_block_count_z
      - .offset:         44
        .size:           2
        .value_kind:     hidden_group_size_x
      - .offset:         46
        .size:           2
        .value_kind:     hidden_group_size_y
      - .offset:         48
        .size:           2
        .value_kind:     hidden_group_size_z
      - .offset:         50
        .size:           2
        .value_kind:     hidden_remainder_x
      - .offset:         52
        .size:           2
        .value_kind:     hidden_remainder_y
      - .offset:         54
        .size:           2
        .value_kind:     hidden_remainder_z
      - .offset:         72
        .size:           8
        .value_kind:     hidden_global_offset_x
      - .offset:         80
        .size:           8
        .value_kind:     hidden_global_offset_y
      - .offset:         88
        .size:           8
        .value_kind:     hidden_global_offset_z
      - .offset:         96
        .size:           2
        .value_kind:     hidden_grid_dims
    .group_segment_fixed_size: 148
    .kernarg_segment_align: 8
    .kernarg_segment_size: 288
    .language:       OpenCL C
    .language_version:
      - 2
      - 0
    .max_flat_workgroup_size: 37
    .name:           _Z16warp_scan_kernelIiLj37ELj37EENSt9enable_ifIXsr10test_utilsE35device_test_enabled_for_warp_size_vIXT1_EEEvE4typeEPT_S4_S4_S3_
    .private_segment_fixed_size: 0
    .sgpr_count:     14
    .sgpr_spill_count: 0
    .symbol:         _Z16warp_scan_kernelIiLj37ELj37EENSt9enable_ifIXsr10test_utilsE35device_test_enabled_for_warp_size_vIXT1_EEEvE4typeEPT_S4_S4_S3_.kd
    .uniform_work_group_size: 1
    .uses_dynamic_stack: false
    .vgpr_count:     7
    .vgpr_spill_count: 0
    .wavefront_size: 64
  - .args:
      - .address_space:  global
        .offset:         0
        .size:           8
        .value_kind:     global_buffer
      - .address_space:  global
        .offset:         8
        .size:           8
        .value_kind:     global_buffer
      - .address_space:  global
        .offset:         16
        .size:           8
        .value_kind:     global_buffer
      - .offset:         24
        .size:           4
        .value_kind:     by_value
      - .offset:         32
        .size:           4
        .value_kind:     hidden_block_count_x
      - .offset:         36
        .size:           4
        .value_kind:     hidden_block_count_y
      - .offset:         40
        .size:           4
        .value_kind:     hidden_block_count_z
      - .offset:         44
        .size:           2
        .value_kind:     hidden_group_size_x
      - .offset:         46
        .size:           2
        .value_kind:     hidden_group_size_y
      - .offset:         48
        .size:           2
        .value_kind:     hidden_group_size_z
      - .offset:         50
        .size:           2
        .value_kind:     hidden_remainder_x
      - .offset:         52
        .size:           2
        .value_kind:     hidden_remainder_y
      - .offset:         54
        .size:           2
        .value_kind:     hidden_remainder_z
      - .offset:         72
        .size:           8
        .value_kind:     hidden_global_offset_x
      - .offset:         80
        .size:           8
        .value_kind:     hidden_global_offset_y
      - .offset:         88
        .size:           8
        .value_kind:     hidden_global_offset_z
      - .offset:         96
        .size:           2
        .value_kind:     hidden_grid_dims
    .group_segment_fixed_size: 120
    .kernarg_segment_align: 8
    .kernarg_segment_size: 288
    .language:       OpenCL C
    .language_version:
      - 2
      - 0
    .max_flat_workgroup_size: 30
    .name:           _Z16warp_scan_kernelIiLj30ELj15EENSt9enable_ifIXsr10test_utilsE35device_test_enabled_for_warp_size_vIXT1_EEEvE4typeEPT_S4_S4_S3_
    .private_segment_fixed_size: 0
    .sgpr_count:     14
    .sgpr_spill_count: 0
    .symbol:         _Z16warp_scan_kernelIiLj30ELj15EENSt9enable_ifIXsr10test_utilsE35device_test_enabled_for_warp_size_vIXT1_EEEvE4typeEPT_S4_S4_S3_.kd
    .uniform_work_group_size: 1
    .uses_dynamic_stack: false
    .vgpr_count:     7
    .vgpr_spill_count: 0
    .wavefront_size: 64
  - .args:
      - .address_space:  global
        .offset:         0
        .size:           8
        .value_kind:     global_buffer
      - .address_space:  global
        .offset:         8
        .size:           8
        .value_kind:     global_buffer
      - .address_space:  global
        .offset:         16
        .size:           8
        .value_kind:     global_buffer
      - .offset:         24
        .size:           4
        .value_kind:     by_value
      - .offset:         32
        .size:           4
        .value_kind:     hidden_block_count_x
      - .offset:         36
        .size:           4
        .value_kind:     hidden_block_count_y
      - .offset:         40
        .size:           4
        .value_kind:     hidden_block_count_z
      - .offset:         44
        .size:           2
        .value_kind:     hidden_group_size_x
      - .offset:         46
        .size:           2
        .value_kind:     hidden_group_size_y
      - .offset:         48
        .size:           2
        .value_kind:     hidden_group_size_z
      - .offset:         50
        .size:           2
        .value_kind:     hidden_remainder_x
      - .offset:         52
        .size:           2
        .value_kind:     hidden_remainder_y
      - .offset:         54
        .size:           2
        .value_kind:     hidden_remainder_z
      - .offset:         72
        .size:           8
        .value_kind:     hidden_global_offset_x
      - .offset:         80
        .size:           8
        .value_kind:     hidden_global_offset_y
      - .offset:         88
        .size:           8
        .value_kind:     hidden_global_offset_z
      - .offset:         96
        .size:           2
        .value_kind:     hidden_grid_dims
    .group_segment_fixed_size: 240
    .kernarg_segment_align: 8
    .kernarg_segment_size: 288
    .language:       OpenCL C
    .language_version:
      - 2
      - 0
    .max_flat_workgroup_size: 60
    .name:           _Z16warp_scan_kernelIiLj60ELj15EENSt9enable_ifIXsr10test_utilsE35device_test_enabled_for_warp_size_vIXT1_EEEvE4typeEPT_S4_S4_S3_
    .private_segment_fixed_size: 0
    .sgpr_count:     14
    .sgpr_spill_count: 0
    .symbol:         _Z16warp_scan_kernelIiLj60ELj15EENSt9enable_ifIXsr10test_utilsE35device_test_enabled_for_warp_size_vIXT1_EEEvE4typeEPT_S4_S4_S3_.kd
    .uniform_work_group_size: 1
    .uses_dynamic_stack: false
    .vgpr_count:     7
    .vgpr_spill_count: 0
    .wavefront_size: 64
  - .args:
      - .address_space:  global
        .offset:         0
        .size:           8
        .value_kind:     global_buffer
      - .address_space:  global
        .offset:         8
        .size:           8
        .value_kind:     global_buffer
      - .address_space:  global
        .offset:         16
        .size:           8
        .value_kind:     global_buffer
      - .offset:         24
        .size:           4
        .value_kind:     by_value
      - .offset:         32
        .size:           4
        .value_kind:     hidden_block_count_x
      - .offset:         36
        .size:           4
        .value_kind:     hidden_block_count_y
      - .offset:         40
        .size:           4
        .value_kind:     hidden_block_count_z
      - .offset:         44
        .size:           2
        .value_kind:     hidden_group_size_x
      - .offset:         46
        .size:           2
        .value_kind:     hidden_group_size_y
      - .offset:         48
        .size:           2
        .value_kind:     hidden_group_size_z
      - .offset:         50
        .size:           2
        .value_kind:     hidden_remainder_x
      - .offset:         52
        .size:           2
        .value_kind:     hidden_remainder_y
      - .offset:         54
        .size:           2
        .value_kind:     hidden_remainder_z
      - .offset:         72
        .size:           8
        .value_kind:     hidden_global_offset_x
      - .offset:         80
        .size:           8
        .value_kind:     hidden_global_offset_y
      - .offset:         88
        .size:           8
        .value_kind:     hidden_global_offset_z
      - .offset:         96
        .size:           2
        .value_kind:     hidden_grid_dims
    .group_segment_fixed_size: 112
    .kernarg_segment_align: 8
    .kernarg_segment_size: 288
    .language:       OpenCL C
    .language_version:
      - 2
      - 0
    .max_flat_workgroup_size: 28
    .name:           _Z16warp_scan_kernelIiLj28ELj7EENSt9enable_ifIXsr10test_utilsE35device_test_enabled_for_warp_size_vIXT1_EEEvE4typeEPT_S4_S4_S3_
    .private_segment_fixed_size: 0
    .sgpr_count:     14
    .sgpr_spill_count: 0
    .symbol:         _Z16warp_scan_kernelIiLj28ELj7EENSt9enable_ifIXsr10test_utilsE35device_test_enabled_for_warp_size_vIXT1_EEEvE4typeEPT_S4_S4_S3_.kd
    .uniform_work_group_size: 1
    .uses_dynamic_stack: false
    .vgpr_count:     7
    .vgpr_spill_count: 0
    .wavefront_size: 64
  - .args:
      - .address_space:  global
        .offset:         0
        .size:           8
        .value_kind:     global_buffer
      - .address_space:  global
        .offset:         8
        .size:           8
        .value_kind:     global_buffer
      - .address_space:  global
        .offset:         16
        .size:           8
        .value_kind:     global_buffer
      - .offset:         24
        .size:           4
        .value_kind:     by_value
      - .offset:         32
        .size:           4
        .value_kind:     hidden_block_count_x
      - .offset:         36
        .size:           4
        .value_kind:     hidden_block_count_y
      - .offset:         40
        .size:           4
        .value_kind:     hidden_block_count_z
      - .offset:         44
        .size:           2
        .value_kind:     hidden_group_size_x
      - .offset:         46
        .size:           2
        .value_kind:     hidden_group_size_y
      - .offset:         48
        .size:           2
        .value_kind:     hidden_group_size_z
      - .offset:         50
        .size:           2
        .value_kind:     hidden_remainder_x
      - .offset:         52
        .size:           2
        .value_kind:     hidden_remainder_y
      - .offset:         54
        .size:           2
        .value_kind:     hidden_remainder_z
      - .offset:         72
        .size:           8
        .value_kind:     hidden_global_offset_x
      - .offset:         80
        .size:           8
        .value_kind:     hidden_global_offset_y
      - .offset:         88
        .size:           8
        .value_kind:     hidden_global_offset_z
      - .offset:         96
        .size:           2
        .value_kind:     hidden_grid_dims
    .group_segment_fixed_size: 252
    .kernarg_segment_align: 8
    .kernarg_segment_size: 288
    .language:       OpenCL C
    .language_version:
      - 2
      - 0
    .max_flat_workgroup_size: 63
    .name:           _Z16warp_scan_kernelIiLj63ELj7EENSt9enable_ifIXsr10test_utilsE35device_test_enabled_for_warp_size_vIXT1_EEEvE4typeEPT_S4_S4_S3_
    .private_segment_fixed_size: 0
    .sgpr_count:     14
    .sgpr_spill_count: 0
    .symbol:         _Z16warp_scan_kernelIiLj63ELj7EENSt9enable_ifIXsr10test_utilsE35device_test_enabled_for_warp_size_vIXT1_EEEvE4typeEPT_S4_S4_S3_.kd
    .uniform_work_group_size: 1
    .uses_dynamic_stack: false
    .vgpr_count:     7
    .vgpr_spill_count: 0
    .wavefront_size: 64
  - .args:
      - .address_space:  global
        .offset:         0
        .size:           8
        .value_kind:     global_buffer
      - .address_space:  global
        .offset:         8
        .size:           8
        .value_kind:     global_buffer
      - .address_space:  global
        .offset:         16
        .size:           8
        .value_kind:     global_buffer
      - .offset:         24
        .size:           4
        .value_kind:     by_value
      - .offset:         32
        .size:           4
        .value_kind:     hidden_block_count_x
      - .offset:         36
        .size:           4
        .value_kind:     hidden_block_count_y
      - .offset:         40
        .size:           4
        .value_kind:     hidden_block_count_z
      - .offset:         44
        .size:           2
        .value_kind:     hidden_group_size_x
      - .offset:         46
        .size:           2
        .value_kind:     hidden_group_size_y
      - .offset:         48
        .size:           2
        .value_kind:     hidden_group_size_z
      - .offset:         50
        .size:           2
        .value_kind:     hidden_remainder_x
      - .offset:         52
        .size:           2
        .value_kind:     hidden_remainder_y
      - .offset:         54
        .size:           2
        .value_kind:     hidden_remainder_z
      - .offset:         72
        .size:           8
        .value_kind:     hidden_global_offset_x
      - .offset:         80
        .size:           8
        .value_kind:     hidden_global_offset_y
      - .offset:         88
        .size:           8
        .value_kind:     hidden_global_offset_z
      - .offset:         96
        .size:           2
        .value_kind:     hidden_grid_dims
    .group_segment_fixed_size: 120
    .kernarg_segment_align: 8
    .kernarg_segment_size: 288
    .language:       OpenCL C
    .language_version:
      - 2
      - 0
    .max_flat_workgroup_size: 30
    .name:           _Z16warp_scan_kernelIiLj30ELj3EENSt9enable_ifIXsr10test_utilsE35device_test_enabled_for_warp_size_vIXT1_EEEvE4typeEPT_S4_S4_S3_
    .private_segment_fixed_size: 0
    .sgpr_count:     14
    .sgpr_spill_count: 0
    .symbol:         _Z16warp_scan_kernelIiLj30ELj3EENSt9enable_ifIXsr10test_utilsE35device_test_enabled_for_warp_size_vIXT1_EEEvE4typeEPT_S4_S4_S3_.kd
    .uniform_work_group_size: 1
    .uses_dynamic_stack: false
    .vgpr_count:     8
    .vgpr_spill_count: 0
    .wavefront_size: 64
  - .args:
      - .address_space:  global
        .offset:         0
        .size:           8
        .value_kind:     global_buffer
      - .address_space:  global
        .offset:         8
        .size:           8
        .value_kind:     global_buffer
      - .address_space:  global
        .offset:         16
        .size:           8
        .value_kind:     global_buffer
      - .offset:         24
        .size:           4
        .value_kind:     by_value
      - .offset:         32
        .size:           4
        .value_kind:     hidden_block_count_x
      - .offset:         36
        .size:           4
        .value_kind:     hidden_block_count_y
      - .offset:         40
        .size:           4
        .value_kind:     hidden_block_count_z
      - .offset:         44
        .size:           2
        .value_kind:     hidden_group_size_x
      - .offset:         46
        .size:           2
        .value_kind:     hidden_group_size_y
      - .offset:         48
        .size:           2
        .value_kind:     hidden_group_size_z
      - .offset:         50
        .size:           2
        .value_kind:     hidden_remainder_x
      - .offset:         52
        .size:           2
        .value_kind:     hidden_remainder_y
      - .offset:         54
        .size:           2
        .value_kind:     hidden_remainder_z
      - .offset:         72
        .size:           8
        .value_kind:     hidden_global_offset_x
      - .offset:         80
        .size:           8
        .value_kind:     hidden_global_offset_y
      - .offset:         88
        .size:           8
        .value_kind:     hidden_global_offset_z
      - .offset:         96
        .size:           2
        .value_kind:     hidden_grid_dims
    .group_segment_fixed_size: 252
    .kernarg_segment_align: 8
    .kernarg_segment_size: 288
    .language:       OpenCL C
    .language_version:
      - 2
      - 0
    .max_flat_workgroup_size: 63
    .name:           _Z16warp_scan_kernelIiLj63ELj3EENSt9enable_ifIXsr10test_utilsE35device_test_enabled_for_warp_size_vIXT1_EEEvE4typeEPT_S4_S4_S3_
    .private_segment_fixed_size: 0
    .sgpr_count:     14
    .sgpr_spill_count: 0
    .symbol:         _Z16warp_scan_kernelIiLj63ELj3EENSt9enable_ifIXsr10test_utilsE35device_test_enabled_for_warp_size_vIXT1_EEEvE4typeEPT_S4_S4_S3_.kd
    .uniform_work_group_size: 1
    .uses_dynamic_stack: false
    .vgpr_count:     8
    .vgpr_spill_count: 0
    .wavefront_size: 64
  - .args:
      - .address_space:  global
        .offset:         0
        .size:           8
        .value_kind:     global_buffer
      - .address_space:  global
        .offset:         8
        .size:           8
        .value_kind:     global_buffer
      - .address_space:  global
        .offset:         16
        .size:           8
        .value_kind:     global_buffer
      - .offset:         24
        .size:           2
        .value_kind:     by_value
      - .offset:         32
        .size:           4
        .value_kind:     hidden_block_count_x
      - .offset:         36
        .size:           4
        .value_kind:     hidden_block_count_y
      - .offset:         40
        .size:           4
        .value_kind:     hidden_block_count_z
      - .offset:         44
        .size:           2
        .value_kind:     hidden_group_size_x
      - .offset:         46
        .size:           2
        .value_kind:     hidden_group_size_y
      - .offset:         48
        .size:           2
        .value_kind:     hidden_group_size_z
      - .offset:         50
        .size:           2
        .value_kind:     hidden_remainder_x
      - .offset:         52
        .size:           2
        .value_kind:     hidden_remainder_y
      - .offset:         54
        .size:           2
        .value_kind:     hidden_remainder_z
      - .offset:         72
        .size:           8
        .value_kind:     hidden_global_offset_x
      - .offset:         80
        .size:           8
        .value_kind:     hidden_global_offset_y
      - .offset:         88
        .size:           8
        .value_kind:     hidden_global_offset_z
      - .offset:         96
        .size:           2
        .value_kind:     hidden_grid_dims
    .group_segment_fixed_size: 0
    .kernarg_segment_align: 8
    .kernarg_segment_size: 288
    .language:       OpenCL C
    .language_version:
      - 2
      - 0
    .max_flat_workgroup_size: 256
    .name:           _Z16warp_scan_kernelI12hip_bfloat16Lj256ELj64EENSt9enable_ifIXsr10test_utilsE35device_test_enabled_for_warp_size_vIXT1_EEEvE4typeEPT_S5_S5_S4_
    .private_segment_fixed_size: 0
    .sgpr_count:     13
    .sgpr_spill_count: 0
    .symbol:         _Z16warp_scan_kernelI12hip_bfloat16Lj256ELj64EENSt9enable_ifIXsr10test_utilsE35device_test_enabled_for_warp_size_vIXT1_EEEvE4typeEPT_S5_S5_S4_.kd
    .uniform_work_group_size: 1
    .uses_dynamic_stack: false
    .vgpr_count:     9
    .vgpr_spill_count: 0
    .wavefront_size: 64
  - .args:
      - .address_space:  global
        .offset:         0
        .size:           8
        .value_kind:     global_buffer
      - .address_space:  global
        .offset:         8
        .size:           8
        .value_kind:     global_buffer
      - .address_space:  global
        .offset:         16
        .size:           8
        .value_kind:     global_buffer
      - .offset:         24
        .size:           2
        .value_kind:     by_value
      - .offset:         32
        .size:           4
        .value_kind:     hidden_block_count_x
      - .offset:         36
        .size:           4
        .value_kind:     hidden_block_count_y
      - .offset:         40
        .size:           4
        .value_kind:     hidden_block_count_z
      - .offset:         44
        .size:           2
        .value_kind:     hidden_group_size_x
      - .offset:         46
        .size:           2
        .value_kind:     hidden_group_size_y
      - .offset:         48
        .size:           2
        .value_kind:     hidden_group_size_z
      - .offset:         50
        .size:           2
        .value_kind:     hidden_remainder_x
      - .offset:         52
        .size:           2
        .value_kind:     hidden_remainder_y
      - .offset:         54
        .size:           2
        .value_kind:     hidden_remainder_z
      - .offset:         72
        .size:           8
        .value_kind:     hidden_global_offset_x
      - .offset:         80
        .size:           8
        .value_kind:     hidden_global_offset_y
      - .offset:         88
        .size:           8
        .value_kind:     hidden_global_offset_z
      - .offset:         96
        .size:           2
        .value_kind:     hidden_grid_dims
    .group_segment_fixed_size: 0
    .kernarg_segment_align: 8
    .kernarg_segment_size: 288
    .language:       OpenCL C
    .language_version:
      - 2
      - 0
    .max_flat_workgroup_size: 128
    .name:           _Z16warp_scan_kernelI12hip_bfloat16Lj128ELj32EENSt9enable_ifIXsr10test_utilsE35device_test_enabled_for_warp_size_vIXT1_EEEvE4typeEPT_S5_S5_S4_
    .private_segment_fixed_size: 0
    .sgpr_count:     13
    .sgpr_spill_count: 0
    .symbol:         _Z16warp_scan_kernelI12hip_bfloat16Lj128ELj32EENSt9enable_ifIXsr10test_utilsE35device_test_enabled_for_warp_size_vIXT1_EEEvE4typeEPT_S5_S5_S4_.kd
    .uniform_work_group_size: 1
    .uses_dynamic_stack: false
    .vgpr_count:     9
    .vgpr_spill_count: 0
    .wavefront_size: 64
  - .args:
      - .address_space:  global
        .offset:         0
        .size:           8
        .value_kind:     global_buffer
      - .address_space:  global
        .offset:         8
        .size:           8
        .value_kind:     global_buffer
      - .address_space:  global
        .offset:         16
        .size:           8
        .value_kind:     global_buffer
      - .offset:         24
        .size:           2
        .value_kind:     by_value
      - .offset:         32
        .size:           4
        .value_kind:     hidden_block_count_x
      - .offset:         36
        .size:           4
        .value_kind:     hidden_block_count_y
      - .offset:         40
        .size:           4
        .value_kind:     hidden_block_count_z
      - .offset:         44
        .size:           2
        .value_kind:     hidden_group_size_x
      - .offset:         46
        .size:           2
        .value_kind:     hidden_group_size_y
      - .offset:         48
        .size:           2
        .value_kind:     hidden_group_size_z
      - .offset:         50
        .size:           2
        .value_kind:     hidden_remainder_x
      - .offset:         52
        .size:           2
        .value_kind:     hidden_remainder_y
      - .offset:         54
        .size:           2
        .value_kind:     hidden_remainder_z
      - .offset:         72
        .size:           8
        .value_kind:     hidden_global_offset_x
      - .offset:         80
        .size:           8
        .value_kind:     hidden_global_offset_y
      - .offset:         88
        .size:           8
        .value_kind:     hidden_global_offset_z
      - .offset:         96
        .size:           2
        .value_kind:     hidden_grid_dims
    .group_segment_fixed_size: 0
    .kernarg_segment_align: 8
    .kernarg_segment_size: 288
    .language:       OpenCL C
    .language_version:
      - 2
      - 0
    .max_flat_workgroup_size: 64
    .name:           _Z16warp_scan_kernelI12hip_bfloat16Lj64ELj16EENSt9enable_ifIXsr10test_utilsE35device_test_enabled_for_warp_size_vIXT1_EEEvE4typeEPT_S5_S5_S4_
    .private_segment_fixed_size: 0
    .sgpr_count:     16
    .sgpr_spill_count: 0
    .symbol:         _Z16warp_scan_kernelI12hip_bfloat16Lj64ELj16EENSt9enable_ifIXsr10test_utilsE35device_test_enabled_for_warp_size_vIXT1_EEEvE4typeEPT_S5_S5_S4_.kd
    .uniform_work_group_size: 1
    .uses_dynamic_stack: false
    .vgpr_count:     9
    .vgpr_spill_count: 0
    .wavefront_size: 64
  - .args:
      - .address_space:  global
        .offset:         0
        .size:           8
        .value_kind:     global_buffer
      - .address_space:  global
        .offset:         8
        .size:           8
        .value_kind:     global_buffer
      - .address_space:  global
        .offset:         16
        .size:           8
        .value_kind:     global_buffer
      - .offset:         24
        .size:           2
        .value_kind:     by_value
      - .offset:         32
        .size:           4
        .value_kind:     hidden_block_count_x
      - .offset:         36
        .size:           4
        .value_kind:     hidden_block_count_y
      - .offset:         40
        .size:           4
        .value_kind:     hidden_block_count_z
      - .offset:         44
        .size:           2
        .value_kind:     hidden_group_size_x
      - .offset:         46
        .size:           2
        .value_kind:     hidden_group_size_y
      - .offset:         48
        .size:           2
        .value_kind:     hidden_group_size_z
      - .offset:         50
        .size:           2
        .value_kind:     hidden_remainder_x
      - .offset:         52
        .size:           2
        .value_kind:     hidden_remainder_y
      - .offset:         54
        .size:           2
        .value_kind:     hidden_remainder_z
      - .offset:         72
        .size:           8
        .value_kind:     hidden_global_offset_x
      - .offset:         80
        .size:           8
        .value_kind:     hidden_global_offset_y
      - .offset:         88
        .size:           8
        .value_kind:     hidden_global_offset_z
      - .offset:         96
        .size:           2
        .value_kind:     hidden_grid_dims
    .group_segment_fixed_size: 0
    .kernarg_segment_align: 8
    .kernarg_segment_size: 288
    .language:       OpenCL C
    .language_version:
      - 2
      - 0
    .max_flat_workgroup_size: 32
    .name:           _Z16warp_scan_kernelI12hip_bfloat16Lj32ELj8EENSt9enable_ifIXsr10test_utilsE35device_test_enabled_for_warp_size_vIXT1_EEEvE4typeEPT_S5_S5_S4_
    .private_segment_fixed_size: 0
    .sgpr_count:     16
    .sgpr_spill_count: 0
    .symbol:         _Z16warp_scan_kernelI12hip_bfloat16Lj32ELj8EENSt9enable_ifIXsr10test_utilsE35device_test_enabled_for_warp_size_vIXT1_EEEvE4typeEPT_S5_S5_S4_.kd
    .uniform_work_group_size: 1
    .uses_dynamic_stack: false
    .vgpr_count:     9
    .vgpr_spill_count: 0
    .wavefront_size: 64
  - .args:
      - .address_space:  global
        .offset:         0
        .size:           8
        .value_kind:     global_buffer
      - .address_space:  global
        .offset:         8
        .size:           8
        .value_kind:     global_buffer
      - .address_space:  global
        .offset:         16
        .size:           8
        .value_kind:     global_buffer
      - .offset:         24
        .size:           2
        .value_kind:     by_value
      - .offset:         32
        .size:           4
        .value_kind:     hidden_block_count_x
      - .offset:         36
        .size:           4
        .value_kind:     hidden_block_count_y
      - .offset:         40
        .size:           4
        .value_kind:     hidden_block_count_z
      - .offset:         44
        .size:           2
        .value_kind:     hidden_group_size_x
      - .offset:         46
        .size:           2
        .value_kind:     hidden_group_size_y
      - .offset:         48
        .size:           2
        .value_kind:     hidden_group_size_z
      - .offset:         50
        .size:           2
        .value_kind:     hidden_remainder_x
      - .offset:         52
        .size:           2
        .value_kind:     hidden_remainder_y
      - .offset:         54
        .size:           2
        .value_kind:     hidden_remainder_z
      - .offset:         72
        .size:           8
        .value_kind:     hidden_global_offset_x
      - .offset:         80
        .size:           8
        .value_kind:     hidden_global_offset_y
      - .offset:         88
        .size:           8
        .value_kind:     hidden_global_offset_z
      - .offset:         96
        .size:           2
        .value_kind:     hidden_grid_dims
    .group_segment_fixed_size: 0
    .kernarg_segment_align: 8
    .kernarg_segment_size: 288
    .language:       OpenCL C
    .language_version:
      - 2
      - 0
    .max_flat_workgroup_size: 64
    .name:           _Z16warp_scan_kernelI12hip_bfloat16Lj64ELj8EENSt9enable_ifIXsr10test_utilsE35device_test_enabled_for_warp_size_vIXT1_EEEvE4typeEPT_S5_S5_S4_
    .private_segment_fixed_size: 0
    .sgpr_count:     16
    .sgpr_spill_count: 0
    .symbol:         _Z16warp_scan_kernelI12hip_bfloat16Lj64ELj8EENSt9enable_ifIXsr10test_utilsE35device_test_enabled_for_warp_size_vIXT1_EEEvE4typeEPT_S5_S5_S4_.kd
    .uniform_work_group_size: 1
    .uses_dynamic_stack: false
    .vgpr_count:     9
    .vgpr_spill_count: 0
    .wavefront_size: 64
  - .args:
      - .address_space:  global
        .offset:         0
        .size:           8
        .value_kind:     global_buffer
      - .address_space:  global
        .offset:         8
        .size:           8
        .value_kind:     global_buffer
      - .address_space:  global
        .offset:         16
        .size:           8
        .value_kind:     global_buffer
      - .offset:         24
        .size:           2
        .value_kind:     by_value
      - .offset:         32
        .size:           4
        .value_kind:     hidden_block_count_x
      - .offset:         36
        .size:           4
        .value_kind:     hidden_block_count_y
      - .offset:         40
        .size:           4
        .value_kind:     hidden_block_count_z
      - .offset:         44
        .size:           2
        .value_kind:     hidden_group_size_x
      - .offset:         46
        .size:           2
        .value_kind:     hidden_group_size_y
      - .offset:         48
        .size:           2
        .value_kind:     hidden_group_size_z
      - .offset:         50
        .size:           2
        .value_kind:     hidden_remainder_x
      - .offset:         52
        .size:           2
        .value_kind:     hidden_remainder_y
      - .offset:         54
        .size:           2
        .value_kind:     hidden_remainder_z
      - .offset:         72
        .size:           8
        .value_kind:     hidden_global_offset_x
      - .offset:         80
        .size:           8
        .value_kind:     hidden_global_offset_y
      - .offset:         88
        .size:           8
        .value_kind:     hidden_global_offset_z
      - .offset:         96
        .size:           2
        .value_kind:     hidden_grid_dims
    .group_segment_fixed_size: 0
    .kernarg_segment_align: 8
    .kernarg_segment_size: 288
    .language:       OpenCL C
    .language_version:
      - 2
      - 0
    .max_flat_workgroup_size: 32
    .name:           _Z16warp_scan_kernelI12hip_bfloat16Lj32ELj4EENSt9enable_ifIXsr10test_utilsE35device_test_enabled_for_warp_size_vIXT1_EEEvE4typeEPT_S5_S5_S4_
    .private_segment_fixed_size: 0
    .sgpr_count:     16
    .sgpr_spill_count: 0
    .symbol:         _Z16warp_scan_kernelI12hip_bfloat16Lj32ELj4EENSt9enable_ifIXsr10test_utilsE35device_test_enabled_for_warp_size_vIXT1_EEEvE4typeEPT_S5_S5_S4_.kd
    .uniform_work_group_size: 1
    .uses_dynamic_stack: false
    .vgpr_count:     8
    .vgpr_spill_count: 0
    .wavefront_size: 64
  - .args:
      - .address_space:  global
        .offset:         0
        .size:           8
        .value_kind:     global_buffer
      - .address_space:  global
        .offset:         8
        .size:           8
        .value_kind:     global_buffer
      - .address_space:  global
        .offset:         16
        .size:           8
        .value_kind:     global_buffer
      - .offset:         24
        .size:           2
        .value_kind:     by_value
      - .offset:         32
        .size:           4
        .value_kind:     hidden_block_count_x
      - .offset:         36
        .size:           4
        .value_kind:     hidden_block_count_y
      - .offset:         40
        .size:           4
        .value_kind:     hidden_block_count_z
      - .offset:         44
        .size:           2
        .value_kind:     hidden_group_size_x
      - .offset:         46
        .size:           2
        .value_kind:     hidden_group_size_y
      - .offset:         48
        .size:           2
        .value_kind:     hidden_group_size_z
      - .offset:         50
        .size:           2
        .value_kind:     hidden_remainder_x
      - .offset:         52
        .size:           2
        .value_kind:     hidden_remainder_y
      - .offset:         54
        .size:           2
        .value_kind:     hidden_remainder_z
      - .offset:         72
        .size:           8
        .value_kind:     hidden_global_offset_x
      - .offset:         80
        .size:           8
        .value_kind:     hidden_global_offset_y
      - .offset:         88
        .size:           8
        .value_kind:     hidden_global_offset_z
      - .offset:         96
        .size:           2
        .value_kind:     hidden_grid_dims
    .group_segment_fixed_size: 0
    .kernarg_segment_align: 8
    .kernarg_segment_size: 288
    .language:       OpenCL C
    .language_version:
      - 2
      - 0
    .max_flat_workgroup_size: 64
    .name:           _Z16warp_scan_kernelI12hip_bfloat16Lj64ELj4EENSt9enable_ifIXsr10test_utilsE35device_test_enabled_for_warp_size_vIXT1_EEEvE4typeEPT_S5_S5_S4_
    .private_segment_fixed_size: 0
    .sgpr_count:     16
    .sgpr_spill_count: 0
    .symbol:         _Z16warp_scan_kernelI12hip_bfloat16Lj64ELj4EENSt9enable_ifIXsr10test_utilsE35device_test_enabled_for_warp_size_vIXT1_EEEvE4typeEPT_S5_S5_S4_.kd
    .uniform_work_group_size: 1
    .uses_dynamic_stack: false
    .vgpr_count:     8
    .vgpr_spill_count: 0
    .wavefront_size: 64
  - .args:
      - .address_space:  global
        .offset:         0
        .size:           8
        .value_kind:     global_buffer
      - .address_space:  global
        .offset:         8
        .size:           8
        .value_kind:     global_buffer
      - .address_space:  global
        .offset:         16
        .size:           8
        .value_kind:     global_buffer
      - .offset:         24
        .size:           2
        .value_kind:     by_value
      - .offset:         32
        .size:           4
        .value_kind:     hidden_block_count_x
      - .offset:         36
        .size:           4
        .value_kind:     hidden_block_count_y
      - .offset:         40
        .size:           4
        .value_kind:     hidden_block_count_z
      - .offset:         44
        .size:           2
        .value_kind:     hidden_group_size_x
      - .offset:         46
        .size:           2
        .value_kind:     hidden_group_size_y
      - .offset:         48
        .size:           2
        .value_kind:     hidden_group_size_z
      - .offset:         50
        .size:           2
        .value_kind:     hidden_remainder_x
      - .offset:         52
        .size:           2
        .value_kind:     hidden_remainder_y
      - .offset:         54
        .size:           2
        .value_kind:     hidden_remainder_z
      - .offset:         72
        .size:           8
        .value_kind:     hidden_global_offset_x
      - .offset:         80
        .size:           8
        .value_kind:     hidden_global_offset_y
      - .offset:         88
        .size:           8
        .value_kind:     hidden_global_offset_z
      - .offset:         96
        .size:           2
        .value_kind:     hidden_grid_dims
    .group_segment_fixed_size: 0
    .kernarg_segment_align: 8
    .kernarg_segment_size: 288
    .language:       OpenCL C
    .language_version:
      - 2
      - 0
    .max_flat_workgroup_size: 32
    .name:           _Z16warp_scan_kernelI12hip_bfloat16Lj32ELj2EENSt9enable_ifIXsr10test_utilsE35device_test_enabled_for_warp_size_vIXT1_EEEvE4typeEPT_S5_S5_S4_
    .private_segment_fixed_size: 0
    .sgpr_count:     14
    .sgpr_spill_count: 0
    .symbol:         _Z16warp_scan_kernelI12hip_bfloat16Lj32ELj2EENSt9enable_ifIXsr10test_utilsE35device_test_enabled_for_warp_size_vIXT1_EEEvE4typeEPT_S5_S5_S4_.kd
    .uniform_work_group_size: 1
    .uses_dynamic_stack: false
    .vgpr_count:     8
    .vgpr_spill_count: 0
    .wavefront_size: 64
  - .args:
      - .address_space:  global
        .offset:         0
        .size:           8
        .value_kind:     global_buffer
      - .address_space:  global
        .offset:         8
        .size:           8
        .value_kind:     global_buffer
      - .address_space:  global
        .offset:         16
        .size:           8
        .value_kind:     global_buffer
      - .offset:         24
        .size:           2
        .value_kind:     by_value
      - .offset:         32
        .size:           4
        .value_kind:     hidden_block_count_x
      - .offset:         36
        .size:           4
        .value_kind:     hidden_block_count_y
      - .offset:         40
        .size:           4
        .value_kind:     hidden_block_count_z
      - .offset:         44
        .size:           2
        .value_kind:     hidden_group_size_x
      - .offset:         46
        .size:           2
        .value_kind:     hidden_group_size_y
      - .offset:         48
        .size:           2
        .value_kind:     hidden_group_size_z
      - .offset:         50
        .size:           2
        .value_kind:     hidden_remainder_x
      - .offset:         52
        .size:           2
        .value_kind:     hidden_remainder_y
      - .offset:         54
        .size:           2
        .value_kind:     hidden_remainder_z
      - .offset:         72
        .size:           8
        .value_kind:     hidden_global_offset_x
      - .offset:         80
        .size:           8
        .value_kind:     hidden_global_offset_y
      - .offset:         88
        .size:           8
        .value_kind:     hidden_global_offset_z
      - .offset:         96
        .size:           2
        .value_kind:     hidden_grid_dims
    .group_segment_fixed_size: 0
    .kernarg_segment_align: 8
    .kernarg_segment_size: 288
    .language:       OpenCL C
    .language_version:
      - 2
      - 0
    .max_flat_workgroup_size: 64
    .name:           _Z16warp_scan_kernelI12hip_bfloat16Lj64ELj2EENSt9enable_ifIXsr10test_utilsE35device_test_enabled_for_warp_size_vIXT1_EEEvE4typeEPT_S5_S5_S4_
    .private_segment_fixed_size: 0
    .sgpr_count:     14
    .sgpr_spill_count: 0
    .symbol:         _Z16warp_scan_kernelI12hip_bfloat16Lj64ELj2EENSt9enable_ifIXsr10test_utilsE35device_test_enabled_for_warp_size_vIXT1_EEEvE4typeEPT_S5_S5_S4_.kd
    .uniform_work_group_size: 1
    .uses_dynamic_stack: false
    .vgpr_count:     8
    .vgpr_spill_count: 0
    .wavefront_size: 64
  - .args:
      - .address_space:  global
        .offset:         0
        .size:           8
        .value_kind:     global_buffer
      - .address_space:  global
        .offset:         8
        .size:           8
        .value_kind:     global_buffer
      - .address_space:  global
        .offset:         16
        .size:           8
        .value_kind:     global_buffer
      - .offset:         24
        .size:           2
        .value_kind:     by_value
      - .offset:         32
        .size:           4
        .value_kind:     hidden_block_count_x
      - .offset:         36
        .size:           4
        .value_kind:     hidden_block_count_y
      - .offset:         40
        .size:           4
        .value_kind:     hidden_block_count_z
      - .offset:         44
        .size:           2
        .value_kind:     hidden_group_size_x
      - .offset:         46
        .size:           2
        .value_kind:     hidden_group_size_y
      - .offset:         48
        .size:           2
        .value_kind:     hidden_group_size_z
      - .offset:         50
        .size:           2
        .value_kind:     hidden_remainder_x
      - .offset:         52
        .size:           2
        .value_kind:     hidden_remainder_y
      - .offset:         54
        .size:           2
        .value_kind:     hidden_remainder_z
      - .offset:         72
        .size:           8
        .value_kind:     hidden_global_offset_x
      - .offset:         80
        .size:           8
        .value_kind:     hidden_global_offset_y
      - .offset:         88
        .size:           8
        .value_kind:     hidden_global_offset_z
      - .offset:         96
        .size:           2
        .value_kind:     hidden_grid_dims
    .group_segment_fixed_size: 0
    .kernarg_segment_align: 8
    .kernarg_segment_size: 288
    .language:       OpenCL C
    .language_version:
      - 2
      - 0
    .max_flat_workgroup_size: 256
    .name:           _Z16warp_scan_kernelI6__halfLj256ELj64EENSt9enable_ifIXsr10test_utilsE35device_test_enabled_for_warp_size_vIXT1_EEEvE4typeEPT_S5_S5_S4_
    .private_segment_fixed_size: 0
    .sgpr_count:     14
    .sgpr_spill_count: 0
    .symbol:         _Z16warp_scan_kernelI6__halfLj256ELj64EENSt9enable_ifIXsr10test_utilsE35device_test_enabled_for_warp_size_vIXT1_EEEvE4typeEPT_S5_S5_S4_.kd
    .uniform_work_group_size: 1
    .uses_dynamic_stack: false
    .vgpr_count:     11
    .vgpr_spill_count: 0
    .wavefront_size: 64
  - .args:
      - .address_space:  global
        .offset:         0
        .size:           8
        .value_kind:     global_buffer
      - .address_space:  global
        .offset:         8
        .size:           8
        .value_kind:     global_buffer
      - .address_space:  global
        .offset:         16
        .size:           8
        .value_kind:     global_buffer
      - .offset:         24
        .size:           2
        .value_kind:     by_value
      - .offset:         32
        .size:           4
        .value_kind:     hidden_block_count_x
      - .offset:         36
        .size:           4
        .value_kind:     hidden_block_count_y
      - .offset:         40
        .size:           4
        .value_kind:     hidden_block_count_z
      - .offset:         44
        .size:           2
        .value_kind:     hidden_group_size_x
      - .offset:         46
        .size:           2
        .value_kind:     hidden_group_size_y
      - .offset:         48
        .size:           2
        .value_kind:     hidden_group_size_z
      - .offset:         50
        .size:           2
        .value_kind:     hidden_remainder_x
      - .offset:         52
        .size:           2
        .value_kind:     hidden_remainder_y
      - .offset:         54
        .size:           2
        .value_kind:     hidden_remainder_z
      - .offset:         72
        .size:           8
        .value_kind:     hidden_global_offset_x
      - .offset:         80
        .size:           8
        .value_kind:     hidden_global_offset_y
      - .offset:         88
        .size:           8
        .value_kind:     hidden_global_offset_z
      - .offset:         96
        .size:           2
        .value_kind:     hidden_grid_dims
    .group_segment_fixed_size: 0
    .kernarg_segment_align: 8
    .kernarg_segment_size: 288
    .language:       OpenCL C
    .language_version:
      - 2
      - 0
    .max_flat_workgroup_size: 128
    .name:           _Z16warp_scan_kernelI6__halfLj128ELj32EENSt9enable_ifIXsr10test_utilsE35device_test_enabled_for_warp_size_vIXT1_EEEvE4typeEPT_S5_S5_S4_
    .private_segment_fixed_size: 0
    .sgpr_count:     14
    .sgpr_spill_count: 0
    .symbol:         _Z16warp_scan_kernelI6__halfLj128ELj32EENSt9enable_ifIXsr10test_utilsE35device_test_enabled_for_warp_size_vIXT1_EEEvE4typeEPT_S5_S5_S4_.kd
    .uniform_work_group_size: 1
    .uses_dynamic_stack: false
    .vgpr_count:     11
    .vgpr_spill_count: 0
    .wavefront_size: 64
  - .args:
      - .address_space:  global
        .offset:         0
        .size:           8
        .value_kind:     global_buffer
      - .address_space:  global
        .offset:         8
        .size:           8
        .value_kind:     global_buffer
      - .address_space:  global
        .offset:         16
        .size:           8
        .value_kind:     global_buffer
      - .offset:         24
        .size:           2
        .value_kind:     by_value
      - .offset:         32
        .size:           4
        .value_kind:     hidden_block_count_x
      - .offset:         36
        .size:           4
        .value_kind:     hidden_block_count_y
      - .offset:         40
        .size:           4
        .value_kind:     hidden_block_count_z
      - .offset:         44
        .size:           2
        .value_kind:     hidden_group_size_x
      - .offset:         46
        .size:           2
        .value_kind:     hidden_group_size_y
      - .offset:         48
        .size:           2
        .value_kind:     hidden_group_size_z
      - .offset:         50
        .size:           2
        .value_kind:     hidden_remainder_x
      - .offset:         52
        .size:           2
        .value_kind:     hidden_remainder_y
      - .offset:         54
        .size:           2
        .value_kind:     hidden_remainder_z
      - .offset:         72
        .size:           8
        .value_kind:     hidden_global_offset_x
      - .offset:         80
        .size:           8
        .value_kind:     hidden_global_offset_y
      - .offset:         88
        .size:           8
        .value_kind:     hidden_global_offset_z
      - .offset:         96
        .size:           2
        .value_kind:     hidden_grid_dims
    .group_segment_fixed_size: 0
    .kernarg_segment_align: 8
    .kernarg_segment_size: 288
    .language:       OpenCL C
    .language_version:
      - 2
      - 0
    .max_flat_workgroup_size: 64
    .name:           _Z16warp_scan_kernelI6__halfLj64ELj16EENSt9enable_ifIXsr10test_utilsE35device_test_enabled_for_warp_size_vIXT1_EEEvE4typeEPT_S5_S5_S4_
    .private_segment_fixed_size: 0
    .sgpr_count:     14
    .sgpr_spill_count: 0
    .symbol:         _Z16warp_scan_kernelI6__halfLj64ELj16EENSt9enable_ifIXsr10test_utilsE35device_test_enabled_for_warp_size_vIXT1_EEEvE4typeEPT_S5_S5_S4_.kd
    .uniform_work_group_size: 1
    .uses_dynamic_stack: false
    .vgpr_count:     9
    .vgpr_spill_count: 0
    .wavefront_size: 64
  - .args:
      - .address_space:  global
        .offset:         0
        .size:           8
        .value_kind:     global_buffer
      - .address_space:  global
        .offset:         8
        .size:           8
        .value_kind:     global_buffer
      - .address_space:  global
        .offset:         16
        .size:           8
        .value_kind:     global_buffer
      - .offset:         24
        .size:           2
        .value_kind:     by_value
      - .offset:         32
        .size:           4
        .value_kind:     hidden_block_count_x
      - .offset:         36
        .size:           4
        .value_kind:     hidden_block_count_y
      - .offset:         40
        .size:           4
        .value_kind:     hidden_block_count_z
      - .offset:         44
        .size:           2
        .value_kind:     hidden_group_size_x
      - .offset:         46
        .size:           2
        .value_kind:     hidden_group_size_y
      - .offset:         48
        .size:           2
        .value_kind:     hidden_group_size_z
      - .offset:         50
        .size:           2
        .value_kind:     hidden_remainder_x
      - .offset:         52
        .size:           2
        .value_kind:     hidden_remainder_y
      - .offset:         54
        .size:           2
        .value_kind:     hidden_remainder_z
      - .offset:         72
        .size:           8
        .value_kind:     hidden_global_offset_x
      - .offset:         80
        .size:           8
        .value_kind:     hidden_global_offset_y
      - .offset:         88
        .size:           8
        .value_kind:     hidden_global_offset_z
      - .offset:         96
        .size:           2
        .value_kind:     hidden_grid_dims
    .group_segment_fixed_size: 0
    .kernarg_segment_align: 8
    .kernarg_segment_size: 288
    .language:       OpenCL C
    .language_version:
      - 2
      - 0
    .max_flat_workgroup_size: 32
    .name:           _Z16warp_scan_kernelI6__halfLj32ELj8EENSt9enable_ifIXsr10test_utilsE35device_test_enabled_for_warp_size_vIXT1_EEEvE4typeEPT_S5_S5_S4_
    .private_segment_fixed_size: 0
    .sgpr_count:     14
    .sgpr_spill_count: 0
    .symbol:         _Z16warp_scan_kernelI6__halfLj32ELj8EENSt9enable_ifIXsr10test_utilsE35device_test_enabled_for_warp_size_vIXT1_EEEvE4typeEPT_S5_S5_S4_.kd
    .uniform_work_group_size: 1
    .uses_dynamic_stack: false
    .vgpr_count:     9
    .vgpr_spill_count: 0
    .wavefront_size: 64
  - .args:
      - .address_space:  global
        .offset:         0
        .size:           8
        .value_kind:     global_buffer
      - .address_space:  global
        .offset:         8
        .size:           8
        .value_kind:     global_buffer
      - .address_space:  global
        .offset:         16
        .size:           8
        .value_kind:     global_buffer
      - .offset:         24
        .size:           2
        .value_kind:     by_value
      - .offset:         32
        .size:           4
        .value_kind:     hidden_block_count_x
      - .offset:         36
        .size:           4
        .value_kind:     hidden_block_count_y
      - .offset:         40
        .size:           4
        .value_kind:     hidden_block_count_z
      - .offset:         44
        .size:           2
        .value_kind:     hidden_group_size_x
      - .offset:         46
        .size:           2
        .value_kind:     hidden_group_size_y
      - .offset:         48
        .size:           2
        .value_kind:     hidden_group_size_z
      - .offset:         50
        .size:           2
        .value_kind:     hidden_remainder_x
      - .offset:         52
        .size:           2
        .value_kind:     hidden_remainder_y
      - .offset:         54
        .size:           2
        .value_kind:     hidden_remainder_z
      - .offset:         72
        .size:           8
        .value_kind:     hidden_global_offset_x
      - .offset:         80
        .size:           8
        .value_kind:     hidden_global_offset_y
      - .offset:         88
        .size:           8
        .value_kind:     hidden_global_offset_z
      - .offset:         96
        .size:           2
        .value_kind:     hidden_grid_dims
    .group_segment_fixed_size: 0
    .kernarg_segment_align: 8
    .kernarg_segment_size: 288
    .language:       OpenCL C
    .language_version:
      - 2
      - 0
    .max_flat_workgroup_size: 64
    .name:           _Z16warp_scan_kernelI6__halfLj64ELj8EENSt9enable_ifIXsr10test_utilsE35device_test_enabled_for_warp_size_vIXT1_EEEvE4typeEPT_S5_S5_S4_
    .private_segment_fixed_size: 0
    .sgpr_count:     14
    .sgpr_spill_count: 0
    .symbol:         _Z16warp_scan_kernelI6__halfLj64ELj8EENSt9enable_ifIXsr10test_utilsE35device_test_enabled_for_warp_size_vIXT1_EEEvE4typeEPT_S5_S5_S4_.kd
    .uniform_work_group_size: 1
    .uses_dynamic_stack: false
    .vgpr_count:     9
    .vgpr_spill_count: 0
    .wavefront_size: 64
  - .args:
      - .address_space:  global
        .offset:         0
        .size:           8
        .value_kind:     global_buffer
      - .address_space:  global
        .offset:         8
        .size:           8
        .value_kind:     global_buffer
      - .address_space:  global
        .offset:         16
        .size:           8
        .value_kind:     global_buffer
      - .offset:         24
        .size:           2
        .value_kind:     by_value
      - .offset:         32
        .size:           4
        .value_kind:     hidden_block_count_x
      - .offset:         36
        .size:           4
        .value_kind:     hidden_block_count_y
      - .offset:         40
        .size:           4
        .value_kind:     hidden_block_count_z
      - .offset:         44
        .size:           2
        .value_kind:     hidden_group_size_x
      - .offset:         46
        .size:           2
        .value_kind:     hidden_group_size_y
      - .offset:         48
        .size:           2
        .value_kind:     hidden_group_size_z
      - .offset:         50
        .size:           2
        .value_kind:     hidden_remainder_x
      - .offset:         52
        .size:           2
        .value_kind:     hidden_remainder_y
      - .offset:         54
        .size:           2
        .value_kind:     hidden_remainder_z
      - .offset:         72
        .size:           8
        .value_kind:     hidden_global_offset_x
      - .offset:         80
        .size:           8
        .value_kind:     hidden_global_offset_y
      - .offset:         88
        .size:           8
        .value_kind:     hidden_global_offset_z
      - .offset:         96
        .size:           2
        .value_kind:     hidden_grid_dims
    .group_segment_fixed_size: 0
    .kernarg_segment_align: 8
    .kernarg_segment_size: 288
    .language:       OpenCL C
    .language_version:
      - 2
      - 0
    .max_flat_workgroup_size: 32
    .name:           _Z16warp_scan_kernelI6__halfLj32ELj4EENSt9enable_ifIXsr10test_utilsE35device_test_enabled_for_warp_size_vIXT1_EEEvE4typeEPT_S5_S5_S4_
    .private_segment_fixed_size: 0
    .sgpr_count:     14
    .sgpr_spill_count: 0
    .symbol:         _Z16warp_scan_kernelI6__halfLj32ELj4EENSt9enable_ifIXsr10test_utilsE35device_test_enabled_for_warp_size_vIXT1_EEEvE4typeEPT_S5_S5_S4_.kd
    .uniform_work_group_size: 1
    .uses_dynamic_stack: false
    .vgpr_count:     9
    .vgpr_spill_count: 0
    .wavefront_size: 64
  - .args:
      - .address_space:  global
        .offset:         0
        .size:           8
        .value_kind:     global_buffer
      - .address_space:  global
        .offset:         8
        .size:           8
        .value_kind:     global_buffer
      - .address_space:  global
        .offset:         16
        .size:           8
        .value_kind:     global_buffer
      - .offset:         24
        .size:           2
        .value_kind:     by_value
      - .offset:         32
        .size:           4
        .value_kind:     hidden_block_count_x
      - .offset:         36
        .size:           4
        .value_kind:     hidden_block_count_y
      - .offset:         40
        .size:           4
        .value_kind:     hidden_block_count_z
      - .offset:         44
        .size:           2
        .value_kind:     hidden_group_size_x
      - .offset:         46
        .size:           2
        .value_kind:     hidden_group_size_y
      - .offset:         48
        .size:           2
        .value_kind:     hidden_group_size_z
      - .offset:         50
        .size:           2
        .value_kind:     hidden_remainder_x
      - .offset:         52
        .size:           2
        .value_kind:     hidden_remainder_y
      - .offset:         54
        .size:           2
        .value_kind:     hidden_remainder_z
      - .offset:         72
        .size:           8
        .value_kind:     hidden_global_offset_x
      - .offset:         80
        .size:           8
        .value_kind:     hidden_global_offset_y
      - .offset:         88
        .size:           8
        .value_kind:     hidden_global_offset_z
      - .offset:         96
        .size:           2
        .value_kind:     hidden_grid_dims
    .group_segment_fixed_size: 0
    .kernarg_segment_align: 8
    .kernarg_segment_size: 288
    .language:       OpenCL C
    .language_version:
      - 2
      - 0
    .max_flat_workgroup_size: 64
    .name:           _Z16warp_scan_kernelI6__halfLj64ELj4EENSt9enable_ifIXsr10test_utilsE35device_test_enabled_for_warp_size_vIXT1_EEEvE4typeEPT_S5_S5_S4_
    .private_segment_fixed_size: 0
    .sgpr_count:     14
    .sgpr_spill_count: 0
    .symbol:         _Z16warp_scan_kernelI6__halfLj64ELj4EENSt9enable_ifIXsr10test_utilsE35device_test_enabled_for_warp_size_vIXT1_EEEvE4typeEPT_S5_S5_S4_.kd
    .uniform_work_group_size: 1
    .uses_dynamic_stack: false
    .vgpr_count:     9
    .vgpr_spill_count: 0
    .wavefront_size: 64
  - .args:
      - .address_space:  global
        .offset:         0
        .size:           8
        .value_kind:     global_buffer
      - .address_space:  global
        .offset:         8
        .size:           8
        .value_kind:     global_buffer
      - .address_space:  global
        .offset:         16
        .size:           8
        .value_kind:     global_buffer
      - .offset:         24
        .size:           2
        .value_kind:     by_value
      - .offset:         32
        .size:           4
        .value_kind:     hidden_block_count_x
      - .offset:         36
        .size:           4
        .value_kind:     hidden_block_count_y
      - .offset:         40
        .size:           4
        .value_kind:     hidden_block_count_z
      - .offset:         44
        .size:           2
        .value_kind:     hidden_group_size_x
      - .offset:         46
        .size:           2
        .value_kind:     hidden_group_size_y
      - .offset:         48
        .size:           2
        .value_kind:     hidden_group_size_z
      - .offset:         50
        .size:           2
        .value_kind:     hidden_remainder_x
      - .offset:         52
        .size:           2
        .value_kind:     hidden_remainder_y
      - .offset:         54
        .size:           2
        .value_kind:     hidden_remainder_z
      - .offset:         72
        .size:           8
        .value_kind:     hidden_global_offset_x
      - .offset:         80
        .size:           8
        .value_kind:     hidden_global_offset_y
      - .offset:         88
        .size:           8
        .value_kind:     hidden_global_offset_z
      - .offset:         96
        .size:           2
        .value_kind:     hidden_grid_dims
    .group_segment_fixed_size: 0
    .kernarg_segment_align: 8
    .kernarg_segment_size: 288
    .language:       OpenCL C
    .language_version:
      - 2
      - 0
    .max_flat_workgroup_size: 32
    .name:           _Z16warp_scan_kernelI6__halfLj32ELj2EENSt9enable_ifIXsr10test_utilsE35device_test_enabled_for_warp_size_vIXT1_EEEvE4typeEPT_S5_S5_S4_
    .private_segment_fixed_size: 0
    .sgpr_count:     14
    .sgpr_spill_count: 0
    .symbol:         _Z16warp_scan_kernelI6__halfLj32ELj2EENSt9enable_ifIXsr10test_utilsE35device_test_enabled_for_warp_size_vIXT1_EEEvE4typeEPT_S5_S5_S4_.kd
    .uniform_work_group_size: 1
    .uses_dynamic_stack: false
    .vgpr_count:     9
    .vgpr_spill_count: 0
    .wavefront_size: 64
  - .args:
      - .address_space:  global
        .offset:         0
        .size:           8
        .value_kind:     global_buffer
      - .address_space:  global
        .offset:         8
        .size:           8
        .value_kind:     global_buffer
      - .address_space:  global
        .offset:         16
        .size:           8
        .value_kind:     global_buffer
      - .offset:         24
        .size:           2
        .value_kind:     by_value
      - .offset:         32
        .size:           4
        .value_kind:     hidden_block_count_x
      - .offset:         36
        .size:           4
        .value_kind:     hidden_block_count_y
      - .offset:         40
        .size:           4
        .value_kind:     hidden_block_count_z
      - .offset:         44
        .size:           2
        .value_kind:     hidden_group_size_x
      - .offset:         46
        .size:           2
        .value_kind:     hidden_group_size_y
      - .offset:         48
        .size:           2
        .value_kind:     hidden_group_size_z
      - .offset:         50
        .size:           2
        .value_kind:     hidden_remainder_x
      - .offset:         52
        .size:           2
        .value_kind:     hidden_remainder_y
      - .offset:         54
        .size:           2
        .value_kind:     hidden_remainder_z
      - .offset:         72
        .size:           8
        .value_kind:     hidden_global_offset_x
      - .offset:         80
        .size:           8
        .value_kind:     hidden_global_offset_y
      - .offset:         88
        .size:           8
        .value_kind:     hidden_global_offset_z
      - .offset:         96
        .size:           2
        .value_kind:     hidden_grid_dims
    .group_segment_fixed_size: 0
    .kernarg_segment_align: 8
    .kernarg_segment_size: 288
    .language:       OpenCL C
    .language_version:
      - 2
      - 0
    .max_flat_workgroup_size: 64
    .name:           _Z16warp_scan_kernelI6__halfLj64ELj2EENSt9enable_ifIXsr10test_utilsE35device_test_enabled_for_warp_size_vIXT1_EEEvE4typeEPT_S5_S5_S4_
    .private_segment_fixed_size: 0
    .sgpr_count:     14
    .sgpr_spill_count: 0
    .symbol:         _Z16warp_scan_kernelI6__halfLj64ELj2EENSt9enable_ifIXsr10test_utilsE35device_test_enabled_for_warp_size_vIXT1_EEEvE4typeEPT_S5_S5_S4_.kd
    .uniform_work_group_size: 1
    .uses_dynamic_stack: false
    .vgpr_count:     9
    .vgpr_spill_count: 0
    .wavefront_size: 64
  - .args:
      - .address_space:  global
        .offset:         0
        .size:           8
        .value_kind:     global_buffer
      - .address_space:  global
        .offset:         8
        .size:           8
        .value_kind:     global_buffer
      - .address_space:  global
        .offset:         16
        .size:           8
        .value_kind:     global_buffer
      - .offset:         24
        .size:           4
        .value_kind:     by_value
      - .offset:         32
        .size:           4
        .value_kind:     hidden_block_count_x
      - .offset:         36
        .size:           4
        .value_kind:     hidden_block_count_y
      - .offset:         40
        .size:           4
        .value_kind:     hidden_block_count_z
      - .offset:         44
        .size:           2
        .value_kind:     hidden_group_size_x
      - .offset:         46
        .size:           2
        .value_kind:     hidden_group_size_y
      - .offset:         48
        .size:           2
        .value_kind:     hidden_group_size_z
      - .offset:         50
        .size:           2
        .value_kind:     hidden_remainder_x
      - .offset:         52
        .size:           2
        .value_kind:     hidden_remainder_y
      - .offset:         54
        .size:           2
        .value_kind:     hidden_remainder_z
      - .offset:         72
        .size:           8
        .value_kind:     hidden_global_offset_x
      - .offset:         80
        .size:           8
        .value_kind:     hidden_global_offset_y
      - .offset:         88
        .size:           8
        .value_kind:     hidden_global_offset_z
      - .offset:         96
        .size:           2
        .value_kind:     hidden_grid_dims
    .group_segment_fixed_size: 0
    .kernarg_segment_align: 8
    .kernarg_segment_size: 288
    .language:       OpenCL C
    .language_version:
      - 2
      - 0
    .max_flat_workgroup_size: 256
    .name:           _Z16warp_scan_kernelIfLj256ELj64EENSt9enable_ifIXsr10test_utilsE35device_test_enabled_for_warp_size_vIXT1_EEEvE4typeEPT_S4_S4_S3_
    .private_segment_fixed_size: 0
    .sgpr_count:     14
    .sgpr_spill_count: 0
    .symbol:         _Z16warp_scan_kernelIfLj256ELj64EENSt9enable_ifIXsr10test_utilsE35device_test_enabled_for_warp_size_vIXT1_EEEvE4typeEPT_S4_S4_S3_.kd
    .uniform_work_group_size: 1
    .uses_dynamic_stack: false
    .vgpr_count:     11
    .vgpr_spill_count: 0
    .wavefront_size: 64
  - .args:
      - .address_space:  global
        .offset:         0
        .size:           8
        .value_kind:     global_buffer
      - .address_space:  global
        .offset:         8
        .size:           8
        .value_kind:     global_buffer
      - .address_space:  global
        .offset:         16
        .size:           8
        .value_kind:     global_buffer
      - .offset:         24
        .size:           4
        .value_kind:     by_value
      - .offset:         32
        .size:           4
        .value_kind:     hidden_block_count_x
      - .offset:         36
        .size:           4
        .value_kind:     hidden_block_count_y
      - .offset:         40
        .size:           4
        .value_kind:     hidden_block_count_z
      - .offset:         44
        .size:           2
        .value_kind:     hidden_group_size_x
      - .offset:         46
        .size:           2
        .value_kind:     hidden_group_size_y
      - .offset:         48
        .size:           2
        .value_kind:     hidden_group_size_z
      - .offset:         50
        .size:           2
        .value_kind:     hidden_remainder_x
      - .offset:         52
        .size:           2
        .value_kind:     hidden_remainder_y
      - .offset:         54
        .size:           2
        .value_kind:     hidden_remainder_z
      - .offset:         72
        .size:           8
        .value_kind:     hidden_global_offset_x
      - .offset:         80
        .size:           8
        .value_kind:     hidden_global_offset_y
      - .offset:         88
        .size:           8
        .value_kind:     hidden_global_offset_z
      - .offset:         96
        .size:           2
        .value_kind:     hidden_grid_dims
    .group_segment_fixed_size: 0
    .kernarg_segment_align: 8
    .kernarg_segment_size: 288
    .language:       OpenCL C
    .language_version:
      - 2
      - 0
    .max_flat_workgroup_size: 128
    .name:           _Z16warp_scan_kernelIfLj128ELj32EENSt9enable_ifIXsr10test_utilsE35device_test_enabled_for_warp_size_vIXT1_EEEvE4typeEPT_S4_S4_S3_
    .private_segment_fixed_size: 0
    .sgpr_count:     14
    .sgpr_spill_count: 0
    .symbol:         _Z16warp_scan_kernelIfLj128ELj32EENSt9enable_ifIXsr10test_utilsE35device_test_enabled_for_warp_size_vIXT1_EEEvE4typeEPT_S4_S4_S3_.kd
    .uniform_work_group_size: 1
    .uses_dynamic_stack: false
    .vgpr_count:     11
    .vgpr_spill_count: 0
    .wavefront_size: 64
  - .args:
      - .address_space:  global
        .offset:         0
        .size:           8
        .value_kind:     global_buffer
      - .address_space:  global
        .offset:         8
        .size:           8
        .value_kind:     global_buffer
      - .address_space:  global
        .offset:         16
        .size:           8
        .value_kind:     global_buffer
      - .offset:         24
        .size:           4
        .value_kind:     by_value
      - .offset:         32
        .size:           4
        .value_kind:     hidden_block_count_x
      - .offset:         36
        .size:           4
        .value_kind:     hidden_block_count_y
      - .offset:         40
        .size:           4
        .value_kind:     hidden_block_count_z
      - .offset:         44
        .size:           2
        .value_kind:     hidden_group_size_x
      - .offset:         46
        .size:           2
        .value_kind:     hidden_group_size_y
      - .offset:         48
        .size:           2
        .value_kind:     hidden_group_size_z
      - .offset:         50
        .size:           2
        .value_kind:     hidden_remainder_x
      - .offset:         52
        .size:           2
        .value_kind:     hidden_remainder_y
      - .offset:         54
        .size:           2
        .value_kind:     hidden_remainder_z
      - .offset:         72
        .size:           8
        .value_kind:     hidden_global_offset_x
      - .offset:         80
        .size:           8
        .value_kind:     hidden_global_offset_y
      - .offset:         88
        .size:           8
        .value_kind:     hidden_global_offset_z
      - .offset:         96
        .size:           2
        .value_kind:     hidden_grid_dims
    .group_segment_fixed_size: 0
    .kernarg_segment_align: 8
    .kernarg_segment_size: 288
    .language:       OpenCL C
    .language_version:
      - 2
      - 0
    .max_flat_workgroup_size: 64
    .name:           _Z16warp_scan_kernelIfLj64ELj16EENSt9enable_ifIXsr10test_utilsE35device_test_enabled_for_warp_size_vIXT1_EEEvE4typeEPT_S4_S4_S3_
    .private_segment_fixed_size: 0
    .sgpr_count:     14
    .sgpr_spill_count: 0
    .symbol:         _Z16warp_scan_kernelIfLj64ELj16EENSt9enable_ifIXsr10test_utilsE35device_test_enabled_for_warp_size_vIXT1_EEEvE4typeEPT_S4_S4_S3_.kd
    .uniform_work_group_size: 1
    .uses_dynamic_stack: false
    .vgpr_count:     9
    .vgpr_spill_count: 0
    .wavefront_size: 64
  - .args:
      - .address_space:  global
        .offset:         0
        .size:           8
        .value_kind:     global_buffer
      - .address_space:  global
        .offset:         8
        .size:           8
        .value_kind:     global_buffer
      - .address_space:  global
        .offset:         16
        .size:           8
        .value_kind:     global_buffer
      - .offset:         24
        .size:           4
        .value_kind:     by_value
      - .offset:         32
        .size:           4
        .value_kind:     hidden_block_count_x
      - .offset:         36
        .size:           4
        .value_kind:     hidden_block_count_y
      - .offset:         40
        .size:           4
        .value_kind:     hidden_block_count_z
      - .offset:         44
        .size:           2
        .value_kind:     hidden_group_size_x
      - .offset:         46
        .size:           2
        .value_kind:     hidden_group_size_y
      - .offset:         48
        .size:           2
        .value_kind:     hidden_group_size_z
      - .offset:         50
        .size:           2
        .value_kind:     hidden_remainder_x
      - .offset:         52
        .size:           2
        .value_kind:     hidden_remainder_y
      - .offset:         54
        .size:           2
        .value_kind:     hidden_remainder_z
      - .offset:         72
        .size:           8
        .value_kind:     hidden_global_offset_x
      - .offset:         80
        .size:           8
        .value_kind:     hidden_global_offset_y
      - .offset:         88
        .size:           8
        .value_kind:     hidden_global_offset_z
      - .offset:         96
        .size:           2
        .value_kind:     hidden_grid_dims
    .group_segment_fixed_size: 0
    .kernarg_segment_align: 8
    .kernarg_segment_size: 288
    .language:       OpenCL C
    .language_version:
      - 2
      - 0
    .max_flat_workgroup_size: 32
    .name:           _Z16warp_scan_kernelIfLj32ELj8EENSt9enable_ifIXsr10test_utilsE35device_test_enabled_for_warp_size_vIXT1_EEEvE4typeEPT_S4_S4_S3_
    .private_segment_fixed_size: 0
    .sgpr_count:     14
    .sgpr_spill_count: 0
    .symbol:         _Z16warp_scan_kernelIfLj32ELj8EENSt9enable_ifIXsr10test_utilsE35device_test_enabled_for_warp_size_vIXT1_EEEvE4typeEPT_S4_S4_S3_.kd
    .uniform_work_group_size: 1
    .uses_dynamic_stack: false
    .vgpr_count:     9
    .vgpr_spill_count: 0
    .wavefront_size: 64
  - .args:
      - .address_space:  global
        .offset:         0
        .size:           8
        .value_kind:     global_buffer
      - .address_space:  global
        .offset:         8
        .size:           8
        .value_kind:     global_buffer
      - .address_space:  global
        .offset:         16
        .size:           8
        .value_kind:     global_buffer
      - .offset:         24
        .size:           4
        .value_kind:     by_value
      - .offset:         32
        .size:           4
        .value_kind:     hidden_block_count_x
      - .offset:         36
        .size:           4
        .value_kind:     hidden_block_count_y
      - .offset:         40
        .size:           4
        .value_kind:     hidden_block_count_z
      - .offset:         44
        .size:           2
        .value_kind:     hidden_group_size_x
      - .offset:         46
        .size:           2
        .value_kind:     hidden_group_size_y
      - .offset:         48
        .size:           2
        .value_kind:     hidden_group_size_z
      - .offset:         50
        .size:           2
        .value_kind:     hidden_remainder_x
      - .offset:         52
        .size:           2
        .value_kind:     hidden_remainder_y
      - .offset:         54
        .size:           2
        .value_kind:     hidden_remainder_z
      - .offset:         72
        .size:           8
        .value_kind:     hidden_global_offset_x
      - .offset:         80
        .size:           8
        .value_kind:     hidden_global_offset_y
      - .offset:         88
        .size:           8
        .value_kind:     hidden_global_offset_z
      - .offset:         96
        .size:           2
        .value_kind:     hidden_grid_dims
    .group_segment_fixed_size: 0
    .kernarg_segment_align: 8
    .kernarg_segment_size: 288
    .language:       OpenCL C
    .language_version:
      - 2
      - 0
    .max_flat_workgroup_size: 64
    .name:           _Z16warp_scan_kernelIfLj64ELj8EENSt9enable_ifIXsr10test_utilsE35device_test_enabled_for_warp_size_vIXT1_EEEvE4typeEPT_S4_S4_S3_
    .private_segment_fixed_size: 0
    .sgpr_count:     14
    .sgpr_spill_count: 0
    .symbol:         _Z16warp_scan_kernelIfLj64ELj8EENSt9enable_ifIXsr10test_utilsE35device_test_enabled_for_warp_size_vIXT1_EEEvE4typeEPT_S4_S4_S3_.kd
    .uniform_work_group_size: 1
    .uses_dynamic_stack: false
    .vgpr_count:     9
    .vgpr_spill_count: 0
    .wavefront_size: 64
  - .args:
      - .address_space:  global
        .offset:         0
        .size:           8
        .value_kind:     global_buffer
      - .address_space:  global
        .offset:         8
        .size:           8
        .value_kind:     global_buffer
      - .address_space:  global
        .offset:         16
        .size:           8
        .value_kind:     global_buffer
      - .offset:         24
        .size:           4
        .value_kind:     by_value
      - .offset:         32
        .size:           4
        .value_kind:     hidden_block_count_x
      - .offset:         36
        .size:           4
        .value_kind:     hidden_block_count_y
      - .offset:         40
        .size:           4
        .value_kind:     hidden_block_count_z
      - .offset:         44
        .size:           2
        .value_kind:     hidden_group_size_x
      - .offset:         46
        .size:           2
        .value_kind:     hidden_group_size_y
      - .offset:         48
        .size:           2
        .value_kind:     hidden_group_size_z
      - .offset:         50
        .size:           2
        .value_kind:     hidden_remainder_x
      - .offset:         52
        .size:           2
        .value_kind:     hidden_remainder_y
      - .offset:         54
        .size:           2
        .value_kind:     hidden_remainder_z
      - .offset:         72
        .size:           8
        .value_kind:     hidden_global_offset_x
      - .offset:         80
        .size:           8
        .value_kind:     hidden_global_offset_y
      - .offset:         88
        .size:           8
        .value_kind:     hidden_global_offset_z
      - .offset:         96
        .size:           2
        .value_kind:     hidden_grid_dims
    .group_segment_fixed_size: 0
    .kernarg_segment_align: 8
    .kernarg_segment_size: 288
    .language:       OpenCL C
    .language_version:
      - 2
      - 0
    .max_flat_workgroup_size: 32
    .name:           _Z16warp_scan_kernelIfLj32ELj4EENSt9enable_ifIXsr10test_utilsE35device_test_enabled_for_warp_size_vIXT1_EEEvE4typeEPT_S4_S4_S3_
    .private_segment_fixed_size: 0
    .sgpr_count:     14
    .sgpr_spill_count: 0
    .symbol:         _Z16warp_scan_kernelIfLj32ELj4EENSt9enable_ifIXsr10test_utilsE35device_test_enabled_for_warp_size_vIXT1_EEEvE4typeEPT_S4_S4_S3_.kd
    .uniform_work_group_size: 1
    .uses_dynamic_stack: false
    .vgpr_count:     9
    .vgpr_spill_count: 0
    .wavefront_size: 64
  - .args:
      - .address_space:  global
        .offset:         0
        .size:           8
        .value_kind:     global_buffer
      - .address_space:  global
        .offset:         8
        .size:           8
        .value_kind:     global_buffer
      - .address_space:  global
        .offset:         16
        .size:           8
        .value_kind:     global_buffer
      - .offset:         24
        .size:           4
        .value_kind:     by_value
      - .offset:         32
        .size:           4
        .value_kind:     hidden_block_count_x
      - .offset:         36
        .size:           4
        .value_kind:     hidden_block_count_y
      - .offset:         40
        .size:           4
        .value_kind:     hidden_block_count_z
      - .offset:         44
        .size:           2
        .value_kind:     hidden_group_size_x
      - .offset:         46
        .size:           2
        .value_kind:     hidden_group_size_y
      - .offset:         48
        .size:           2
        .value_kind:     hidden_group_size_z
      - .offset:         50
        .size:           2
        .value_kind:     hidden_remainder_x
      - .offset:         52
        .size:           2
        .value_kind:     hidden_remainder_y
      - .offset:         54
        .size:           2
        .value_kind:     hidden_remainder_z
      - .offset:         72
        .size:           8
        .value_kind:     hidden_global_offset_x
      - .offset:         80
        .size:           8
        .value_kind:     hidden_global_offset_y
      - .offset:         88
        .size:           8
        .value_kind:     hidden_global_offset_z
      - .offset:         96
        .size:           2
        .value_kind:     hidden_grid_dims
    .group_segment_fixed_size: 0
    .kernarg_segment_align: 8
    .kernarg_segment_size: 288
    .language:       OpenCL C
    .language_version:
      - 2
      - 0
    .max_flat_workgroup_size: 64
    .name:           _Z16warp_scan_kernelIfLj64ELj4EENSt9enable_ifIXsr10test_utilsE35device_test_enabled_for_warp_size_vIXT1_EEEvE4typeEPT_S4_S4_S3_
    .private_segment_fixed_size: 0
    .sgpr_count:     14
    .sgpr_spill_count: 0
    .symbol:         _Z16warp_scan_kernelIfLj64ELj4EENSt9enable_ifIXsr10test_utilsE35device_test_enabled_for_warp_size_vIXT1_EEEvE4typeEPT_S4_S4_S3_.kd
    .uniform_work_group_size: 1
    .uses_dynamic_stack: false
    .vgpr_count:     9
    .vgpr_spill_count: 0
    .wavefront_size: 64
  - .args:
      - .address_space:  global
        .offset:         0
        .size:           8
        .value_kind:     global_buffer
      - .address_space:  global
        .offset:         8
        .size:           8
        .value_kind:     global_buffer
      - .address_space:  global
        .offset:         16
        .size:           8
        .value_kind:     global_buffer
      - .offset:         24
        .size:           4
        .value_kind:     by_value
      - .offset:         32
        .size:           4
        .value_kind:     hidden_block_count_x
      - .offset:         36
        .size:           4
        .value_kind:     hidden_block_count_y
      - .offset:         40
        .size:           4
        .value_kind:     hidden_block_count_z
      - .offset:         44
        .size:           2
        .value_kind:     hidden_group_size_x
      - .offset:         46
        .size:           2
        .value_kind:     hidden_group_size_y
      - .offset:         48
        .size:           2
        .value_kind:     hidden_group_size_z
      - .offset:         50
        .size:           2
        .value_kind:     hidden_remainder_x
      - .offset:         52
        .size:           2
        .value_kind:     hidden_remainder_y
      - .offset:         54
        .size:           2
        .value_kind:     hidden_remainder_z
      - .offset:         72
        .size:           8
        .value_kind:     hidden_global_offset_x
      - .offset:         80
        .size:           8
        .value_kind:     hidden_global_offset_y
      - .offset:         88
        .size:           8
        .value_kind:     hidden_global_offset_z
      - .offset:         96
        .size:           2
        .value_kind:     hidden_grid_dims
    .group_segment_fixed_size: 0
    .kernarg_segment_align: 8
    .kernarg_segment_size: 288
    .language:       OpenCL C
    .language_version:
      - 2
      - 0
    .max_flat_workgroup_size: 32
    .name:           _Z16warp_scan_kernelIfLj32ELj2EENSt9enable_ifIXsr10test_utilsE35device_test_enabled_for_warp_size_vIXT1_EEEvE4typeEPT_S4_S4_S3_
    .private_segment_fixed_size: 0
    .sgpr_count:     14
    .sgpr_spill_count: 0
    .symbol:         _Z16warp_scan_kernelIfLj32ELj2EENSt9enable_ifIXsr10test_utilsE35device_test_enabled_for_warp_size_vIXT1_EEEvE4typeEPT_S4_S4_S3_.kd
    .uniform_work_group_size: 1
    .uses_dynamic_stack: false
    .vgpr_count:     9
    .vgpr_spill_count: 0
    .wavefront_size: 64
  - .args:
      - .address_space:  global
        .offset:         0
        .size:           8
        .value_kind:     global_buffer
      - .address_space:  global
        .offset:         8
        .size:           8
        .value_kind:     global_buffer
      - .address_space:  global
        .offset:         16
        .size:           8
        .value_kind:     global_buffer
      - .offset:         24
        .size:           4
        .value_kind:     by_value
      - .offset:         32
        .size:           4
        .value_kind:     hidden_block_count_x
      - .offset:         36
        .size:           4
        .value_kind:     hidden_block_count_y
      - .offset:         40
        .size:           4
        .value_kind:     hidden_block_count_z
      - .offset:         44
        .size:           2
        .value_kind:     hidden_group_size_x
      - .offset:         46
        .size:           2
        .value_kind:     hidden_group_size_y
      - .offset:         48
        .size:           2
        .value_kind:     hidden_group_size_z
      - .offset:         50
        .size:           2
        .value_kind:     hidden_remainder_x
      - .offset:         52
        .size:           2
        .value_kind:     hidden_remainder_y
      - .offset:         54
        .size:           2
        .value_kind:     hidden_remainder_z
      - .offset:         72
        .size:           8
        .value_kind:     hidden_global_offset_x
      - .offset:         80
        .size:           8
        .value_kind:     hidden_global_offset_y
      - .offset:         88
        .size:           8
        .value_kind:     hidden_global_offset_z
      - .offset:         96
        .size:           2
        .value_kind:     hidden_grid_dims
    .group_segment_fixed_size: 0
    .kernarg_segment_align: 8
    .kernarg_segment_size: 288
    .language:       OpenCL C
    .language_version:
      - 2
      - 0
    .max_flat_workgroup_size: 64
    .name:           _Z16warp_scan_kernelIfLj64ELj2EENSt9enable_ifIXsr10test_utilsE35device_test_enabled_for_warp_size_vIXT1_EEEvE4typeEPT_S4_S4_S3_
    .private_segment_fixed_size: 0
    .sgpr_count:     14
    .sgpr_spill_count: 0
    .symbol:         _Z16warp_scan_kernelIfLj64ELj2EENSt9enable_ifIXsr10test_utilsE35device_test_enabled_for_warp_size_vIXT1_EEEvE4typeEPT_S4_S4_S3_.kd
    .uniform_work_group_size: 1
    .uses_dynamic_stack: false
    .vgpr_count:     9
    .vgpr_spill_count: 0
    .wavefront_size: 64
  - .args:
      - .address_space:  global
        .offset:         0
        .size:           8
        .value_kind:     global_buffer
      - .address_space:  global
        .offset:         8
        .size:           8
        .value_kind:     global_buffer
      - .address_space:  global
        .offset:         16
        .size:           8
        .value_kind:     global_buffer
      - .offset:         24
        .size:           4
        .value_kind:     by_value
      - .offset:         32
        .size:           4
        .value_kind:     hidden_block_count_x
      - .offset:         36
        .size:           4
        .value_kind:     hidden_block_count_y
      - .offset:         40
        .size:           4
        .value_kind:     hidden_block_count_z
      - .offset:         44
        .size:           2
        .value_kind:     hidden_group_size_x
      - .offset:         46
        .size:           2
        .value_kind:     hidden_group_size_y
      - .offset:         48
        .size:           2
        .value_kind:     hidden_group_size_z
      - .offset:         50
        .size:           2
        .value_kind:     hidden_remainder_x
      - .offset:         52
        .size:           2
        .value_kind:     hidden_remainder_y
      - .offset:         54
        .size:           2
        .value_kind:     hidden_remainder_z
      - .offset:         72
        .size:           8
        .value_kind:     hidden_global_offset_x
      - .offset:         80
        .size:           8
        .value_kind:     hidden_global_offset_y
      - .offset:         88
        .size:           8
        .value_kind:     hidden_global_offset_z
      - .offset:         96
        .size:           2
        .value_kind:     hidden_grid_dims
    .group_segment_fixed_size: 0
    .kernarg_segment_align: 8
    .kernarg_segment_size: 288
    .language:       OpenCL C
    .language_version:
      - 2
      - 0
    .max_flat_workgroup_size: 256
    .name:           _Z16warp_scan_kernelIiLj256ELj64EENSt9enable_ifIXsr10test_utilsE35device_test_enabled_for_warp_size_vIXT1_EEEvE4typeEPT_S4_S4_S3_
    .private_segment_fixed_size: 0
    .sgpr_count:     14
    .sgpr_spill_count: 0
    .symbol:         _Z16warp_scan_kernelIiLj256ELj64EENSt9enable_ifIXsr10test_utilsE35device_test_enabled_for_warp_size_vIXT1_EEEvE4typeEPT_S4_S4_S3_.kd
    .uniform_work_group_size: 1
    .uses_dynamic_stack: false
    .vgpr_count:     11
    .vgpr_spill_count: 0
    .wavefront_size: 64
  - .args:
      - .address_space:  global
        .offset:         0
        .size:           8
        .value_kind:     global_buffer
      - .address_space:  global
        .offset:         8
        .size:           8
        .value_kind:     global_buffer
      - .address_space:  global
        .offset:         16
        .size:           8
        .value_kind:     global_buffer
      - .offset:         24
        .size:           4
        .value_kind:     by_value
      - .offset:         32
        .size:           4
        .value_kind:     hidden_block_count_x
      - .offset:         36
        .size:           4
        .value_kind:     hidden_block_count_y
      - .offset:         40
        .size:           4
        .value_kind:     hidden_block_count_z
      - .offset:         44
        .size:           2
        .value_kind:     hidden_group_size_x
      - .offset:         46
        .size:           2
        .value_kind:     hidden_group_size_y
      - .offset:         48
        .size:           2
        .value_kind:     hidden_group_size_z
      - .offset:         50
        .size:           2
        .value_kind:     hidden_remainder_x
      - .offset:         52
        .size:           2
        .value_kind:     hidden_remainder_y
      - .offset:         54
        .size:           2
        .value_kind:     hidden_remainder_z
      - .offset:         72
        .size:           8
        .value_kind:     hidden_global_offset_x
      - .offset:         80
        .size:           8
        .value_kind:     hidden_global_offset_y
      - .offset:         88
        .size:           8
        .value_kind:     hidden_global_offset_z
      - .offset:         96
        .size:           2
        .value_kind:     hidden_grid_dims
    .group_segment_fixed_size: 0
    .kernarg_segment_align: 8
    .kernarg_segment_size: 288
    .language:       OpenCL C
    .language_version:
      - 2
      - 0
    .max_flat_workgroup_size: 128
    .name:           _Z16warp_scan_kernelIiLj128ELj32EENSt9enable_ifIXsr10test_utilsE35device_test_enabled_for_warp_size_vIXT1_EEEvE4typeEPT_S4_S4_S3_
    .private_segment_fixed_size: 0
    .sgpr_count:     14
    .sgpr_spill_count: 0
    .symbol:         _Z16warp_scan_kernelIiLj128ELj32EENSt9enable_ifIXsr10test_utilsE35device_test_enabled_for_warp_size_vIXT1_EEEvE4typeEPT_S4_S4_S3_.kd
    .uniform_work_group_size: 1
    .uses_dynamic_stack: false
    .vgpr_count:     11
    .vgpr_spill_count: 0
    .wavefront_size: 64
  - .args:
      - .address_space:  global
        .offset:         0
        .size:           8
        .value_kind:     global_buffer
      - .address_space:  global
        .offset:         8
        .size:           8
        .value_kind:     global_buffer
      - .address_space:  global
        .offset:         16
        .size:           8
        .value_kind:     global_buffer
      - .offset:         24
        .size:           4
        .value_kind:     by_value
      - .offset:         32
        .size:           4
        .value_kind:     hidden_block_count_x
      - .offset:         36
        .size:           4
        .value_kind:     hidden_block_count_y
      - .offset:         40
        .size:           4
        .value_kind:     hidden_block_count_z
      - .offset:         44
        .size:           2
        .value_kind:     hidden_group_size_x
      - .offset:         46
        .size:           2
        .value_kind:     hidden_group_size_y
      - .offset:         48
        .size:           2
        .value_kind:     hidden_group_size_z
      - .offset:         50
        .size:           2
        .value_kind:     hidden_remainder_x
      - .offset:         52
        .size:           2
        .value_kind:     hidden_remainder_y
      - .offset:         54
        .size:           2
        .value_kind:     hidden_remainder_z
      - .offset:         72
        .size:           8
        .value_kind:     hidden_global_offset_x
      - .offset:         80
        .size:           8
        .value_kind:     hidden_global_offset_y
      - .offset:         88
        .size:           8
        .value_kind:     hidden_global_offset_z
      - .offset:         96
        .size:           2
        .value_kind:     hidden_grid_dims
    .group_segment_fixed_size: 0
    .kernarg_segment_align: 8
    .kernarg_segment_size: 288
    .language:       OpenCL C
    .language_version:
      - 2
      - 0
    .max_flat_workgroup_size: 64
    .name:           _Z16warp_scan_kernelIiLj64ELj16EENSt9enable_ifIXsr10test_utilsE35device_test_enabled_for_warp_size_vIXT1_EEEvE4typeEPT_S4_S4_S3_
    .private_segment_fixed_size: 0
    .sgpr_count:     14
    .sgpr_spill_count: 0
    .symbol:         _Z16warp_scan_kernelIiLj64ELj16EENSt9enable_ifIXsr10test_utilsE35device_test_enabled_for_warp_size_vIXT1_EEEvE4typeEPT_S4_S4_S3_.kd
    .uniform_work_group_size: 1
    .uses_dynamic_stack: false
    .vgpr_count:     9
    .vgpr_spill_count: 0
    .wavefront_size: 64
  - .args:
      - .address_space:  global
        .offset:         0
        .size:           8
        .value_kind:     global_buffer
      - .address_space:  global
        .offset:         8
        .size:           8
        .value_kind:     global_buffer
      - .address_space:  global
        .offset:         16
        .size:           8
        .value_kind:     global_buffer
      - .offset:         24
        .size:           4
        .value_kind:     by_value
      - .offset:         32
        .size:           4
        .value_kind:     hidden_block_count_x
      - .offset:         36
        .size:           4
        .value_kind:     hidden_block_count_y
      - .offset:         40
        .size:           4
        .value_kind:     hidden_block_count_z
      - .offset:         44
        .size:           2
        .value_kind:     hidden_group_size_x
      - .offset:         46
        .size:           2
        .value_kind:     hidden_group_size_y
      - .offset:         48
        .size:           2
        .value_kind:     hidden_group_size_z
      - .offset:         50
        .size:           2
        .value_kind:     hidden_remainder_x
      - .offset:         52
        .size:           2
        .value_kind:     hidden_remainder_y
      - .offset:         54
        .size:           2
        .value_kind:     hidden_remainder_z
      - .offset:         72
        .size:           8
        .value_kind:     hidden_global_offset_x
      - .offset:         80
        .size:           8
        .value_kind:     hidden_global_offset_y
      - .offset:         88
        .size:           8
        .value_kind:     hidden_global_offset_z
      - .offset:         96
        .size:           2
        .value_kind:     hidden_grid_dims
    .group_segment_fixed_size: 0
    .kernarg_segment_align: 8
    .kernarg_segment_size: 288
    .language:       OpenCL C
    .language_version:
      - 2
      - 0
    .max_flat_workgroup_size: 32
    .name:           _Z16warp_scan_kernelIiLj32ELj8EENSt9enable_ifIXsr10test_utilsE35device_test_enabled_for_warp_size_vIXT1_EEEvE4typeEPT_S4_S4_S3_
    .private_segment_fixed_size: 0
    .sgpr_count:     14
    .sgpr_spill_count: 0
    .symbol:         _Z16warp_scan_kernelIiLj32ELj8EENSt9enable_ifIXsr10test_utilsE35device_test_enabled_for_warp_size_vIXT1_EEEvE4typeEPT_S4_S4_S3_.kd
    .uniform_work_group_size: 1
    .uses_dynamic_stack: false
    .vgpr_count:     9
    .vgpr_spill_count: 0
    .wavefront_size: 64
  - .args:
      - .address_space:  global
        .offset:         0
        .size:           8
        .value_kind:     global_buffer
      - .address_space:  global
        .offset:         8
        .size:           8
        .value_kind:     global_buffer
      - .address_space:  global
        .offset:         16
        .size:           8
        .value_kind:     global_buffer
      - .offset:         24
        .size:           4
        .value_kind:     by_value
      - .offset:         32
        .size:           4
        .value_kind:     hidden_block_count_x
      - .offset:         36
        .size:           4
        .value_kind:     hidden_block_count_y
      - .offset:         40
        .size:           4
        .value_kind:     hidden_block_count_z
      - .offset:         44
        .size:           2
        .value_kind:     hidden_group_size_x
      - .offset:         46
        .size:           2
        .value_kind:     hidden_group_size_y
      - .offset:         48
        .size:           2
        .value_kind:     hidden_group_size_z
      - .offset:         50
        .size:           2
        .value_kind:     hidden_remainder_x
      - .offset:         52
        .size:           2
        .value_kind:     hidden_remainder_y
      - .offset:         54
        .size:           2
        .value_kind:     hidden_remainder_z
      - .offset:         72
        .size:           8
        .value_kind:     hidden_global_offset_x
      - .offset:         80
        .size:           8
        .value_kind:     hidden_global_offset_y
      - .offset:         88
        .size:           8
        .value_kind:     hidden_global_offset_z
      - .offset:         96
        .size:           2
        .value_kind:     hidden_grid_dims
    .group_segment_fixed_size: 0
    .kernarg_segment_align: 8
    .kernarg_segment_size: 288
    .language:       OpenCL C
    .language_version:
      - 2
      - 0
    .max_flat_workgroup_size: 64
    .name:           _Z16warp_scan_kernelIiLj64ELj8EENSt9enable_ifIXsr10test_utilsE35device_test_enabled_for_warp_size_vIXT1_EEEvE4typeEPT_S4_S4_S3_
    .private_segment_fixed_size: 0
    .sgpr_count:     14
    .sgpr_spill_count: 0
    .symbol:         _Z16warp_scan_kernelIiLj64ELj8EENSt9enable_ifIXsr10test_utilsE35device_test_enabled_for_warp_size_vIXT1_EEEvE4typeEPT_S4_S4_S3_.kd
    .uniform_work_group_size: 1
    .uses_dynamic_stack: false
    .vgpr_count:     9
    .vgpr_spill_count: 0
    .wavefront_size: 64
  - .args:
      - .address_space:  global
        .offset:         0
        .size:           8
        .value_kind:     global_buffer
      - .address_space:  global
        .offset:         8
        .size:           8
        .value_kind:     global_buffer
      - .address_space:  global
        .offset:         16
        .size:           8
        .value_kind:     global_buffer
      - .offset:         24
        .size:           4
        .value_kind:     by_value
      - .offset:         32
        .size:           4
        .value_kind:     hidden_block_count_x
      - .offset:         36
        .size:           4
        .value_kind:     hidden_block_count_y
      - .offset:         40
        .size:           4
        .value_kind:     hidden_block_count_z
      - .offset:         44
        .size:           2
        .value_kind:     hidden_group_size_x
      - .offset:         46
        .size:           2
        .value_kind:     hidden_group_size_y
      - .offset:         48
        .size:           2
        .value_kind:     hidden_group_size_z
      - .offset:         50
        .size:           2
        .value_kind:     hidden_remainder_x
      - .offset:         52
        .size:           2
        .value_kind:     hidden_remainder_y
      - .offset:         54
        .size:           2
        .value_kind:     hidden_remainder_z
      - .offset:         72
        .size:           8
        .value_kind:     hidden_global_offset_x
      - .offset:         80
        .size:           8
        .value_kind:     hidden_global_offset_y
      - .offset:         88
        .size:           8
        .value_kind:     hidden_global_offset_z
      - .offset:         96
        .size:           2
        .value_kind:     hidden_grid_dims
    .group_segment_fixed_size: 0
    .kernarg_segment_align: 8
    .kernarg_segment_size: 288
    .language:       OpenCL C
    .language_version:
      - 2
      - 0
    .max_flat_workgroup_size: 32
    .name:           _Z16warp_scan_kernelIiLj32ELj4EENSt9enable_ifIXsr10test_utilsE35device_test_enabled_for_warp_size_vIXT1_EEEvE4typeEPT_S4_S4_S3_
    .private_segment_fixed_size: 0
    .sgpr_count:     14
    .sgpr_spill_count: 0
    .symbol:         _Z16warp_scan_kernelIiLj32ELj4EENSt9enable_ifIXsr10test_utilsE35device_test_enabled_for_warp_size_vIXT1_EEEvE4typeEPT_S4_S4_S3_.kd
    .uniform_work_group_size: 1
    .uses_dynamic_stack: false
    .vgpr_count:     9
    .vgpr_spill_count: 0
    .wavefront_size: 64
  - .args:
      - .address_space:  global
        .offset:         0
        .size:           8
        .value_kind:     global_buffer
      - .address_space:  global
        .offset:         8
        .size:           8
        .value_kind:     global_buffer
      - .address_space:  global
        .offset:         16
        .size:           8
        .value_kind:     global_buffer
      - .offset:         24
        .size:           4
        .value_kind:     by_value
      - .offset:         32
        .size:           4
        .value_kind:     hidden_block_count_x
      - .offset:         36
        .size:           4
        .value_kind:     hidden_block_count_y
      - .offset:         40
        .size:           4
        .value_kind:     hidden_block_count_z
      - .offset:         44
        .size:           2
        .value_kind:     hidden_group_size_x
      - .offset:         46
        .size:           2
        .value_kind:     hidden_group_size_y
      - .offset:         48
        .size:           2
        .value_kind:     hidden_group_size_z
      - .offset:         50
        .size:           2
        .value_kind:     hidden_remainder_x
      - .offset:         52
        .size:           2
        .value_kind:     hidden_remainder_y
      - .offset:         54
        .size:           2
        .value_kind:     hidden_remainder_z
      - .offset:         72
        .size:           8
        .value_kind:     hidden_global_offset_x
      - .offset:         80
        .size:           8
        .value_kind:     hidden_global_offset_y
      - .offset:         88
        .size:           8
        .value_kind:     hidden_global_offset_z
      - .offset:         96
        .size:           2
        .value_kind:     hidden_grid_dims
    .group_segment_fixed_size: 0
    .kernarg_segment_align: 8
    .kernarg_segment_size: 288
    .language:       OpenCL C
    .language_version:
      - 2
      - 0
    .max_flat_workgroup_size: 64
    .name:           _Z16warp_scan_kernelIiLj64ELj4EENSt9enable_ifIXsr10test_utilsE35device_test_enabled_for_warp_size_vIXT1_EEEvE4typeEPT_S4_S4_S3_
    .private_segment_fixed_size: 0
    .sgpr_count:     14
    .sgpr_spill_count: 0
    .symbol:         _Z16warp_scan_kernelIiLj64ELj4EENSt9enable_ifIXsr10test_utilsE35device_test_enabled_for_warp_size_vIXT1_EEEvE4typeEPT_S4_S4_S3_.kd
    .uniform_work_group_size: 1
    .uses_dynamic_stack: false
    .vgpr_count:     9
    .vgpr_spill_count: 0
    .wavefront_size: 64
  - .args:
      - .address_space:  global
        .offset:         0
        .size:           8
        .value_kind:     global_buffer
      - .address_space:  global
        .offset:         8
        .size:           8
        .value_kind:     global_buffer
      - .address_space:  global
        .offset:         16
        .size:           8
        .value_kind:     global_buffer
      - .offset:         24
        .size:           4
        .value_kind:     by_value
      - .offset:         32
        .size:           4
        .value_kind:     hidden_block_count_x
      - .offset:         36
        .size:           4
        .value_kind:     hidden_block_count_y
      - .offset:         40
        .size:           4
        .value_kind:     hidden_block_count_z
      - .offset:         44
        .size:           2
        .value_kind:     hidden_group_size_x
      - .offset:         46
        .size:           2
        .value_kind:     hidden_group_size_y
      - .offset:         48
        .size:           2
        .value_kind:     hidden_group_size_z
      - .offset:         50
        .size:           2
        .value_kind:     hidden_remainder_x
      - .offset:         52
        .size:           2
        .value_kind:     hidden_remainder_y
      - .offset:         54
        .size:           2
        .value_kind:     hidden_remainder_z
      - .offset:         72
        .size:           8
        .value_kind:     hidden_global_offset_x
      - .offset:         80
        .size:           8
        .value_kind:     hidden_global_offset_y
      - .offset:         88
        .size:           8
        .value_kind:     hidden_global_offset_z
      - .offset:         96
        .size:           2
        .value_kind:     hidden_grid_dims
    .group_segment_fixed_size: 0
    .kernarg_segment_align: 8
    .kernarg_segment_size: 288
    .language:       OpenCL C
    .language_version:
      - 2
      - 0
    .max_flat_workgroup_size: 32
    .name:           _Z16warp_scan_kernelIiLj32ELj2EENSt9enable_ifIXsr10test_utilsE35device_test_enabled_for_warp_size_vIXT1_EEEvE4typeEPT_S4_S4_S3_
    .private_segment_fixed_size: 0
    .sgpr_count:     14
    .sgpr_spill_count: 0
    .symbol:         _Z16warp_scan_kernelIiLj32ELj2EENSt9enable_ifIXsr10test_utilsE35device_test_enabled_for_warp_size_vIXT1_EEEvE4typeEPT_S4_S4_S3_.kd
    .uniform_work_group_size: 1
    .uses_dynamic_stack: false
    .vgpr_count:     10
    .vgpr_spill_count: 0
    .wavefront_size: 64
  - .args:
      - .address_space:  global
        .offset:         0
        .size:           8
        .value_kind:     global_buffer
      - .address_space:  global
        .offset:         8
        .size:           8
        .value_kind:     global_buffer
      - .address_space:  global
        .offset:         16
        .size:           8
        .value_kind:     global_buffer
      - .offset:         24
        .size:           4
        .value_kind:     by_value
      - .offset:         32
        .size:           4
        .value_kind:     hidden_block_count_x
      - .offset:         36
        .size:           4
        .value_kind:     hidden_block_count_y
      - .offset:         40
        .size:           4
        .value_kind:     hidden_block_count_z
      - .offset:         44
        .size:           2
        .value_kind:     hidden_group_size_x
      - .offset:         46
        .size:           2
        .value_kind:     hidden_group_size_y
      - .offset:         48
        .size:           2
        .value_kind:     hidden_group_size_z
      - .offset:         50
        .size:           2
        .value_kind:     hidden_remainder_x
      - .offset:         52
        .size:           2
        .value_kind:     hidden_remainder_y
      - .offset:         54
        .size:           2
        .value_kind:     hidden_remainder_z
      - .offset:         72
        .size:           8
        .value_kind:     hidden_global_offset_x
      - .offset:         80
        .size:           8
        .value_kind:     hidden_global_offset_y
      - .offset:         88
        .size:           8
        .value_kind:     hidden_global_offset_z
      - .offset:         96
        .size:           2
        .value_kind:     hidden_grid_dims
    .group_segment_fixed_size: 0
    .kernarg_segment_align: 8
    .kernarg_segment_size: 288
    .language:       OpenCL C
    .language_version:
      - 2
      - 0
    .max_flat_workgroup_size: 64
    .name:           _Z16warp_scan_kernelIiLj64ELj2EENSt9enable_ifIXsr10test_utilsE35device_test_enabled_for_warp_size_vIXT1_EEEvE4typeEPT_S4_S4_S3_
    .private_segment_fixed_size: 0
    .sgpr_count:     14
    .sgpr_spill_count: 0
    .symbol:         _Z16warp_scan_kernelIiLj64ELj2EENSt9enable_ifIXsr10test_utilsE35device_test_enabled_for_warp_size_vIXT1_EEEvE4typeEPT_S4_S4_S3_.kd
    .uniform_work_group_size: 1
    .uses_dynamic_stack: false
    .vgpr_count:     10
    .vgpr_spill_count: 0
    .wavefront_size: 64
  - .args:
      - .address_space:  global
        .offset:         0
        .size:           8
        .value_kind:     global_buffer
      - .address_space:  global
        .offset:         8
        .size:           8
        .value_kind:     global_buffer
      - .offset:         16
        .size:           4
        .value_kind:     hidden_block_count_x
      - .offset:         20
        .size:           4
        .value_kind:     hidden_block_count_y
      - .offset:         24
        .size:           4
        .value_kind:     hidden_block_count_z
      - .offset:         28
        .size:           2
        .value_kind:     hidden_group_size_x
      - .offset:         30
        .size:           2
        .value_kind:     hidden_group_size_y
      - .offset:         32
        .size:           2
        .value_kind:     hidden_group_size_z
      - .offset:         34
        .size:           2
        .value_kind:     hidden_remainder_x
      - .offset:         36
        .size:           2
        .value_kind:     hidden_remainder_y
      - .offset:         38
        .size:           2
        .value_kind:     hidden_remainder_z
      - .offset:         56
        .size:           8
        .value_kind:     hidden_global_offset_x
      - .offset:         64
        .size:           8
        .value_kind:     hidden_global_offset_y
      - .offset:         72
        .size:           8
        .value_kind:     hidden_global_offset_z
      - .offset:         80
        .size:           2
        .value_kind:     hidden_grid_dims
    .group_segment_fixed_size: 488
    .kernarg_segment_align: 8
    .kernarg_segment_size: 272
    .language:       OpenCL C
    .language_version:
      - 2
      - 0
    .max_flat_workgroup_size: 1
    .name:           _Z26warp_inclusive_scan_kernelIN10test_utils16custom_test_typeIfEELj1ELj61EENSt9enable_ifIXsr10test_utilsE35device_test_enabled_for_warp_size_vIXT1_EEEvE4typeEPT_S7_
    .private_segment_fixed_size: 0
    .sgpr_count:     14
    .sgpr_spill_count: 0
    .symbol:         _Z26warp_inclusive_scan_kernelIN10test_utils16custom_test_typeIfEELj1ELj61EENSt9enable_ifIXsr10test_utilsE35device_test_enabled_for_warp_size_vIXT1_EEEvE4typeEPT_S7_.kd
    .uniform_work_group_size: 1
    .uses_dynamic_stack: false
    .vgpr_count:     5
    .vgpr_spill_count: 0
    .wavefront_size: 64
  - .args:
      - .address_space:  global
        .offset:         0
        .size:           8
        .value_kind:     global_buffer
      - .address_space:  global
        .offset:         8
        .size:           8
        .value_kind:     global_buffer
      - .offset:         16
        .size:           4
        .value_kind:     hidden_block_count_x
      - .offset:         20
        .size:           4
        .value_kind:     hidden_block_count_y
      - .offset:         24
        .size:           4
        .value_kind:     hidden_block_count_z
      - .offset:         28
        .size:           2
        .value_kind:     hidden_group_size_x
      - .offset:         30
        .size:           2
        .value_kind:     hidden_group_size_y
      - .offset:         32
        .size:           2
        .value_kind:     hidden_group_size_z
      - .offset:         34
        .size:           2
        .value_kind:     hidden_remainder_x
      - .offset:         36
        .size:           2
        .value_kind:     hidden_remainder_y
      - .offset:         38
        .size:           2
        .value_kind:     hidden_remainder_z
      - .offset:         56
        .size:           8
        .value_kind:     hidden_global_offset_x
      - .offset:         64
        .size:           8
        .value_kind:     hidden_global_offset_y
      - .offset:         72
        .size:           8
        .value_kind:     hidden_global_offset_z
      - .offset:         80
        .size:           2
        .value_kind:     hidden_grid_dims
    .group_segment_fixed_size: 488
    .kernarg_segment_align: 8
    .kernarg_segment_size: 272
    .language:       OpenCL C
    .language_version:
      - 2
      - 0
    .max_flat_workgroup_size: 61
    .name:           _Z26warp_inclusive_scan_kernelIN10test_utils16custom_test_typeIfEELj61ELj61EENSt9enable_ifIXsr10test_utilsE35device_test_enabled_for_warp_size_vIXT1_EEEvE4typeEPT_S7_
    .private_segment_fixed_size: 0
    .sgpr_count:     12
    .sgpr_spill_count: 0
    .symbol:         _Z26warp_inclusive_scan_kernelIN10test_utils16custom_test_typeIfEELj61ELj61EENSt9enable_ifIXsr10test_utilsE35device_test_enabled_for_warp_size_vIXT1_EEEvE4typeEPT_S7_.kd
    .uniform_work_group_size: 1
    .uses_dynamic_stack: false
    .vgpr_count:     8
    .vgpr_spill_count: 0
    .wavefront_size: 64
  - .args:
      - .address_space:  global
        .offset:         0
        .size:           8
        .value_kind:     global_buffer
      - .address_space:  global
        .offset:         8
        .size:           8
        .value_kind:     global_buffer
      - .offset:         16
        .size:           4
        .value_kind:     hidden_block_count_x
      - .offset:         20
        .size:           4
        .value_kind:     hidden_block_count_y
      - .offset:         24
        .size:           4
        .value_kind:     hidden_block_count_z
      - .offset:         28
        .size:           2
        .value_kind:     hidden_group_size_x
      - .offset:         30
        .size:           2
        .value_kind:     hidden_group_size_y
      - .offset:         32
        .size:           2
        .value_kind:     hidden_group_size_z
      - .offset:         34
        .size:           2
        .value_kind:     hidden_remainder_x
      - .offset:         36
        .size:           2
        .value_kind:     hidden_remainder_y
      - .offset:         38
        .size:           2
        .value_kind:     hidden_remainder_z
      - .offset:         56
        .size:           8
        .value_kind:     hidden_global_offset_x
      - .offset:         64
        .size:           8
        .value_kind:     hidden_global_offset_y
      - .offset:         72
        .size:           8
        .value_kind:     hidden_global_offset_z
      - .offset:         80
        .size:           2
        .value_kind:     hidden_grid_dims
    .group_segment_fixed_size: 296
    .kernarg_segment_align: 8
    .kernarg_segment_size: 272
    .language:       OpenCL C
    .language_version:
      - 2
      - 0
    .max_flat_workgroup_size: 1
    .name:           _Z26warp_inclusive_scan_kernelIN10test_utils16custom_test_typeIfEELj1ELj37EENSt9enable_ifIXsr10test_utilsE35device_test_enabled_for_warp_size_vIXT1_EEEvE4typeEPT_S7_
    .private_segment_fixed_size: 0
    .sgpr_count:     14
    .sgpr_spill_count: 0
    .symbol:         _Z26warp_inclusive_scan_kernelIN10test_utils16custom_test_typeIfEELj1ELj37EENSt9enable_ifIXsr10test_utilsE35device_test_enabled_for_warp_size_vIXT1_EEEvE4typeEPT_S7_.kd
    .uniform_work_group_size: 1
    .uses_dynamic_stack: false
    .vgpr_count:     5
    .vgpr_spill_count: 0
    .wavefront_size: 64
  - .args:
      - .address_space:  global
        .offset:         0
        .size:           8
        .value_kind:     global_buffer
      - .address_space:  global
        .offset:         8
        .size:           8
        .value_kind:     global_buffer
      - .offset:         16
        .size:           4
        .value_kind:     hidden_block_count_x
      - .offset:         20
        .size:           4
        .value_kind:     hidden_block_count_y
      - .offset:         24
        .size:           4
        .value_kind:     hidden_block_count_z
      - .offset:         28
        .size:           2
        .value_kind:     hidden_group_size_x
      - .offset:         30
        .size:           2
        .value_kind:     hidden_group_size_y
      - .offset:         32
        .size:           2
        .value_kind:     hidden_group_size_z
      - .offset:         34
        .size:           2
        .value_kind:     hidden_remainder_x
      - .offset:         36
        .size:           2
        .value_kind:     hidden_remainder_y
      - .offset:         38
        .size:           2
        .value_kind:     hidden_remainder_z
      - .offset:         56
        .size:           8
        .value_kind:     hidden_global_offset_x
      - .offset:         64
        .size:           8
        .value_kind:     hidden_global_offset_y
      - .offset:         72
        .size:           8
        .value_kind:     hidden_global_offset_z
      - .offset:         80
        .size:           2
        .value_kind:     hidden_grid_dims
    .group_segment_fixed_size: 296
    .kernarg_segment_align: 8
    .kernarg_segment_size: 272
    .language:       OpenCL C
    .language_version:
      - 2
      - 0
    .max_flat_workgroup_size: 37
    .name:           _Z26warp_inclusive_scan_kernelIN10test_utils16custom_test_typeIfEELj37ELj37EENSt9enable_ifIXsr10test_utilsE35device_test_enabled_for_warp_size_vIXT1_EEEvE4typeEPT_S7_
    .private_segment_fixed_size: 0
    .sgpr_count:     12
    .sgpr_spill_count: 0
    .symbol:         _Z26warp_inclusive_scan_kernelIN10test_utils16custom_test_typeIfEELj37ELj37EENSt9enable_ifIXsr10test_utilsE35device_test_enabled_for_warp_size_vIXT1_EEEvE4typeEPT_S7_.kd
    .uniform_work_group_size: 1
    .uses_dynamic_stack: false
    .vgpr_count:     8
    .vgpr_spill_count: 0
    .wavefront_size: 64
  - .args:
      - .address_space:  global
        .offset:         0
        .size:           8
        .value_kind:     global_buffer
      - .address_space:  global
        .offset:         8
        .size:           8
        .value_kind:     global_buffer
      - .offset:         16
        .size:           4
        .value_kind:     hidden_block_count_x
      - .offset:         20
        .size:           4
        .value_kind:     hidden_block_count_y
      - .offset:         24
        .size:           4
        .value_kind:     hidden_block_count_z
      - .offset:         28
        .size:           2
        .value_kind:     hidden_group_size_x
      - .offset:         30
        .size:           2
        .value_kind:     hidden_group_size_y
      - .offset:         32
        .size:           2
        .value_kind:     hidden_group_size_z
      - .offset:         34
        .size:           2
        .value_kind:     hidden_remainder_x
      - .offset:         36
        .size:           2
        .value_kind:     hidden_remainder_y
      - .offset:         38
        .size:           2
        .value_kind:     hidden_remainder_z
      - .offset:         56
        .size:           8
        .value_kind:     hidden_global_offset_x
      - .offset:         64
        .size:           8
        .value_kind:     hidden_global_offset_y
      - .offset:         72
        .size:           8
        .value_kind:     hidden_global_offset_z
      - .offset:         80
        .size:           2
        .value_kind:     hidden_grid_dims
    .group_segment_fixed_size: 240
    .kernarg_segment_align: 8
    .kernarg_segment_size: 272
    .language:       OpenCL C
    .language_version:
      - 2
      - 0
    .max_flat_workgroup_size: 30
    .name:           _Z26warp_inclusive_scan_kernelIN10test_utils16custom_test_typeIfEELj30ELj15EENSt9enable_ifIXsr10test_utilsE35device_test_enabled_for_warp_size_vIXT1_EEEvE4typeEPT_S7_
    .private_segment_fixed_size: 0
    .sgpr_count:     12
    .sgpr_spill_count: 0
    .symbol:         _Z26warp_inclusive_scan_kernelIN10test_utils16custom_test_typeIfEELj30ELj15EENSt9enable_ifIXsr10test_utilsE35device_test_enabled_for_warp_size_vIXT1_EEEvE4typeEPT_S7_.kd
    .uniform_work_group_size: 1
    .uses_dynamic_stack: false
    .vgpr_count:     8
    .vgpr_spill_count: 0
    .wavefront_size: 64
  - .args:
      - .address_space:  global
        .offset:         0
        .size:           8
        .value_kind:     global_buffer
      - .address_space:  global
        .offset:         8
        .size:           8
        .value_kind:     global_buffer
      - .offset:         16
        .size:           4
        .value_kind:     hidden_block_count_x
      - .offset:         20
        .size:           4
        .value_kind:     hidden_block_count_y
      - .offset:         24
        .size:           4
        .value_kind:     hidden_block_count_z
      - .offset:         28
        .size:           2
        .value_kind:     hidden_group_size_x
      - .offset:         30
        .size:           2
        .value_kind:     hidden_group_size_y
      - .offset:         32
        .size:           2
        .value_kind:     hidden_group_size_z
      - .offset:         34
        .size:           2
        .value_kind:     hidden_remainder_x
      - .offset:         36
        .size:           2
        .value_kind:     hidden_remainder_y
      - .offset:         38
        .size:           2
        .value_kind:     hidden_remainder_z
      - .offset:         56
        .size:           8
        .value_kind:     hidden_global_offset_x
      - .offset:         64
        .size:           8
        .value_kind:     hidden_global_offset_y
      - .offset:         72
        .size:           8
        .value_kind:     hidden_global_offset_z
      - .offset:         80
        .size:           2
        .value_kind:     hidden_grid_dims
    .group_segment_fixed_size: 480
    .kernarg_segment_align: 8
    .kernarg_segment_size: 272
    .language:       OpenCL C
    .language_version:
      - 2
      - 0
    .max_flat_workgroup_size: 60
    .name:           _Z26warp_inclusive_scan_kernelIN10test_utils16custom_test_typeIfEELj60ELj15EENSt9enable_ifIXsr10test_utilsE35device_test_enabled_for_warp_size_vIXT1_EEEvE4typeEPT_S7_
    .private_segment_fixed_size: 0
    .sgpr_count:     12
    .sgpr_spill_count: 0
    .symbol:         _Z26warp_inclusive_scan_kernelIN10test_utils16custom_test_typeIfEELj60ELj15EENSt9enable_ifIXsr10test_utilsE35device_test_enabled_for_warp_size_vIXT1_EEEvE4typeEPT_S7_.kd
    .uniform_work_group_size: 1
    .uses_dynamic_stack: false
    .vgpr_count:     8
    .vgpr_spill_count: 0
    .wavefront_size: 64
  - .args:
      - .address_space:  global
        .offset:         0
        .size:           8
        .value_kind:     global_buffer
      - .address_space:  global
        .offset:         8
        .size:           8
        .value_kind:     global_buffer
      - .offset:         16
        .size:           4
        .value_kind:     hidden_block_count_x
      - .offset:         20
        .size:           4
        .value_kind:     hidden_block_count_y
      - .offset:         24
        .size:           4
        .value_kind:     hidden_block_count_z
      - .offset:         28
        .size:           2
        .value_kind:     hidden_group_size_x
      - .offset:         30
        .size:           2
        .value_kind:     hidden_group_size_y
      - .offset:         32
        .size:           2
        .value_kind:     hidden_group_size_z
      - .offset:         34
        .size:           2
        .value_kind:     hidden_remainder_x
      - .offset:         36
        .size:           2
        .value_kind:     hidden_remainder_y
      - .offset:         38
        .size:           2
        .value_kind:     hidden_remainder_z
      - .offset:         56
        .size:           8
        .value_kind:     hidden_global_offset_x
      - .offset:         64
        .size:           8
        .value_kind:     hidden_global_offset_y
      - .offset:         72
        .size:           8
        .value_kind:     hidden_global_offset_z
      - .offset:         80
        .size:           2
        .value_kind:     hidden_grid_dims
    .group_segment_fixed_size: 224
    .kernarg_segment_align: 8
    .kernarg_segment_size: 272
    .language:       OpenCL C
    .language_version:
      - 2
      - 0
    .max_flat_workgroup_size: 28
    .name:           _Z26warp_inclusive_scan_kernelIN10test_utils16custom_test_typeIfEELj28ELj7EENSt9enable_ifIXsr10test_utilsE35device_test_enabled_for_warp_size_vIXT1_EEEvE4typeEPT_S7_
    .private_segment_fixed_size: 0
    .sgpr_count:     12
    .sgpr_spill_count: 0
    .symbol:         _Z26warp_inclusive_scan_kernelIN10test_utils16custom_test_typeIfEELj28ELj7EENSt9enable_ifIXsr10test_utilsE35device_test_enabled_for_warp_size_vIXT1_EEEvE4typeEPT_S7_.kd
    .uniform_work_group_size: 1
    .uses_dynamic_stack: false
    .vgpr_count:     8
    .vgpr_spill_count: 0
    .wavefront_size: 64
  - .args:
      - .address_space:  global
        .offset:         0
        .size:           8
        .value_kind:     global_buffer
      - .address_space:  global
        .offset:         8
        .size:           8
        .value_kind:     global_buffer
      - .offset:         16
        .size:           4
        .value_kind:     hidden_block_count_x
      - .offset:         20
        .size:           4
        .value_kind:     hidden_block_count_y
      - .offset:         24
        .size:           4
        .value_kind:     hidden_block_count_z
      - .offset:         28
        .size:           2
        .value_kind:     hidden_group_size_x
      - .offset:         30
        .size:           2
        .value_kind:     hidden_group_size_y
      - .offset:         32
        .size:           2
        .value_kind:     hidden_group_size_z
      - .offset:         34
        .size:           2
        .value_kind:     hidden_remainder_x
      - .offset:         36
        .size:           2
        .value_kind:     hidden_remainder_y
      - .offset:         38
        .size:           2
        .value_kind:     hidden_remainder_z
      - .offset:         56
        .size:           8
        .value_kind:     hidden_global_offset_x
      - .offset:         64
        .size:           8
        .value_kind:     hidden_global_offset_y
      - .offset:         72
        .size:           8
        .value_kind:     hidden_global_offset_z
      - .offset:         80
        .size:           2
        .value_kind:     hidden_grid_dims
    .group_segment_fixed_size: 504
    .kernarg_segment_align: 8
    .kernarg_segment_size: 272
    .language:       OpenCL C
    .language_version:
      - 2
      - 0
    .max_flat_workgroup_size: 63
    .name:           _Z26warp_inclusive_scan_kernelIN10test_utils16custom_test_typeIfEELj63ELj7EENSt9enable_ifIXsr10test_utilsE35device_test_enabled_for_warp_size_vIXT1_EEEvE4typeEPT_S7_
    .private_segment_fixed_size: 0
    .sgpr_count:     12
    .sgpr_spill_count: 0
    .symbol:         _Z26warp_inclusive_scan_kernelIN10test_utils16custom_test_typeIfEELj63ELj7EENSt9enable_ifIXsr10test_utilsE35device_test_enabled_for_warp_size_vIXT1_EEEvE4typeEPT_S7_.kd
    .uniform_work_group_size: 1
    .uses_dynamic_stack: false
    .vgpr_count:     8
    .vgpr_spill_count: 0
    .wavefront_size: 64
  - .args:
      - .address_space:  global
        .offset:         0
        .size:           8
        .value_kind:     global_buffer
      - .address_space:  global
        .offset:         8
        .size:           8
        .value_kind:     global_buffer
      - .offset:         16
        .size:           4
        .value_kind:     hidden_block_count_x
      - .offset:         20
        .size:           4
        .value_kind:     hidden_block_count_y
      - .offset:         24
        .size:           4
        .value_kind:     hidden_block_count_z
      - .offset:         28
        .size:           2
        .value_kind:     hidden_group_size_x
      - .offset:         30
        .size:           2
        .value_kind:     hidden_group_size_y
      - .offset:         32
        .size:           2
        .value_kind:     hidden_group_size_z
      - .offset:         34
        .size:           2
        .value_kind:     hidden_remainder_x
      - .offset:         36
        .size:           2
        .value_kind:     hidden_remainder_y
      - .offset:         38
        .size:           2
        .value_kind:     hidden_remainder_z
      - .offset:         56
        .size:           8
        .value_kind:     hidden_global_offset_x
      - .offset:         64
        .size:           8
        .value_kind:     hidden_global_offset_y
      - .offset:         72
        .size:           8
        .value_kind:     hidden_global_offset_z
      - .offset:         80
        .size:           2
        .value_kind:     hidden_grid_dims
    .group_segment_fixed_size: 240
    .kernarg_segment_align: 8
    .kernarg_segment_size: 272
    .language:       OpenCL C
    .language_version:
      - 2
      - 0
    .max_flat_workgroup_size: 30
    .name:           _Z26warp_inclusive_scan_kernelIN10test_utils16custom_test_typeIfEELj30ELj3EENSt9enable_ifIXsr10test_utilsE35device_test_enabled_for_warp_size_vIXT1_EEEvE4typeEPT_S7_
    .private_segment_fixed_size: 0
    .sgpr_count:     12
    .sgpr_spill_count: 0
    .symbol:         _Z26warp_inclusive_scan_kernelIN10test_utils16custom_test_typeIfEELj30ELj3EENSt9enable_ifIXsr10test_utilsE35device_test_enabled_for_warp_size_vIXT1_EEEvE4typeEPT_S7_.kd
    .uniform_work_group_size: 1
    .uses_dynamic_stack: false
    .vgpr_count:     10
    .vgpr_spill_count: 0
    .wavefront_size: 64
  - .args:
      - .address_space:  global
        .offset:         0
        .size:           8
        .value_kind:     global_buffer
      - .address_space:  global
        .offset:         8
        .size:           8
        .value_kind:     global_buffer
      - .offset:         16
        .size:           4
        .value_kind:     hidden_block_count_x
      - .offset:         20
        .size:           4
        .value_kind:     hidden_block_count_y
      - .offset:         24
        .size:           4
        .value_kind:     hidden_block_count_z
      - .offset:         28
        .size:           2
        .value_kind:     hidden_group_size_x
      - .offset:         30
        .size:           2
        .value_kind:     hidden_group_size_y
      - .offset:         32
        .size:           2
        .value_kind:     hidden_group_size_z
      - .offset:         34
        .size:           2
        .value_kind:     hidden_remainder_x
      - .offset:         36
        .size:           2
        .value_kind:     hidden_remainder_y
      - .offset:         38
        .size:           2
        .value_kind:     hidden_remainder_z
      - .offset:         56
        .size:           8
        .value_kind:     hidden_global_offset_x
      - .offset:         64
        .size:           8
        .value_kind:     hidden_global_offset_y
      - .offset:         72
        .size:           8
        .value_kind:     hidden_global_offset_z
      - .offset:         80
        .size:           2
        .value_kind:     hidden_grid_dims
    .group_segment_fixed_size: 504
    .kernarg_segment_align: 8
    .kernarg_segment_size: 272
    .language:       OpenCL C
    .language_version:
      - 2
      - 0
    .max_flat_workgroup_size: 63
    .name:           _Z26warp_inclusive_scan_kernelIN10test_utils16custom_test_typeIfEELj63ELj3EENSt9enable_ifIXsr10test_utilsE35device_test_enabled_for_warp_size_vIXT1_EEEvE4typeEPT_S7_
    .private_segment_fixed_size: 0
    .sgpr_count:     12
    .sgpr_spill_count: 0
    .symbol:         _Z26warp_inclusive_scan_kernelIN10test_utils16custom_test_typeIfEELj63ELj3EENSt9enable_ifIXsr10test_utilsE35device_test_enabled_for_warp_size_vIXT1_EEEvE4typeEPT_S7_.kd
    .uniform_work_group_size: 1
    .uses_dynamic_stack: false
    .vgpr_count:     10
    .vgpr_spill_count: 0
    .wavefront_size: 64
  - .args:
      - .address_space:  global
        .offset:         0
        .size:           8
        .value_kind:     global_buffer
      - .address_space:  global
        .offset:         8
        .size:           8
        .value_kind:     global_buffer
      - .offset:         16
        .size:           4
        .value_kind:     hidden_block_count_x
      - .offset:         20
        .size:           4
        .value_kind:     hidden_block_count_y
      - .offset:         24
        .size:           4
        .value_kind:     hidden_block_count_z
      - .offset:         28
        .size:           2
        .value_kind:     hidden_group_size_x
      - .offset:         30
        .size:           2
        .value_kind:     hidden_group_size_y
      - .offset:         32
        .size:           2
        .value_kind:     hidden_group_size_z
      - .offset:         34
        .size:           2
        .value_kind:     hidden_remainder_x
      - .offset:         36
        .size:           2
        .value_kind:     hidden_remainder_y
      - .offset:         38
        .size:           2
        .value_kind:     hidden_remainder_z
      - .offset:         56
        .size:           8
        .value_kind:     hidden_global_offset_x
      - .offset:         64
        .size:           8
        .value_kind:     hidden_global_offset_y
      - .offset:         72
        .size:           8
        .value_kind:     hidden_global_offset_z
      - .offset:         80
        .size:           2
        .value_kind:     hidden_grid_dims
    .group_segment_fixed_size: 488
    .kernarg_segment_align: 8
    .kernarg_segment_size: 272
    .language:       OpenCL C
    .language_version:
      - 2
      - 0
    .max_flat_workgroup_size: 1
    .name:           _Z26warp_inclusive_scan_kernelIN10test_utils16custom_test_typeIiEELj1ELj61EENSt9enable_ifIXsr10test_utilsE35device_test_enabled_for_warp_size_vIXT1_EEEvE4typeEPT_S7_
    .private_segment_fixed_size: 0
    .sgpr_count:     14
    .sgpr_spill_count: 0
    .symbol:         _Z26warp_inclusive_scan_kernelIN10test_utils16custom_test_typeIiEELj1ELj61EENSt9enable_ifIXsr10test_utilsE35device_test_enabled_for_warp_size_vIXT1_EEEvE4typeEPT_S7_.kd
    .uniform_work_group_size: 1
    .uses_dynamic_stack: false
    .vgpr_count:     5
    .vgpr_spill_count: 0
    .wavefront_size: 64
  - .args:
      - .address_space:  global
        .offset:         0
        .size:           8
        .value_kind:     global_buffer
      - .address_space:  global
        .offset:         8
        .size:           8
        .value_kind:     global_buffer
      - .offset:         16
        .size:           4
        .value_kind:     hidden_block_count_x
      - .offset:         20
        .size:           4
        .value_kind:     hidden_block_count_y
      - .offset:         24
        .size:           4
        .value_kind:     hidden_block_count_z
      - .offset:         28
        .size:           2
        .value_kind:     hidden_group_size_x
      - .offset:         30
        .size:           2
        .value_kind:     hidden_group_size_y
      - .offset:         32
        .size:           2
        .value_kind:     hidden_group_size_z
      - .offset:         34
        .size:           2
        .value_kind:     hidden_remainder_x
      - .offset:         36
        .size:           2
        .value_kind:     hidden_remainder_y
      - .offset:         38
        .size:           2
        .value_kind:     hidden_remainder_z
      - .offset:         56
        .size:           8
        .value_kind:     hidden_global_offset_x
      - .offset:         64
        .size:           8
        .value_kind:     hidden_global_offset_y
      - .offset:         72
        .size:           8
        .value_kind:     hidden_global_offset_z
      - .offset:         80
        .size:           2
        .value_kind:     hidden_grid_dims
    .group_segment_fixed_size: 488
    .kernarg_segment_align: 8
    .kernarg_segment_size: 272
    .language:       OpenCL C
    .language_version:
      - 2
      - 0
    .max_flat_workgroup_size: 61
    .name:           _Z26warp_inclusive_scan_kernelIN10test_utils16custom_test_typeIiEELj61ELj61EENSt9enable_ifIXsr10test_utilsE35device_test_enabled_for_warp_size_vIXT1_EEEvE4typeEPT_S7_
    .private_segment_fixed_size: 0
    .sgpr_count:     12
    .sgpr_spill_count: 0
    .symbol:         _Z26warp_inclusive_scan_kernelIN10test_utils16custom_test_typeIiEELj61ELj61EENSt9enable_ifIXsr10test_utilsE35device_test_enabled_for_warp_size_vIXT1_EEEvE4typeEPT_S7_.kd
    .uniform_work_group_size: 1
    .uses_dynamic_stack: false
    .vgpr_count:     8
    .vgpr_spill_count: 0
    .wavefront_size: 64
  - .args:
      - .address_space:  global
        .offset:         0
        .size:           8
        .value_kind:     global_buffer
      - .address_space:  global
        .offset:         8
        .size:           8
        .value_kind:     global_buffer
      - .offset:         16
        .size:           4
        .value_kind:     hidden_block_count_x
      - .offset:         20
        .size:           4
        .value_kind:     hidden_block_count_y
      - .offset:         24
        .size:           4
        .value_kind:     hidden_block_count_z
      - .offset:         28
        .size:           2
        .value_kind:     hidden_group_size_x
      - .offset:         30
        .size:           2
        .value_kind:     hidden_group_size_y
      - .offset:         32
        .size:           2
        .value_kind:     hidden_group_size_z
      - .offset:         34
        .size:           2
        .value_kind:     hidden_remainder_x
      - .offset:         36
        .size:           2
        .value_kind:     hidden_remainder_y
      - .offset:         38
        .size:           2
        .value_kind:     hidden_remainder_z
      - .offset:         56
        .size:           8
        .value_kind:     hidden_global_offset_x
      - .offset:         64
        .size:           8
        .value_kind:     hidden_global_offset_y
      - .offset:         72
        .size:           8
        .value_kind:     hidden_global_offset_z
      - .offset:         80
        .size:           2
        .value_kind:     hidden_grid_dims
    .group_segment_fixed_size: 296
    .kernarg_segment_align: 8
    .kernarg_segment_size: 272
    .language:       OpenCL C
    .language_version:
      - 2
      - 0
    .max_flat_workgroup_size: 1
    .name:           _Z26warp_inclusive_scan_kernelIN10test_utils16custom_test_typeIiEELj1ELj37EENSt9enable_ifIXsr10test_utilsE35device_test_enabled_for_warp_size_vIXT1_EEEvE4typeEPT_S7_
    .private_segment_fixed_size: 0
    .sgpr_count:     14
    .sgpr_spill_count: 0
    .symbol:         _Z26warp_inclusive_scan_kernelIN10test_utils16custom_test_typeIiEELj1ELj37EENSt9enable_ifIXsr10test_utilsE35device_test_enabled_for_warp_size_vIXT1_EEEvE4typeEPT_S7_.kd
    .uniform_work_group_size: 1
    .uses_dynamic_stack: false
    .vgpr_count:     5
    .vgpr_spill_count: 0
    .wavefront_size: 64
  - .args:
      - .address_space:  global
        .offset:         0
        .size:           8
        .value_kind:     global_buffer
      - .address_space:  global
        .offset:         8
        .size:           8
        .value_kind:     global_buffer
      - .offset:         16
        .size:           4
        .value_kind:     hidden_block_count_x
      - .offset:         20
        .size:           4
        .value_kind:     hidden_block_count_y
      - .offset:         24
        .size:           4
        .value_kind:     hidden_block_count_z
      - .offset:         28
        .size:           2
        .value_kind:     hidden_group_size_x
      - .offset:         30
        .size:           2
        .value_kind:     hidden_group_size_y
      - .offset:         32
        .size:           2
        .value_kind:     hidden_group_size_z
      - .offset:         34
        .size:           2
        .value_kind:     hidden_remainder_x
      - .offset:         36
        .size:           2
        .value_kind:     hidden_remainder_y
      - .offset:         38
        .size:           2
        .value_kind:     hidden_remainder_z
      - .offset:         56
        .size:           8
        .value_kind:     hidden_global_offset_x
      - .offset:         64
        .size:           8
        .value_kind:     hidden_global_offset_y
      - .offset:         72
        .size:           8
        .value_kind:     hidden_global_offset_z
      - .offset:         80
        .size:           2
        .value_kind:     hidden_grid_dims
    .group_segment_fixed_size: 296
    .kernarg_segment_align: 8
    .kernarg_segment_size: 272
    .language:       OpenCL C
    .language_version:
      - 2
      - 0
    .max_flat_workgroup_size: 37
    .name:           _Z26warp_inclusive_scan_kernelIN10test_utils16custom_test_typeIiEELj37ELj37EENSt9enable_ifIXsr10test_utilsE35device_test_enabled_for_warp_size_vIXT1_EEEvE4typeEPT_S7_
    .private_segment_fixed_size: 0
    .sgpr_count:     12
    .sgpr_spill_count: 0
    .symbol:         _Z26warp_inclusive_scan_kernelIN10test_utils16custom_test_typeIiEELj37ELj37EENSt9enable_ifIXsr10test_utilsE35device_test_enabled_for_warp_size_vIXT1_EEEvE4typeEPT_S7_.kd
    .uniform_work_group_size: 1
    .uses_dynamic_stack: false
    .vgpr_count:     8
    .vgpr_spill_count: 0
    .wavefront_size: 64
  - .args:
      - .address_space:  global
        .offset:         0
        .size:           8
        .value_kind:     global_buffer
      - .address_space:  global
        .offset:         8
        .size:           8
        .value_kind:     global_buffer
      - .offset:         16
        .size:           4
        .value_kind:     hidden_block_count_x
      - .offset:         20
        .size:           4
        .value_kind:     hidden_block_count_y
      - .offset:         24
        .size:           4
        .value_kind:     hidden_block_count_z
      - .offset:         28
        .size:           2
        .value_kind:     hidden_group_size_x
      - .offset:         30
        .size:           2
        .value_kind:     hidden_group_size_y
      - .offset:         32
        .size:           2
        .value_kind:     hidden_group_size_z
      - .offset:         34
        .size:           2
        .value_kind:     hidden_remainder_x
      - .offset:         36
        .size:           2
        .value_kind:     hidden_remainder_y
      - .offset:         38
        .size:           2
        .value_kind:     hidden_remainder_z
      - .offset:         56
        .size:           8
        .value_kind:     hidden_global_offset_x
      - .offset:         64
        .size:           8
        .value_kind:     hidden_global_offset_y
      - .offset:         72
        .size:           8
        .value_kind:     hidden_global_offset_z
      - .offset:         80
        .size:           2
        .value_kind:     hidden_grid_dims
    .group_segment_fixed_size: 240
    .kernarg_segment_align: 8
    .kernarg_segment_size: 272
    .language:       OpenCL C
    .language_version:
      - 2
      - 0
    .max_flat_workgroup_size: 30
    .name:           _Z26warp_inclusive_scan_kernelIN10test_utils16custom_test_typeIiEELj30ELj15EENSt9enable_ifIXsr10test_utilsE35device_test_enabled_for_warp_size_vIXT1_EEEvE4typeEPT_S7_
    .private_segment_fixed_size: 0
    .sgpr_count:     12
    .sgpr_spill_count: 0
    .symbol:         _Z26warp_inclusive_scan_kernelIN10test_utils16custom_test_typeIiEELj30ELj15EENSt9enable_ifIXsr10test_utilsE35device_test_enabled_for_warp_size_vIXT1_EEEvE4typeEPT_S7_.kd
    .uniform_work_group_size: 1
    .uses_dynamic_stack: false
    .vgpr_count:     8
    .vgpr_spill_count: 0
    .wavefront_size: 64
  - .args:
      - .address_space:  global
        .offset:         0
        .size:           8
        .value_kind:     global_buffer
      - .address_space:  global
        .offset:         8
        .size:           8
        .value_kind:     global_buffer
      - .offset:         16
        .size:           4
        .value_kind:     hidden_block_count_x
      - .offset:         20
        .size:           4
        .value_kind:     hidden_block_count_y
      - .offset:         24
        .size:           4
        .value_kind:     hidden_block_count_z
      - .offset:         28
        .size:           2
        .value_kind:     hidden_group_size_x
      - .offset:         30
        .size:           2
        .value_kind:     hidden_group_size_y
      - .offset:         32
        .size:           2
        .value_kind:     hidden_group_size_z
      - .offset:         34
        .size:           2
        .value_kind:     hidden_remainder_x
      - .offset:         36
        .size:           2
        .value_kind:     hidden_remainder_y
      - .offset:         38
        .size:           2
        .value_kind:     hidden_remainder_z
      - .offset:         56
        .size:           8
        .value_kind:     hidden_global_offset_x
      - .offset:         64
        .size:           8
        .value_kind:     hidden_global_offset_y
      - .offset:         72
        .size:           8
        .value_kind:     hidden_global_offset_z
      - .offset:         80
        .size:           2
        .value_kind:     hidden_grid_dims
    .group_segment_fixed_size: 480
    .kernarg_segment_align: 8
    .kernarg_segment_size: 272
    .language:       OpenCL C
    .language_version:
      - 2
      - 0
    .max_flat_workgroup_size: 60
    .name:           _Z26warp_inclusive_scan_kernelIN10test_utils16custom_test_typeIiEELj60ELj15EENSt9enable_ifIXsr10test_utilsE35device_test_enabled_for_warp_size_vIXT1_EEEvE4typeEPT_S7_
    .private_segment_fixed_size: 0
    .sgpr_count:     12
    .sgpr_spill_count: 0
    .symbol:         _Z26warp_inclusive_scan_kernelIN10test_utils16custom_test_typeIiEELj60ELj15EENSt9enable_ifIXsr10test_utilsE35device_test_enabled_for_warp_size_vIXT1_EEEvE4typeEPT_S7_.kd
    .uniform_work_group_size: 1
    .uses_dynamic_stack: false
    .vgpr_count:     8
    .vgpr_spill_count: 0
    .wavefront_size: 64
  - .args:
      - .address_space:  global
        .offset:         0
        .size:           8
        .value_kind:     global_buffer
      - .address_space:  global
        .offset:         8
        .size:           8
        .value_kind:     global_buffer
      - .offset:         16
        .size:           4
        .value_kind:     hidden_block_count_x
      - .offset:         20
        .size:           4
        .value_kind:     hidden_block_count_y
      - .offset:         24
        .size:           4
        .value_kind:     hidden_block_count_z
      - .offset:         28
        .size:           2
        .value_kind:     hidden_group_size_x
      - .offset:         30
        .size:           2
        .value_kind:     hidden_group_size_y
      - .offset:         32
        .size:           2
        .value_kind:     hidden_group_size_z
      - .offset:         34
        .size:           2
        .value_kind:     hidden_remainder_x
      - .offset:         36
        .size:           2
        .value_kind:     hidden_remainder_y
      - .offset:         38
        .size:           2
        .value_kind:     hidden_remainder_z
      - .offset:         56
        .size:           8
        .value_kind:     hidden_global_offset_x
      - .offset:         64
        .size:           8
        .value_kind:     hidden_global_offset_y
      - .offset:         72
        .size:           8
        .value_kind:     hidden_global_offset_z
      - .offset:         80
        .size:           2
        .value_kind:     hidden_grid_dims
    .group_segment_fixed_size: 224
    .kernarg_segment_align: 8
    .kernarg_segment_size: 272
    .language:       OpenCL C
    .language_version:
      - 2
      - 0
    .max_flat_workgroup_size: 28
    .name:           _Z26warp_inclusive_scan_kernelIN10test_utils16custom_test_typeIiEELj28ELj7EENSt9enable_ifIXsr10test_utilsE35device_test_enabled_for_warp_size_vIXT1_EEEvE4typeEPT_S7_
    .private_segment_fixed_size: 0
    .sgpr_count:     12
    .sgpr_spill_count: 0
    .symbol:         _Z26warp_inclusive_scan_kernelIN10test_utils16custom_test_typeIiEELj28ELj7EENSt9enable_ifIXsr10test_utilsE35device_test_enabled_for_warp_size_vIXT1_EEEvE4typeEPT_S7_.kd
    .uniform_work_group_size: 1
    .uses_dynamic_stack: false
    .vgpr_count:     8
    .vgpr_spill_count: 0
    .wavefront_size: 64
  - .args:
      - .address_space:  global
        .offset:         0
        .size:           8
        .value_kind:     global_buffer
      - .address_space:  global
        .offset:         8
        .size:           8
        .value_kind:     global_buffer
      - .offset:         16
        .size:           4
        .value_kind:     hidden_block_count_x
      - .offset:         20
        .size:           4
        .value_kind:     hidden_block_count_y
      - .offset:         24
        .size:           4
        .value_kind:     hidden_block_count_z
      - .offset:         28
        .size:           2
        .value_kind:     hidden_group_size_x
      - .offset:         30
        .size:           2
        .value_kind:     hidden_group_size_y
      - .offset:         32
        .size:           2
        .value_kind:     hidden_group_size_z
      - .offset:         34
        .size:           2
        .value_kind:     hidden_remainder_x
      - .offset:         36
        .size:           2
        .value_kind:     hidden_remainder_y
      - .offset:         38
        .size:           2
        .value_kind:     hidden_remainder_z
      - .offset:         56
        .size:           8
        .value_kind:     hidden_global_offset_x
      - .offset:         64
        .size:           8
        .value_kind:     hidden_global_offset_y
      - .offset:         72
        .size:           8
        .value_kind:     hidden_global_offset_z
      - .offset:         80
        .size:           2
        .value_kind:     hidden_grid_dims
    .group_segment_fixed_size: 504
    .kernarg_segment_align: 8
    .kernarg_segment_size: 272
    .language:       OpenCL C
    .language_version:
      - 2
      - 0
    .max_flat_workgroup_size: 63
    .name:           _Z26warp_inclusive_scan_kernelIN10test_utils16custom_test_typeIiEELj63ELj7EENSt9enable_ifIXsr10test_utilsE35device_test_enabled_for_warp_size_vIXT1_EEEvE4typeEPT_S7_
    .private_segment_fixed_size: 0
    .sgpr_count:     12
    .sgpr_spill_count: 0
    .symbol:         _Z26warp_inclusive_scan_kernelIN10test_utils16custom_test_typeIiEELj63ELj7EENSt9enable_ifIXsr10test_utilsE35device_test_enabled_for_warp_size_vIXT1_EEEvE4typeEPT_S7_.kd
    .uniform_work_group_size: 1
    .uses_dynamic_stack: false
    .vgpr_count:     8
    .vgpr_spill_count: 0
    .wavefront_size: 64
  - .args:
      - .address_space:  global
        .offset:         0
        .size:           8
        .value_kind:     global_buffer
      - .address_space:  global
        .offset:         8
        .size:           8
        .value_kind:     global_buffer
      - .offset:         16
        .size:           4
        .value_kind:     hidden_block_count_x
      - .offset:         20
        .size:           4
        .value_kind:     hidden_block_count_y
      - .offset:         24
        .size:           4
        .value_kind:     hidden_block_count_z
      - .offset:         28
        .size:           2
        .value_kind:     hidden_group_size_x
      - .offset:         30
        .size:           2
        .value_kind:     hidden_group_size_y
      - .offset:         32
        .size:           2
        .value_kind:     hidden_group_size_z
      - .offset:         34
        .size:           2
        .value_kind:     hidden_remainder_x
      - .offset:         36
        .size:           2
        .value_kind:     hidden_remainder_y
      - .offset:         38
        .size:           2
        .value_kind:     hidden_remainder_z
      - .offset:         56
        .size:           8
        .value_kind:     hidden_global_offset_x
      - .offset:         64
        .size:           8
        .value_kind:     hidden_global_offset_y
      - .offset:         72
        .size:           8
        .value_kind:     hidden_global_offset_z
      - .offset:         80
        .size:           2
        .value_kind:     hidden_grid_dims
    .group_segment_fixed_size: 240
    .kernarg_segment_align: 8
    .kernarg_segment_size: 272
    .language:       OpenCL C
    .language_version:
      - 2
      - 0
    .max_flat_workgroup_size: 30
    .name:           _Z26warp_inclusive_scan_kernelIN10test_utils16custom_test_typeIiEELj30ELj3EENSt9enable_ifIXsr10test_utilsE35device_test_enabled_for_warp_size_vIXT1_EEEvE4typeEPT_S7_
    .private_segment_fixed_size: 0
    .sgpr_count:     12
    .sgpr_spill_count: 0
    .symbol:         _Z26warp_inclusive_scan_kernelIN10test_utils16custom_test_typeIiEELj30ELj3EENSt9enable_ifIXsr10test_utilsE35device_test_enabled_for_warp_size_vIXT1_EEEvE4typeEPT_S7_.kd
    .uniform_work_group_size: 1
    .uses_dynamic_stack: false
    .vgpr_count:     9
    .vgpr_spill_count: 0
    .wavefront_size: 64
  - .args:
      - .address_space:  global
        .offset:         0
        .size:           8
        .value_kind:     global_buffer
      - .address_space:  global
        .offset:         8
        .size:           8
        .value_kind:     global_buffer
      - .offset:         16
        .size:           4
        .value_kind:     hidden_block_count_x
      - .offset:         20
        .size:           4
        .value_kind:     hidden_block_count_y
      - .offset:         24
        .size:           4
        .value_kind:     hidden_block_count_z
      - .offset:         28
        .size:           2
        .value_kind:     hidden_group_size_x
      - .offset:         30
        .size:           2
        .value_kind:     hidden_group_size_y
      - .offset:         32
        .size:           2
        .value_kind:     hidden_group_size_z
      - .offset:         34
        .size:           2
        .value_kind:     hidden_remainder_x
      - .offset:         36
        .size:           2
        .value_kind:     hidden_remainder_y
      - .offset:         38
        .size:           2
        .value_kind:     hidden_remainder_z
      - .offset:         56
        .size:           8
        .value_kind:     hidden_global_offset_x
      - .offset:         64
        .size:           8
        .value_kind:     hidden_global_offset_y
      - .offset:         72
        .size:           8
        .value_kind:     hidden_global_offset_z
      - .offset:         80
        .size:           2
        .value_kind:     hidden_grid_dims
    .group_segment_fixed_size: 504
    .kernarg_segment_align: 8
    .kernarg_segment_size: 272
    .language:       OpenCL C
    .language_version:
      - 2
      - 0
    .max_flat_workgroup_size: 63
    .name:           _Z26warp_inclusive_scan_kernelIN10test_utils16custom_test_typeIiEELj63ELj3EENSt9enable_ifIXsr10test_utilsE35device_test_enabled_for_warp_size_vIXT1_EEEvE4typeEPT_S7_
    .private_segment_fixed_size: 0
    .sgpr_count:     12
    .sgpr_spill_count: 0
    .symbol:         _Z26warp_inclusive_scan_kernelIN10test_utils16custom_test_typeIiEELj63ELj3EENSt9enable_ifIXsr10test_utilsE35device_test_enabled_for_warp_size_vIXT1_EEEvE4typeEPT_S7_.kd
    .uniform_work_group_size: 1
    .uses_dynamic_stack: false
    .vgpr_count:     9
    .vgpr_spill_count: 0
    .wavefront_size: 64
  - .args:
      - .address_space:  global
        .offset:         0
        .size:           8
        .value_kind:     global_buffer
      - .address_space:  global
        .offset:         8
        .size:           8
        .value_kind:     global_buffer
      - .offset:         16
        .size:           4
        .value_kind:     hidden_block_count_x
      - .offset:         20
        .size:           4
        .value_kind:     hidden_block_count_y
      - .offset:         24
        .size:           4
        .value_kind:     hidden_block_count_z
      - .offset:         28
        .size:           2
        .value_kind:     hidden_group_size_x
      - .offset:         30
        .size:           2
        .value_kind:     hidden_group_size_y
      - .offset:         32
        .size:           2
        .value_kind:     hidden_group_size_z
      - .offset:         34
        .size:           2
        .value_kind:     hidden_remainder_x
      - .offset:         36
        .size:           2
        .value_kind:     hidden_remainder_y
      - .offset:         38
        .size:           2
        .value_kind:     hidden_remainder_z
      - .offset:         56
        .size:           8
        .value_kind:     hidden_global_offset_x
      - .offset:         64
        .size:           8
        .value_kind:     hidden_global_offset_y
      - .offset:         72
        .size:           8
        .value_kind:     hidden_global_offset_z
      - .offset:         80
        .size:           2
        .value_kind:     hidden_grid_dims
    .group_segment_fixed_size: 0
    .kernarg_segment_align: 8
    .kernarg_segment_size: 272
    .language:       OpenCL C
    .language_version:
      - 2
      - 0
    .max_flat_workgroup_size: 256
    .name:           _Z26warp_inclusive_scan_kernelIN10test_utils16custom_test_typeI12hip_bfloat16EELj256ELj64EENSt9enable_ifIXsr10test_utilsE35device_test_enabled_for_warp_size_vIXT1_EEEvE4typeEPT_S8_
    .private_segment_fixed_size: 0
    .sgpr_count:     12
    .sgpr_spill_count: 0
    .symbol:         _Z26warp_inclusive_scan_kernelIN10test_utils16custom_test_typeI12hip_bfloat16EELj256ELj64EENSt9enable_ifIXsr10test_utilsE35device_test_enabled_for_warp_size_vIXT1_EEEvE4typeEPT_S8_.kd
    .uniform_work_group_size: 1
    .uses_dynamic_stack: false
    .vgpr_count:     12
    .vgpr_spill_count: 0
    .wavefront_size: 64
  - .args:
      - .address_space:  global
        .offset:         0
        .size:           8
        .value_kind:     global_buffer
      - .address_space:  global
        .offset:         8
        .size:           8
        .value_kind:     global_buffer
      - .offset:         16
        .size:           4
        .value_kind:     hidden_block_count_x
      - .offset:         20
        .size:           4
        .value_kind:     hidden_block_count_y
      - .offset:         24
        .size:           4
        .value_kind:     hidden_block_count_z
      - .offset:         28
        .size:           2
        .value_kind:     hidden_group_size_x
      - .offset:         30
        .size:           2
        .value_kind:     hidden_group_size_y
      - .offset:         32
        .size:           2
        .value_kind:     hidden_group_size_z
      - .offset:         34
        .size:           2
        .value_kind:     hidden_remainder_x
      - .offset:         36
        .size:           2
        .value_kind:     hidden_remainder_y
      - .offset:         38
        .size:           2
        .value_kind:     hidden_remainder_z
      - .offset:         56
        .size:           8
        .value_kind:     hidden_global_offset_x
      - .offset:         64
        .size:           8
        .value_kind:     hidden_global_offset_y
      - .offset:         72
        .size:           8
        .value_kind:     hidden_global_offset_z
      - .offset:         80
        .size:           2
        .value_kind:     hidden_grid_dims
    .group_segment_fixed_size: 0
    .kernarg_segment_align: 8
    .kernarg_segment_size: 272
    .language:       OpenCL C
    .language_version:
      - 2
      - 0
    .max_flat_workgroup_size: 128
    .name:           _Z26warp_inclusive_scan_kernelIN10test_utils16custom_test_typeI12hip_bfloat16EELj128ELj32EENSt9enable_ifIXsr10test_utilsE35device_test_enabled_for_warp_size_vIXT1_EEEvE4typeEPT_S8_
    .private_segment_fixed_size: 0
    .sgpr_count:     12
    .sgpr_spill_count: 0
    .symbol:         _Z26warp_inclusive_scan_kernelIN10test_utils16custom_test_typeI12hip_bfloat16EELj128ELj32EENSt9enable_ifIXsr10test_utilsE35device_test_enabled_for_warp_size_vIXT1_EEEvE4typeEPT_S8_.kd
    .uniform_work_group_size: 1
    .uses_dynamic_stack: false
    .vgpr_count:     13
    .vgpr_spill_count: 0
    .wavefront_size: 64
  - .args:
      - .address_space:  global
        .offset:         0
        .size:           8
        .value_kind:     global_buffer
      - .address_space:  global
        .offset:         8
        .size:           8
        .value_kind:     global_buffer
      - .offset:         16
        .size:           4
        .value_kind:     hidden_block_count_x
      - .offset:         20
        .size:           4
        .value_kind:     hidden_block_count_y
      - .offset:         24
        .size:           4
        .value_kind:     hidden_block_count_z
      - .offset:         28
        .size:           2
        .value_kind:     hidden_group_size_x
      - .offset:         30
        .size:           2
        .value_kind:     hidden_group_size_y
      - .offset:         32
        .size:           2
        .value_kind:     hidden_group_size_z
      - .offset:         34
        .size:           2
        .value_kind:     hidden_remainder_x
      - .offset:         36
        .size:           2
        .value_kind:     hidden_remainder_y
      - .offset:         38
        .size:           2
        .value_kind:     hidden_remainder_z
      - .offset:         56
        .size:           8
        .value_kind:     hidden_global_offset_x
      - .offset:         64
        .size:           8
        .value_kind:     hidden_global_offset_y
      - .offset:         72
        .size:           8
        .value_kind:     hidden_global_offset_z
      - .offset:         80
        .size:           2
        .value_kind:     hidden_grid_dims
    .group_segment_fixed_size: 0
    .kernarg_segment_align: 8
    .kernarg_segment_size: 272
    .language:       OpenCL C
    .language_version:
      - 2
      - 0
    .max_flat_workgroup_size: 64
    .name:           _Z26warp_inclusive_scan_kernelIN10test_utils16custom_test_typeI12hip_bfloat16EELj64ELj16EENSt9enable_ifIXsr10test_utilsE35device_test_enabled_for_warp_size_vIXT1_EEEvE4typeEPT_S8_
    .private_segment_fixed_size: 0
    .sgpr_count:     12
    .sgpr_spill_count: 0
    .symbol:         _Z26warp_inclusive_scan_kernelIN10test_utils16custom_test_typeI12hip_bfloat16EELj64ELj16EENSt9enable_ifIXsr10test_utilsE35device_test_enabled_for_warp_size_vIXT1_EEEvE4typeEPT_S8_.kd
    .uniform_work_group_size: 1
    .uses_dynamic_stack: false
    .vgpr_count:     12
    .vgpr_spill_count: 0
    .wavefront_size: 64
  - .args:
      - .address_space:  global
        .offset:         0
        .size:           8
        .value_kind:     global_buffer
      - .address_space:  global
        .offset:         8
        .size:           8
        .value_kind:     global_buffer
      - .offset:         16
        .size:           4
        .value_kind:     hidden_block_count_x
      - .offset:         20
        .size:           4
        .value_kind:     hidden_block_count_y
      - .offset:         24
        .size:           4
        .value_kind:     hidden_block_count_z
      - .offset:         28
        .size:           2
        .value_kind:     hidden_group_size_x
      - .offset:         30
        .size:           2
        .value_kind:     hidden_group_size_y
      - .offset:         32
        .size:           2
        .value_kind:     hidden_group_size_z
      - .offset:         34
        .size:           2
        .value_kind:     hidden_remainder_x
      - .offset:         36
        .size:           2
        .value_kind:     hidden_remainder_y
      - .offset:         38
        .size:           2
        .value_kind:     hidden_remainder_z
      - .offset:         56
        .size:           8
        .value_kind:     hidden_global_offset_x
      - .offset:         64
        .size:           8
        .value_kind:     hidden_global_offset_y
      - .offset:         72
        .size:           8
        .value_kind:     hidden_global_offset_z
      - .offset:         80
        .size:           2
        .value_kind:     hidden_grid_dims
    .group_segment_fixed_size: 0
    .kernarg_segment_align: 8
    .kernarg_segment_size: 272
    .language:       OpenCL C
    .language_version:
      - 2
      - 0
    .max_flat_workgroup_size: 32
    .name:           _Z26warp_inclusive_scan_kernelIN10test_utils16custom_test_typeI12hip_bfloat16EELj32ELj8EENSt9enable_ifIXsr10test_utilsE35device_test_enabled_for_warp_size_vIXT1_EEEvE4typeEPT_S8_
    .private_segment_fixed_size: 0
    .sgpr_count:     12
    .sgpr_spill_count: 0
    .symbol:         _Z26warp_inclusive_scan_kernelIN10test_utils16custom_test_typeI12hip_bfloat16EELj32ELj8EENSt9enable_ifIXsr10test_utilsE35device_test_enabled_for_warp_size_vIXT1_EEEvE4typeEPT_S8_.kd
    .uniform_work_group_size: 1
    .uses_dynamic_stack: false
    .vgpr_count:     12
    .vgpr_spill_count: 0
    .wavefront_size: 64
  - .args:
      - .address_space:  global
        .offset:         0
        .size:           8
        .value_kind:     global_buffer
      - .address_space:  global
        .offset:         8
        .size:           8
        .value_kind:     global_buffer
      - .offset:         16
        .size:           4
        .value_kind:     hidden_block_count_x
      - .offset:         20
        .size:           4
        .value_kind:     hidden_block_count_y
      - .offset:         24
        .size:           4
        .value_kind:     hidden_block_count_z
      - .offset:         28
        .size:           2
        .value_kind:     hidden_group_size_x
      - .offset:         30
        .size:           2
        .value_kind:     hidden_group_size_y
      - .offset:         32
        .size:           2
        .value_kind:     hidden_group_size_z
      - .offset:         34
        .size:           2
        .value_kind:     hidden_remainder_x
      - .offset:         36
        .size:           2
        .value_kind:     hidden_remainder_y
      - .offset:         38
        .size:           2
        .value_kind:     hidden_remainder_z
      - .offset:         56
        .size:           8
        .value_kind:     hidden_global_offset_x
      - .offset:         64
        .size:           8
        .value_kind:     hidden_global_offset_y
      - .offset:         72
        .size:           8
        .value_kind:     hidden_global_offset_z
      - .offset:         80
        .size:           2
        .value_kind:     hidden_grid_dims
    .group_segment_fixed_size: 0
    .kernarg_segment_align: 8
    .kernarg_segment_size: 272
    .language:       OpenCL C
    .language_version:
      - 2
      - 0
    .max_flat_workgroup_size: 64
    .name:           _Z26warp_inclusive_scan_kernelIN10test_utils16custom_test_typeI12hip_bfloat16EELj64ELj8EENSt9enable_ifIXsr10test_utilsE35device_test_enabled_for_warp_size_vIXT1_EEEvE4typeEPT_S8_
    .private_segment_fixed_size: 0
    .sgpr_count:     12
    .sgpr_spill_count: 0
    .symbol:         _Z26warp_inclusive_scan_kernelIN10test_utils16custom_test_typeI12hip_bfloat16EELj64ELj8EENSt9enable_ifIXsr10test_utilsE35device_test_enabled_for_warp_size_vIXT1_EEEvE4typeEPT_S8_.kd
    .uniform_work_group_size: 1
    .uses_dynamic_stack: false
    .vgpr_count:     12
    .vgpr_spill_count: 0
    .wavefront_size: 64
  - .args:
      - .address_space:  global
        .offset:         0
        .size:           8
        .value_kind:     global_buffer
      - .address_space:  global
        .offset:         8
        .size:           8
        .value_kind:     global_buffer
      - .offset:         16
        .size:           4
        .value_kind:     hidden_block_count_x
      - .offset:         20
        .size:           4
        .value_kind:     hidden_block_count_y
      - .offset:         24
        .size:           4
        .value_kind:     hidden_block_count_z
      - .offset:         28
        .size:           2
        .value_kind:     hidden_group_size_x
      - .offset:         30
        .size:           2
        .value_kind:     hidden_group_size_y
      - .offset:         32
        .size:           2
        .value_kind:     hidden_group_size_z
      - .offset:         34
        .size:           2
        .value_kind:     hidden_remainder_x
      - .offset:         36
        .size:           2
        .value_kind:     hidden_remainder_y
      - .offset:         38
        .size:           2
        .value_kind:     hidden_remainder_z
      - .offset:         56
        .size:           8
        .value_kind:     hidden_global_offset_x
      - .offset:         64
        .size:           8
        .value_kind:     hidden_global_offset_y
      - .offset:         72
        .size:           8
        .value_kind:     hidden_global_offset_z
      - .offset:         80
        .size:           2
        .value_kind:     hidden_grid_dims
    .group_segment_fixed_size: 0
    .kernarg_segment_align: 8
    .kernarg_segment_size: 272
    .language:       OpenCL C
    .language_version:
      - 2
      - 0
    .max_flat_workgroup_size: 32
    .name:           _Z26warp_inclusive_scan_kernelIN10test_utils16custom_test_typeI12hip_bfloat16EELj32ELj4EENSt9enable_ifIXsr10test_utilsE35device_test_enabled_for_warp_size_vIXT1_EEEvE4typeEPT_S8_
    .private_segment_fixed_size: 0
    .sgpr_count:     12
    .sgpr_spill_count: 0
    .symbol:         _Z26warp_inclusive_scan_kernelIN10test_utils16custom_test_typeI12hip_bfloat16EELj32ELj4EENSt9enable_ifIXsr10test_utilsE35device_test_enabled_for_warp_size_vIXT1_EEEvE4typeEPT_S8_.kd
    .uniform_work_group_size: 1
    .uses_dynamic_stack: false
    .vgpr_count:     10
    .vgpr_spill_count: 0
    .wavefront_size: 64
  - .args:
      - .address_space:  global
        .offset:         0
        .size:           8
        .value_kind:     global_buffer
      - .address_space:  global
        .offset:         8
        .size:           8
        .value_kind:     global_buffer
      - .offset:         16
        .size:           4
        .value_kind:     hidden_block_count_x
      - .offset:         20
        .size:           4
        .value_kind:     hidden_block_count_y
      - .offset:         24
        .size:           4
        .value_kind:     hidden_block_count_z
      - .offset:         28
        .size:           2
        .value_kind:     hidden_group_size_x
      - .offset:         30
        .size:           2
        .value_kind:     hidden_group_size_y
      - .offset:         32
        .size:           2
        .value_kind:     hidden_group_size_z
      - .offset:         34
        .size:           2
        .value_kind:     hidden_remainder_x
      - .offset:         36
        .size:           2
        .value_kind:     hidden_remainder_y
      - .offset:         38
        .size:           2
        .value_kind:     hidden_remainder_z
      - .offset:         56
        .size:           8
        .value_kind:     hidden_global_offset_x
      - .offset:         64
        .size:           8
        .value_kind:     hidden_global_offset_y
      - .offset:         72
        .size:           8
        .value_kind:     hidden_global_offset_z
      - .offset:         80
        .size:           2
        .value_kind:     hidden_grid_dims
    .group_segment_fixed_size: 0
    .kernarg_segment_align: 8
    .kernarg_segment_size: 272
    .language:       OpenCL C
    .language_version:
      - 2
      - 0
    .max_flat_workgroup_size: 64
    .name:           _Z26warp_inclusive_scan_kernelIN10test_utils16custom_test_typeI12hip_bfloat16EELj64ELj4EENSt9enable_ifIXsr10test_utilsE35device_test_enabled_for_warp_size_vIXT1_EEEvE4typeEPT_S8_
    .private_segment_fixed_size: 0
    .sgpr_count:     12
    .sgpr_spill_count: 0
    .symbol:         _Z26warp_inclusive_scan_kernelIN10test_utils16custom_test_typeI12hip_bfloat16EELj64ELj4EENSt9enable_ifIXsr10test_utilsE35device_test_enabled_for_warp_size_vIXT1_EEEvE4typeEPT_S8_.kd
    .uniform_work_group_size: 1
    .uses_dynamic_stack: false
    .vgpr_count:     10
    .vgpr_spill_count: 0
    .wavefront_size: 64
  - .args:
      - .address_space:  global
        .offset:         0
        .size:           8
        .value_kind:     global_buffer
      - .address_space:  global
        .offset:         8
        .size:           8
        .value_kind:     global_buffer
      - .offset:         16
        .size:           4
        .value_kind:     hidden_block_count_x
      - .offset:         20
        .size:           4
        .value_kind:     hidden_block_count_y
      - .offset:         24
        .size:           4
        .value_kind:     hidden_block_count_z
      - .offset:         28
        .size:           2
        .value_kind:     hidden_group_size_x
      - .offset:         30
        .size:           2
        .value_kind:     hidden_group_size_y
      - .offset:         32
        .size:           2
        .value_kind:     hidden_group_size_z
      - .offset:         34
        .size:           2
        .value_kind:     hidden_remainder_x
      - .offset:         36
        .size:           2
        .value_kind:     hidden_remainder_y
      - .offset:         38
        .size:           2
        .value_kind:     hidden_remainder_z
      - .offset:         56
        .size:           8
        .value_kind:     hidden_global_offset_x
      - .offset:         64
        .size:           8
        .value_kind:     hidden_global_offset_y
      - .offset:         72
        .size:           8
        .value_kind:     hidden_global_offset_z
      - .offset:         80
        .size:           2
        .value_kind:     hidden_grid_dims
    .group_segment_fixed_size: 0
    .kernarg_segment_align: 8
    .kernarg_segment_size: 272
    .language:       OpenCL C
    .language_version:
      - 2
      - 0
    .max_flat_workgroup_size: 32
    .name:           _Z26warp_inclusive_scan_kernelIN10test_utils16custom_test_typeI12hip_bfloat16EELj32ELj2EENSt9enable_ifIXsr10test_utilsE35device_test_enabled_for_warp_size_vIXT1_EEEvE4typeEPT_S8_
    .private_segment_fixed_size: 0
    .sgpr_count:     12
    .sgpr_spill_count: 0
    .symbol:         _Z26warp_inclusive_scan_kernelIN10test_utils16custom_test_typeI12hip_bfloat16EELj32ELj2EENSt9enable_ifIXsr10test_utilsE35device_test_enabled_for_warp_size_vIXT1_EEEvE4typeEPT_S8_.kd
    .uniform_work_group_size: 1
    .uses_dynamic_stack: false
    .vgpr_count:     7
    .vgpr_spill_count: 0
    .wavefront_size: 64
  - .args:
      - .address_space:  global
        .offset:         0
        .size:           8
        .value_kind:     global_buffer
      - .address_space:  global
        .offset:         8
        .size:           8
        .value_kind:     global_buffer
      - .offset:         16
        .size:           4
        .value_kind:     hidden_block_count_x
      - .offset:         20
        .size:           4
        .value_kind:     hidden_block_count_y
      - .offset:         24
        .size:           4
        .value_kind:     hidden_block_count_z
      - .offset:         28
        .size:           2
        .value_kind:     hidden_group_size_x
      - .offset:         30
        .size:           2
        .value_kind:     hidden_group_size_y
      - .offset:         32
        .size:           2
        .value_kind:     hidden_group_size_z
      - .offset:         34
        .size:           2
        .value_kind:     hidden_remainder_x
      - .offset:         36
        .size:           2
        .value_kind:     hidden_remainder_y
      - .offset:         38
        .size:           2
        .value_kind:     hidden_remainder_z
      - .offset:         56
        .size:           8
        .value_kind:     hidden_global_offset_x
      - .offset:         64
        .size:           8
        .value_kind:     hidden_global_offset_y
      - .offset:         72
        .size:           8
        .value_kind:     hidden_global_offset_z
      - .offset:         80
        .size:           2
        .value_kind:     hidden_grid_dims
    .group_segment_fixed_size: 0
    .kernarg_segment_align: 8
    .kernarg_segment_size: 272
    .language:       OpenCL C
    .language_version:
      - 2
      - 0
    .max_flat_workgroup_size: 64
    .name:           _Z26warp_inclusive_scan_kernelIN10test_utils16custom_test_typeI12hip_bfloat16EELj64ELj2EENSt9enable_ifIXsr10test_utilsE35device_test_enabled_for_warp_size_vIXT1_EEEvE4typeEPT_S8_
    .private_segment_fixed_size: 0
    .sgpr_count:     12
    .sgpr_spill_count: 0
    .symbol:         _Z26warp_inclusive_scan_kernelIN10test_utils16custom_test_typeI12hip_bfloat16EELj64ELj2EENSt9enable_ifIXsr10test_utilsE35device_test_enabled_for_warp_size_vIXT1_EEEvE4typeEPT_S8_.kd
    .uniform_work_group_size: 1
    .uses_dynamic_stack: false
    .vgpr_count:     7
    .vgpr_spill_count: 0
    .wavefront_size: 64
  - .args:
      - .address_space:  global
        .offset:         0
        .size:           8
        .value_kind:     global_buffer
      - .address_space:  global
        .offset:         8
        .size:           8
        .value_kind:     global_buffer
      - .offset:         16
        .size:           4
        .value_kind:     hidden_block_count_x
      - .offset:         20
        .size:           4
        .value_kind:     hidden_block_count_y
      - .offset:         24
        .size:           4
        .value_kind:     hidden_block_count_z
      - .offset:         28
        .size:           2
        .value_kind:     hidden_group_size_x
      - .offset:         30
        .size:           2
        .value_kind:     hidden_group_size_y
      - .offset:         32
        .size:           2
        .value_kind:     hidden_group_size_z
      - .offset:         34
        .size:           2
        .value_kind:     hidden_remainder_x
      - .offset:         36
        .size:           2
        .value_kind:     hidden_remainder_y
      - .offset:         38
        .size:           2
        .value_kind:     hidden_remainder_z
      - .offset:         56
        .size:           8
        .value_kind:     hidden_global_offset_x
      - .offset:         64
        .size:           8
        .value_kind:     hidden_global_offset_y
      - .offset:         72
        .size:           8
        .value_kind:     hidden_global_offset_z
      - .offset:         80
        .size:           2
        .value_kind:     hidden_grid_dims
    .group_segment_fixed_size: 0
    .kernarg_segment_align: 8
    .kernarg_segment_size: 272
    .language:       OpenCL C
    .language_version:
      - 2
      - 0
    .max_flat_workgroup_size: 256
    .name:           _Z26warp_inclusive_scan_kernelIN10test_utils16custom_test_typeI6__halfEELj256ELj64EENSt9enable_ifIXsr10test_utilsE35device_test_enabled_for_warp_size_vIXT1_EEEvE4typeEPT_S8_
    .private_segment_fixed_size: 0
    .sgpr_count:     12
    .sgpr_spill_count: 0
    .symbol:         _Z26warp_inclusive_scan_kernelIN10test_utils16custom_test_typeI6__halfEELj256ELj64EENSt9enable_ifIXsr10test_utilsE35device_test_enabled_for_warp_size_vIXT1_EEEvE4typeEPT_S8_.kd
    .uniform_work_group_size: 1
    .uses_dynamic_stack: false
    .vgpr_count:     8
    .vgpr_spill_count: 0
    .wavefront_size: 64
  - .args:
      - .address_space:  global
        .offset:         0
        .size:           8
        .value_kind:     global_buffer
      - .address_space:  global
        .offset:         8
        .size:           8
        .value_kind:     global_buffer
      - .offset:         16
        .size:           4
        .value_kind:     hidden_block_count_x
      - .offset:         20
        .size:           4
        .value_kind:     hidden_block_count_y
      - .offset:         24
        .size:           4
        .value_kind:     hidden_block_count_z
      - .offset:         28
        .size:           2
        .value_kind:     hidden_group_size_x
      - .offset:         30
        .size:           2
        .value_kind:     hidden_group_size_y
      - .offset:         32
        .size:           2
        .value_kind:     hidden_group_size_z
      - .offset:         34
        .size:           2
        .value_kind:     hidden_remainder_x
      - .offset:         36
        .size:           2
        .value_kind:     hidden_remainder_y
      - .offset:         38
        .size:           2
        .value_kind:     hidden_remainder_z
      - .offset:         56
        .size:           8
        .value_kind:     hidden_global_offset_x
      - .offset:         64
        .size:           8
        .value_kind:     hidden_global_offset_y
      - .offset:         72
        .size:           8
        .value_kind:     hidden_global_offset_z
      - .offset:         80
        .size:           2
        .value_kind:     hidden_grid_dims
    .group_segment_fixed_size: 0
    .kernarg_segment_align: 8
    .kernarg_segment_size: 272
    .language:       OpenCL C
    .language_version:
      - 2
      - 0
    .max_flat_workgroup_size: 128
    .name:           _Z26warp_inclusive_scan_kernelIN10test_utils16custom_test_typeI6__halfEELj128ELj32EENSt9enable_ifIXsr10test_utilsE35device_test_enabled_for_warp_size_vIXT1_EEEvE4typeEPT_S8_
    .private_segment_fixed_size: 0
    .sgpr_count:     12
    .sgpr_spill_count: 0
    .symbol:         _Z26warp_inclusive_scan_kernelIN10test_utils16custom_test_typeI6__halfEELj128ELj32EENSt9enable_ifIXsr10test_utilsE35device_test_enabled_for_warp_size_vIXT1_EEEvE4typeEPT_S8_.kd
    .uniform_work_group_size: 1
    .uses_dynamic_stack: false
    .vgpr_count:     8
    .vgpr_spill_count: 0
    .wavefront_size: 64
  - .args:
      - .address_space:  global
        .offset:         0
        .size:           8
        .value_kind:     global_buffer
      - .address_space:  global
        .offset:         8
        .size:           8
        .value_kind:     global_buffer
      - .offset:         16
        .size:           4
        .value_kind:     hidden_block_count_x
      - .offset:         20
        .size:           4
        .value_kind:     hidden_block_count_y
      - .offset:         24
        .size:           4
        .value_kind:     hidden_block_count_z
      - .offset:         28
        .size:           2
        .value_kind:     hidden_group_size_x
      - .offset:         30
        .size:           2
        .value_kind:     hidden_group_size_y
      - .offset:         32
        .size:           2
        .value_kind:     hidden_group_size_z
      - .offset:         34
        .size:           2
        .value_kind:     hidden_remainder_x
      - .offset:         36
        .size:           2
        .value_kind:     hidden_remainder_y
      - .offset:         38
        .size:           2
        .value_kind:     hidden_remainder_z
      - .offset:         56
        .size:           8
        .value_kind:     hidden_global_offset_x
      - .offset:         64
        .size:           8
        .value_kind:     hidden_global_offset_y
      - .offset:         72
        .size:           8
        .value_kind:     hidden_global_offset_z
      - .offset:         80
        .size:           2
        .value_kind:     hidden_grid_dims
    .group_segment_fixed_size: 0
    .kernarg_segment_align: 8
    .kernarg_segment_size: 272
    .language:       OpenCL C
    .language_version:
      - 2
      - 0
    .max_flat_workgroup_size: 64
    .name:           _Z26warp_inclusive_scan_kernelIN10test_utils16custom_test_typeI6__halfEELj64ELj16EENSt9enable_ifIXsr10test_utilsE35device_test_enabled_for_warp_size_vIXT1_EEEvE4typeEPT_S8_
    .private_segment_fixed_size: 0
    .sgpr_count:     12
    .sgpr_spill_count: 0
    .symbol:         _Z26warp_inclusive_scan_kernelIN10test_utils16custom_test_typeI6__halfEELj64ELj16EENSt9enable_ifIXsr10test_utilsE35device_test_enabled_for_warp_size_vIXT1_EEEvE4typeEPT_S8_.kd
    .uniform_work_group_size: 1
    .uses_dynamic_stack: false
    .vgpr_count:     7
    .vgpr_spill_count: 0
    .wavefront_size: 64
  - .args:
      - .address_space:  global
        .offset:         0
        .size:           8
        .value_kind:     global_buffer
      - .address_space:  global
        .offset:         8
        .size:           8
        .value_kind:     global_buffer
      - .offset:         16
        .size:           4
        .value_kind:     hidden_block_count_x
      - .offset:         20
        .size:           4
        .value_kind:     hidden_block_count_y
      - .offset:         24
        .size:           4
        .value_kind:     hidden_block_count_z
      - .offset:         28
        .size:           2
        .value_kind:     hidden_group_size_x
      - .offset:         30
        .size:           2
        .value_kind:     hidden_group_size_y
      - .offset:         32
        .size:           2
        .value_kind:     hidden_group_size_z
      - .offset:         34
        .size:           2
        .value_kind:     hidden_remainder_x
      - .offset:         36
        .size:           2
        .value_kind:     hidden_remainder_y
      - .offset:         38
        .size:           2
        .value_kind:     hidden_remainder_z
      - .offset:         56
        .size:           8
        .value_kind:     hidden_global_offset_x
      - .offset:         64
        .size:           8
        .value_kind:     hidden_global_offset_y
      - .offset:         72
        .size:           8
        .value_kind:     hidden_global_offset_z
      - .offset:         80
        .size:           2
        .value_kind:     hidden_grid_dims
    .group_segment_fixed_size: 0
    .kernarg_segment_align: 8
    .kernarg_segment_size: 272
    .language:       OpenCL C
    .language_version:
      - 2
      - 0
    .max_flat_workgroup_size: 32
    .name:           _Z26warp_inclusive_scan_kernelIN10test_utils16custom_test_typeI6__halfEELj32ELj8EENSt9enable_ifIXsr10test_utilsE35device_test_enabled_for_warp_size_vIXT1_EEEvE4typeEPT_S8_
    .private_segment_fixed_size: 0
    .sgpr_count:     12
    .sgpr_spill_count: 0
    .symbol:         _Z26warp_inclusive_scan_kernelIN10test_utils16custom_test_typeI6__halfEELj32ELj8EENSt9enable_ifIXsr10test_utilsE35device_test_enabled_for_warp_size_vIXT1_EEEvE4typeEPT_S8_.kd
    .uniform_work_group_size: 1
    .uses_dynamic_stack: false
    .vgpr_count:     7
    .vgpr_spill_count: 0
    .wavefront_size: 64
  - .args:
      - .address_space:  global
        .offset:         0
        .size:           8
        .value_kind:     global_buffer
      - .address_space:  global
        .offset:         8
        .size:           8
        .value_kind:     global_buffer
      - .offset:         16
        .size:           4
        .value_kind:     hidden_block_count_x
      - .offset:         20
        .size:           4
        .value_kind:     hidden_block_count_y
      - .offset:         24
        .size:           4
        .value_kind:     hidden_block_count_z
      - .offset:         28
        .size:           2
        .value_kind:     hidden_group_size_x
      - .offset:         30
        .size:           2
        .value_kind:     hidden_group_size_y
      - .offset:         32
        .size:           2
        .value_kind:     hidden_group_size_z
      - .offset:         34
        .size:           2
        .value_kind:     hidden_remainder_x
      - .offset:         36
        .size:           2
        .value_kind:     hidden_remainder_y
      - .offset:         38
        .size:           2
        .value_kind:     hidden_remainder_z
      - .offset:         56
        .size:           8
        .value_kind:     hidden_global_offset_x
      - .offset:         64
        .size:           8
        .value_kind:     hidden_global_offset_y
      - .offset:         72
        .size:           8
        .value_kind:     hidden_global_offset_z
      - .offset:         80
        .size:           2
        .value_kind:     hidden_grid_dims
    .group_segment_fixed_size: 0
    .kernarg_segment_align: 8
    .kernarg_segment_size: 272
    .language:       OpenCL C
    .language_version:
      - 2
      - 0
    .max_flat_workgroup_size: 64
    .name:           _Z26warp_inclusive_scan_kernelIN10test_utils16custom_test_typeI6__halfEELj64ELj8EENSt9enable_ifIXsr10test_utilsE35device_test_enabled_for_warp_size_vIXT1_EEEvE4typeEPT_S8_
    .private_segment_fixed_size: 0
    .sgpr_count:     12
    .sgpr_spill_count: 0
    .symbol:         _Z26warp_inclusive_scan_kernelIN10test_utils16custom_test_typeI6__halfEELj64ELj8EENSt9enable_ifIXsr10test_utilsE35device_test_enabled_for_warp_size_vIXT1_EEEvE4typeEPT_S8_.kd
    .uniform_work_group_size: 1
    .uses_dynamic_stack: false
    .vgpr_count:     7
    .vgpr_spill_count: 0
    .wavefront_size: 64
  - .args:
      - .address_space:  global
        .offset:         0
        .size:           8
        .value_kind:     global_buffer
      - .address_space:  global
        .offset:         8
        .size:           8
        .value_kind:     global_buffer
      - .offset:         16
        .size:           4
        .value_kind:     hidden_block_count_x
      - .offset:         20
        .size:           4
        .value_kind:     hidden_block_count_y
      - .offset:         24
        .size:           4
        .value_kind:     hidden_block_count_z
      - .offset:         28
        .size:           2
        .value_kind:     hidden_group_size_x
      - .offset:         30
        .size:           2
        .value_kind:     hidden_group_size_y
      - .offset:         32
        .size:           2
        .value_kind:     hidden_group_size_z
      - .offset:         34
        .size:           2
        .value_kind:     hidden_remainder_x
      - .offset:         36
        .size:           2
        .value_kind:     hidden_remainder_y
      - .offset:         38
        .size:           2
        .value_kind:     hidden_remainder_z
      - .offset:         56
        .size:           8
        .value_kind:     hidden_global_offset_x
      - .offset:         64
        .size:           8
        .value_kind:     hidden_global_offset_y
      - .offset:         72
        .size:           8
        .value_kind:     hidden_global_offset_z
      - .offset:         80
        .size:           2
        .value_kind:     hidden_grid_dims
    .group_segment_fixed_size: 0
    .kernarg_segment_align: 8
    .kernarg_segment_size: 272
    .language:       OpenCL C
    .language_version:
      - 2
      - 0
    .max_flat_workgroup_size: 32
    .name:           _Z26warp_inclusive_scan_kernelIN10test_utils16custom_test_typeI6__halfEELj32ELj4EENSt9enable_ifIXsr10test_utilsE35device_test_enabled_for_warp_size_vIXT1_EEEvE4typeEPT_S8_
    .private_segment_fixed_size: 0
    .sgpr_count:     12
    .sgpr_spill_count: 0
    .symbol:         _Z26warp_inclusive_scan_kernelIN10test_utils16custom_test_typeI6__halfEELj32ELj4EENSt9enable_ifIXsr10test_utilsE35device_test_enabled_for_warp_size_vIXT1_EEEvE4typeEPT_S8_.kd
    .uniform_work_group_size: 1
    .uses_dynamic_stack: false
    .vgpr_count:     5
    .vgpr_spill_count: 0
    .wavefront_size: 64
  - .args:
      - .address_space:  global
        .offset:         0
        .size:           8
        .value_kind:     global_buffer
      - .address_space:  global
        .offset:         8
        .size:           8
        .value_kind:     global_buffer
      - .offset:         16
        .size:           4
        .value_kind:     hidden_block_count_x
      - .offset:         20
        .size:           4
        .value_kind:     hidden_block_count_y
      - .offset:         24
        .size:           4
        .value_kind:     hidden_block_count_z
      - .offset:         28
        .size:           2
        .value_kind:     hidden_group_size_x
      - .offset:         30
        .size:           2
        .value_kind:     hidden_group_size_y
      - .offset:         32
        .size:           2
        .value_kind:     hidden_group_size_z
      - .offset:         34
        .size:           2
        .value_kind:     hidden_remainder_x
      - .offset:         36
        .size:           2
        .value_kind:     hidden_remainder_y
      - .offset:         38
        .size:           2
        .value_kind:     hidden_remainder_z
      - .offset:         56
        .size:           8
        .value_kind:     hidden_global_offset_x
      - .offset:         64
        .size:           8
        .value_kind:     hidden_global_offset_y
      - .offset:         72
        .size:           8
        .value_kind:     hidden_global_offset_z
      - .offset:         80
        .size:           2
        .value_kind:     hidden_grid_dims
    .group_segment_fixed_size: 0
    .kernarg_segment_align: 8
    .kernarg_segment_size: 272
    .language:       OpenCL C
    .language_version:
      - 2
      - 0
    .max_flat_workgroup_size: 64
    .name:           _Z26warp_inclusive_scan_kernelIN10test_utils16custom_test_typeI6__halfEELj64ELj4EENSt9enable_ifIXsr10test_utilsE35device_test_enabled_for_warp_size_vIXT1_EEEvE4typeEPT_S8_
    .private_segment_fixed_size: 0
    .sgpr_count:     12
    .sgpr_spill_count: 0
    .symbol:         _Z26warp_inclusive_scan_kernelIN10test_utils16custom_test_typeI6__halfEELj64ELj4EENSt9enable_ifIXsr10test_utilsE35device_test_enabled_for_warp_size_vIXT1_EEEvE4typeEPT_S8_.kd
    .uniform_work_group_size: 1
    .uses_dynamic_stack: false
    .vgpr_count:     5
    .vgpr_spill_count: 0
    .wavefront_size: 64
  - .args:
      - .address_space:  global
        .offset:         0
        .size:           8
        .value_kind:     global_buffer
      - .address_space:  global
        .offset:         8
        .size:           8
        .value_kind:     global_buffer
      - .offset:         16
        .size:           4
        .value_kind:     hidden_block_count_x
      - .offset:         20
        .size:           4
        .value_kind:     hidden_block_count_y
      - .offset:         24
        .size:           4
        .value_kind:     hidden_block_count_z
      - .offset:         28
        .size:           2
        .value_kind:     hidden_group_size_x
      - .offset:         30
        .size:           2
        .value_kind:     hidden_group_size_y
      - .offset:         32
        .size:           2
        .value_kind:     hidden_group_size_z
      - .offset:         34
        .size:           2
        .value_kind:     hidden_remainder_x
      - .offset:         36
        .size:           2
        .value_kind:     hidden_remainder_y
      - .offset:         38
        .size:           2
        .value_kind:     hidden_remainder_z
      - .offset:         56
        .size:           8
        .value_kind:     hidden_global_offset_x
      - .offset:         64
        .size:           8
        .value_kind:     hidden_global_offset_y
      - .offset:         72
        .size:           8
        .value_kind:     hidden_global_offset_z
      - .offset:         80
        .size:           2
        .value_kind:     hidden_grid_dims
    .group_segment_fixed_size: 0
    .kernarg_segment_align: 8
    .kernarg_segment_size: 272
    .language:       OpenCL C
    .language_version:
      - 2
      - 0
    .max_flat_workgroup_size: 32
    .name:           _Z26warp_inclusive_scan_kernelIN10test_utils16custom_test_typeI6__halfEELj32ELj2EENSt9enable_ifIXsr10test_utilsE35device_test_enabled_for_warp_size_vIXT1_EEEvE4typeEPT_S8_
    .private_segment_fixed_size: 0
    .sgpr_count:     12
    .sgpr_spill_count: 0
    .symbol:         _Z26warp_inclusive_scan_kernelIN10test_utils16custom_test_typeI6__halfEELj32ELj2EENSt9enable_ifIXsr10test_utilsE35device_test_enabled_for_warp_size_vIXT1_EEEvE4typeEPT_S8_.kd
    .uniform_work_group_size: 1
    .uses_dynamic_stack: false
    .vgpr_count:     6
    .vgpr_spill_count: 0
    .wavefront_size: 64
  - .args:
      - .address_space:  global
        .offset:         0
        .size:           8
        .value_kind:     global_buffer
      - .address_space:  global
        .offset:         8
        .size:           8
        .value_kind:     global_buffer
      - .offset:         16
        .size:           4
        .value_kind:     hidden_block_count_x
      - .offset:         20
        .size:           4
        .value_kind:     hidden_block_count_y
      - .offset:         24
        .size:           4
        .value_kind:     hidden_block_count_z
      - .offset:         28
        .size:           2
        .value_kind:     hidden_group_size_x
      - .offset:         30
        .size:           2
        .value_kind:     hidden_group_size_y
      - .offset:         32
        .size:           2
        .value_kind:     hidden_group_size_z
      - .offset:         34
        .size:           2
        .value_kind:     hidden_remainder_x
      - .offset:         36
        .size:           2
        .value_kind:     hidden_remainder_y
      - .offset:         38
        .size:           2
        .value_kind:     hidden_remainder_z
      - .offset:         56
        .size:           8
        .value_kind:     hidden_global_offset_x
      - .offset:         64
        .size:           8
        .value_kind:     hidden_global_offset_y
      - .offset:         72
        .size:           8
        .value_kind:     hidden_global_offset_z
      - .offset:         80
        .size:           2
        .value_kind:     hidden_grid_dims
    .group_segment_fixed_size: 0
    .kernarg_segment_align: 8
    .kernarg_segment_size: 272
    .language:       OpenCL C
    .language_version:
      - 2
      - 0
    .max_flat_workgroup_size: 64
    .name:           _Z26warp_inclusive_scan_kernelIN10test_utils16custom_test_typeI6__halfEELj64ELj2EENSt9enable_ifIXsr10test_utilsE35device_test_enabled_for_warp_size_vIXT1_EEEvE4typeEPT_S8_
    .private_segment_fixed_size: 0
    .sgpr_count:     12
    .sgpr_spill_count: 0
    .symbol:         _Z26warp_inclusive_scan_kernelIN10test_utils16custom_test_typeI6__halfEELj64ELj2EENSt9enable_ifIXsr10test_utilsE35device_test_enabled_for_warp_size_vIXT1_EEEvE4typeEPT_S8_.kd
    .uniform_work_group_size: 1
    .uses_dynamic_stack: false
    .vgpr_count:     6
    .vgpr_spill_count: 0
    .wavefront_size: 64
  - .args:
      - .address_space:  global
        .offset:         0
        .size:           8
        .value_kind:     global_buffer
      - .address_space:  global
        .offset:         8
        .size:           8
        .value_kind:     global_buffer
      - .offset:         16
        .size:           4
        .value_kind:     hidden_block_count_x
      - .offset:         20
        .size:           4
        .value_kind:     hidden_block_count_y
      - .offset:         24
        .size:           4
        .value_kind:     hidden_block_count_z
      - .offset:         28
        .size:           2
        .value_kind:     hidden_group_size_x
      - .offset:         30
        .size:           2
        .value_kind:     hidden_group_size_y
      - .offset:         32
        .size:           2
        .value_kind:     hidden_group_size_z
      - .offset:         34
        .size:           2
        .value_kind:     hidden_remainder_x
      - .offset:         36
        .size:           2
        .value_kind:     hidden_remainder_y
      - .offset:         38
        .size:           2
        .value_kind:     hidden_remainder_z
      - .offset:         56
        .size:           8
        .value_kind:     hidden_global_offset_x
      - .offset:         64
        .size:           8
        .value_kind:     hidden_global_offset_y
      - .offset:         72
        .size:           8
        .value_kind:     hidden_global_offset_z
      - .offset:         80
        .size:           2
        .value_kind:     hidden_grid_dims
    .group_segment_fixed_size: 0
    .kernarg_segment_align: 8
    .kernarg_segment_size: 272
    .language:       OpenCL C
    .language_version:
      - 2
      - 0
    .max_flat_workgroup_size: 256
    .name:           _Z26warp_inclusive_scan_kernelIN10test_utils16custom_test_typeIfEELj256ELj64EENSt9enable_ifIXsr10test_utilsE35device_test_enabled_for_warp_size_vIXT1_EEEvE4typeEPT_S7_
    .private_segment_fixed_size: 0
    .sgpr_count:     12
    .sgpr_spill_count: 0
    .symbol:         _Z26warp_inclusive_scan_kernelIN10test_utils16custom_test_typeIfEELj256ELj64EENSt9enable_ifIXsr10test_utilsE35device_test_enabled_for_warp_size_vIXT1_EEEvE4typeEPT_S7_.kd
    .uniform_work_group_size: 1
    .uses_dynamic_stack: false
    .vgpr_count:     8
    .vgpr_spill_count: 0
    .wavefront_size: 64
  - .args:
      - .address_space:  global
        .offset:         0
        .size:           8
        .value_kind:     global_buffer
      - .address_space:  global
        .offset:         8
        .size:           8
        .value_kind:     global_buffer
      - .offset:         16
        .size:           4
        .value_kind:     hidden_block_count_x
      - .offset:         20
        .size:           4
        .value_kind:     hidden_block_count_y
      - .offset:         24
        .size:           4
        .value_kind:     hidden_block_count_z
      - .offset:         28
        .size:           2
        .value_kind:     hidden_group_size_x
      - .offset:         30
        .size:           2
        .value_kind:     hidden_group_size_y
      - .offset:         32
        .size:           2
        .value_kind:     hidden_group_size_z
      - .offset:         34
        .size:           2
        .value_kind:     hidden_remainder_x
      - .offset:         36
        .size:           2
        .value_kind:     hidden_remainder_y
      - .offset:         38
        .size:           2
        .value_kind:     hidden_remainder_z
      - .offset:         56
        .size:           8
        .value_kind:     hidden_global_offset_x
      - .offset:         64
        .size:           8
        .value_kind:     hidden_global_offset_y
      - .offset:         72
        .size:           8
        .value_kind:     hidden_global_offset_z
      - .offset:         80
        .size:           2
        .value_kind:     hidden_grid_dims
    .group_segment_fixed_size: 0
    .kernarg_segment_align: 8
    .kernarg_segment_size: 272
    .language:       OpenCL C
    .language_version:
      - 2
      - 0
    .max_flat_workgroup_size: 128
    .name:           _Z26warp_inclusive_scan_kernelIN10test_utils16custom_test_typeIfEELj128ELj32EENSt9enable_ifIXsr10test_utilsE35device_test_enabled_for_warp_size_vIXT1_EEEvE4typeEPT_S7_
    .private_segment_fixed_size: 0
    .sgpr_count:     12
    .sgpr_spill_count: 0
    .symbol:         _Z26warp_inclusive_scan_kernelIN10test_utils16custom_test_typeIfEELj128ELj32EENSt9enable_ifIXsr10test_utilsE35device_test_enabled_for_warp_size_vIXT1_EEEvE4typeEPT_S7_.kd
    .uniform_work_group_size: 1
    .uses_dynamic_stack: false
    .vgpr_count:     8
    .vgpr_spill_count: 0
    .wavefront_size: 64
  - .args:
      - .address_space:  global
        .offset:         0
        .size:           8
        .value_kind:     global_buffer
      - .address_space:  global
        .offset:         8
        .size:           8
        .value_kind:     global_buffer
      - .offset:         16
        .size:           4
        .value_kind:     hidden_block_count_x
      - .offset:         20
        .size:           4
        .value_kind:     hidden_block_count_y
      - .offset:         24
        .size:           4
        .value_kind:     hidden_block_count_z
      - .offset:         28
        .size:           2
        .value_kind:     hidden_group_size_x
      - .offset:         30
        .size:           2
        .value_kind:     hidden_group_size_y
      - .offset:         32
        .size:           2
        .value_kind:     hidden_group_size_z
      - .offset:         34
        .size:           2
        .value_kind:     hidden_remainder_x
      - .offset:         36
        .size:           2
        .value_kind:     hidden_remainder_y
      - .offset:         38
        .size:           2
        .value_kind:     hidden_remainder_z
      - .offset:         56
        .size:           8
        .value_kind:     hidden_global_offset_x
      - .offset:         64
        .size:           8
        .value_kind:     hidden_global_offset_y
      - .offset:         72
        .size:           8
        .value_kind:     hidden_global_offset_z
      - .offset:         80
        .size:           2
        .value_kind:     hidden_grid_dims
    .group_segment_fixed_size: 0
    .kernarg_segment_align: 8
    .kernarg_segment_size: 272
    .language:       OpenCL C
    .language_version:
      - 2
      - 0
    .max_flat_workgroup_size: 64
    .name:           _Z26warp_inclusive_scan_kernelIN10test_utils16custom_test_typeIfEELj64ELj16EENSt9enable_ifIXsr10test_utilsE35device_test_enabled_for_warp_size_vIXT1_EEEvE4typeEPT_S7_
    .private_segment_fixed_size: 0
    .sgpr_count:     12
    .sgpr_spill_count: 0
    .symbol:         _Z26warp_inclusive_scan_kernelIN10test_utils16custom_test_typeIfEELj64ELj16EENSt9enable_ifIXsr10test_utilsE35device_test_enabled_for_warp_size_vIXT1_EEEvE4typeEPT_S7_.kd
    .uniform_work_group_size: 1
    .uses_dynamic_stack: false
    .vgpr_count:     7
    .vgpr_spill_count: 0
    .wavefront_size: 64
  - .args:
      - .address_space:  global
        .offset:         0
        .size:           8
        .value_kind:     global_buffer
      - .address_space:  global
        .offset:         8
        .size:           8
        .value_kind:     global_buffer
      - .offset:         16
        .size:           4
        .value_kind:     hidden_block_count_x
      - .offset:         20
        .size:           4
        .value_kind:     hidden_block_count_y
      - .offset:         24
        .size:           4
        .value_kind:     hidden_block_count_z
      - .offset:         28
        .size:           2
        .value_kind:     hidden_group_size_x
      - .offset:         30
        .size:           2
        .value_kind:     hidden_group_size_y
      - .offset:         32
        .size:           2
        .value_kind:     hidden_group_size_z
      - .offset:         34
        .size:           2
        .value_kind:     hidden_remainder_x
      - .offset:         36
        .size:           2
        .value_kind:     hidden_remainder_y
      - .offset:         38
        .size:           2
        .value_kind:     hidden_remainder_z
      - .offset:         56
        .size:           8
        .value_kind:     hidden_global_offset_x
      - .offset:         64
        .size:           8
        .value_kind:     hidden_global_offset_y
      - .offset:         72
        .size:           8
        .value_kind:     hidden_global_offset_z
      - .offset:         80
        .size:           2
        .value_kind:     hidden_grid_dims
    .group_segment_fixed_size: 0
    .kernarg_segment_align: 8
    .kernarg_segment_size: 272
    .language:       OpenCL C
    .language_version:
      - 2
      - 0
    .max_flat_workgroup_size: 32
    .name:           _Z26warp_inclusive_scan_kernelIN10test_utils16custom_test_typeIfEELj32ELj8EENSt9enable_ifIXsr10test_utilsE35device_test_enabled_for_warp_size_vIXT1_EEEvE4typeEPT_S7_
    .private_segment_fixed_size: 0
    .sgpr_count:     12
    .sgpr_spill_count: 0
    .symbol:         _Z26warp_inclusive_scan_kernelIN10test_utils16custom_test_typeIfEELj32ELj8EENSt9enable_ifIXsr10test_utilsE35device_test_enabled_for_warp_size_vIXT1_EEEvE4typeEPT_S7_.kd
    .uniform_work_group_size: 1
    .uses_dynamic_stack: false
    .vgpr_count:     7
    .vgpr_spill_count: 0
    .wavefront_size: 64
  - .args:
      - .address_space:  global
        .offset:         0
        .size:           8
        .value_kind:     global_buffer
      - .address_space:  global
        .offset:         8
        .size:           8
        .value_kind:     global_buffer
      - .offset:         16
        .size:           4
        .value_kind:     hidden_block_count_x
      - .offset:         20
        .size:           4
        .value_kind:     hidden_block_count_y
      - .offset:         24
        .size:           4
        .value_kind:     hidden_block_count_z
      - .offset:         28
        .size:           2
        .value_kind:     hidden_group_size_x
      - .offset:         30
        .size:           2
        .value_kind:     hidden_group_size_y
      - .offset:         32
        .size:           2
        .value_kind:     hidden_group_size_z
      - .offset:         34
        .size:           2
        .value_kind:     hidden_remainder_x
      - .offset:         36
        .size:           2
        .value_kind:     hidden_remainder_y
      - .offset:         38
        .size:           2
        .value_kind:     hidden_remainder_z
      - .offset:         56
        .size:           8
        .value_kind:     hidden_global_offset_x
      - .offset:         64
        .size:           8
        .value_kind:     hidden_global_offset_y
      - .offset:         72
        .size:           8
        .value_kind:     hidden_global_offset_z
      - .offset:         80
        .size:           2
        .value_kind:     hidden_grid_dims
    .group_segment_fixed_size: 0
    .kernarg_segment_align: 8
    .kernarg_segment_size: 272
    .language:       OpenCL C
    .language_version:
      - 2
      - 0
    .max_flat_workgroup_size: 64
    .name:           _Z26warp_inclusive_scan_kernelIN10test_utils16custom_test_typeIfEELj64ELj8EENSt9enable_ifIXsr10test_utilsE35device_test_enabled_for_warp_size_vIXT1_EEEvE4typeEPT_S7_
    .private_segment_fixed_size: 0
    .sgpr_count:     12
    .sgpr_spill_count: 0
    .symbol:         _Z26warp_inclusive_scan_kernelIN10test_utils16custom_test_typeIfEELj64ELj8EENSt9enable_ifIXsr10test_utilsE35device_test_enabled_for_warp_size_vIXT1_EEEvE4typeEPT_S7_.kd
    .uniform_work_group_size: 1
    .uses_dynamic_stack: false
    .vgpr_count:     7
    .vgpr_spill_count: 0
    .wavefront_size: 64
  - .args:
      - .address_space:  global
        .offset:         0
        .size:           8
        .value_kind:     global_buffer
      - .address_space:  global
        .offset:         8
        .size:           8
        .value_kind:     global_buffer
      - .offset:         16
        .size:           4
        .value_kind:     hidden_block_count_x
      - .offset:         20
        .size:           4
        .value_kind:     hidden_block_count_y
      - .offset:         24
        .size:           4
        .value_kind:     hidden_block_count_z
      - .offset:         28
        .size:           2
        .value_kind:     hidden_group_size_x
      - .offset:         30
        .size:           2
        .value_kind:     hidden_group_size_y
      - .offset:         32
        .size:           2
        .value_kind:     hidden_group_size_z
      - .offset:         34
        .size:           2
        .value_kind:     hidden_remainder_x
      - .offset:         36
        .size:           2
        .value_kind:     hidden_remainder_y
      - .offset:         38
        .size:           2
        .value_kind:     hidden_remainder_z
      - .offset:         56
        .size:           8
        .value_kind:     hidden_global_offset_x
      - .offset:         64
        .size:           8
        .value_kind:     hidden_global_offset_y
      - .offset:         72
        .size:           8
        .value_kind:     hidden_global_offset_z
      - .offset:         80
        .size:           2
        .value_kind:     hidden_grid_dims
    .group_segment_fixed_size: 0
    .kernarg_segment_align: 8
    .kernarg_segment_size: 272
    .language:       OpenCL C
    .language_version:
      - 2
      - 0
    .max_flat_workgroup_size: 32
    .name:           _Z26warp_inclusive_scan_kernelIN10test_utils16custom_test_typeIfEELj32ELj4EENSt9enable_ifIXsr10test_utilsE35device_test_enabled_for_warp_size_vIXT1_EEEvE4typeEPT_S7_
    .private_segment_fixed_size: 0
    .sgpr_count:     12
    .sgpr_spill_count: 0
    .symbol:         _Z26warp_inclusive_scan_kernelIN10test_utils16custom_test_typeIfEELj32ELj4EENSt9enable_ifIXsr10test_utilsE35device_test_enabled_for_warp_size_vIXT1_EEEvE4typeEPT_S7_.kd
    .uniform_work_group_size: 1
    .uses_dynamic_stack: false
    .vgpr_count:     7
    .vgpr_spill_count: 0
    .wavefront_size: 64
  - .args:
      - .address_space:  global
        .offset:         0
        .size:           8
        .value_kind:     global_buffer
      - .address_space:  global
        .offset:         8
        .size:           8
        .value_kind:     global_buffer
      - .offset:         16
        .size:           4
        .value_kind:     hidden_block_count_x
      - .offset:         20
        .size:           4
        .value_kind:     hidden_block_count_y
      - .offset:         24
        .size:           4
        .value_kind:     hidden_block_count_z
      - .offset:         28
        .size:           2
        .value_kind:     hidden_group_size_x
      - .offset:         30
        .size:           2
        .value_kind:     hidden_group_size_y
      - .offset:         32
        .size:           2
        .value_kind:     hidden_group_size_z
      - .offset:         34
        .size:           2
        .value_kind:     hidden_remainder_x
      - .offset:         36
        .size:           2
        .value_kind:     hidden_remainder_y
      - .offset:         38
        .size:           2
        .value_kind:     hidden_remainder_z
      - .offset:         56
        .size:           8
        .value_kind:     hidden_global_offset_x
      - .offset:         64
        .size:           8
        .value_kind:     hidden_global_offset_y
      - .offset:         72
        .size:           8
        .value_kind:     hidden_global_offset_z
      - .offset:         80
        .size:           2
        .value_kind:     hidden_grid_dims
    .group_segment_fixed_size: 0
    .kernarg_segment_align: 8
    .kernarg_segment_size: 272
    .language:       OpenCL C
    .language_version:
      - 2
      - 0
    .max_flat_workgroup_size: 64
    .name:           _Z26warp_inclusive_scan_kernelIN10test_utils16custom_test_typeIfEELj64ELj4EENSt9enable_ifIXsr10test_utilsE35device_test_enabled_for_warp_size_vIXT1_EEEvE4typeEPT_S7_
    .private_segment_fixed_size: 0
    .sgpr_count:     12
    .sgpr_spill_count: 0
    .symbol:         _Z26warp_inclusive_scan_kernelIN10test_utils16custom_test_typeIfEELj64ELj4EENSt9enable_ifIXsr10test_utilsE35device_test_enabled_for_warp_size_vIXT1_EEEvE4typeEPT_S7_.kd
    .uniform_work_group_size: 1
    .uses_dynamic_stack: false
    .vgpr_count:     7
    .vgpr_spill_count: 0
    .wavefront_size: 64
  - .args:
      - .address_space:  global
        .offset:         0
        .size:           8
        .value_kind:     global_buffer
      - .address_space:  global
        .offset:         8
        .size:           8
        .value_kind:     global_buffer
      - .offset:         16
        .size:           4
        .value_kind:     hidden_block_count_x
      - .offset:         20
        .size:           4
        .value_kind:     hidden_block_count_y
      - .offset:         24
        .size:           4
        .value_kind:     hidden_block_count_z
      - .offset:         28
        .size:           2
        .value_kind:     hidden_group_size_x
      - .offset:         30
        .size:           2
        .value_kind:     hidden_group_size_y
      - .offset:         32
        .size:           2
        .value_kind:     hidden_group_size_z
      - .offset:         34
        .size:           2
        .value_kind:     hidden_remainder_x
      - .offset:         36
        .size:           2
        .value_kind:     hidden_remainder_y
      - .offset:         38
        .size:           2
        .value_kind:     hidden_remainder_z
      - .offset:         56
        .size:           8
        .value_kind:     hidden_global_offset_x
      - .offset:         64
        .size:           8
        .value_kind:     hidden_global_offset_y
      - .offset:         72
        .size:           8
        .value_kind:     hidden_global_offset_z
      - .offset:         80
        .size:           2
        .value_kind:     hidden_grid_dims
    .group_segment_fixed_size: 0
    .kernarg_segment_align: 8
    .kernarg_segment_size: 272
    .language:       OpenCL C
    .language_version:
      - 2
      - 0
    .max_flat_workgroup_size: 32
    .name:           _Z26warp_inclusive_scan_kernelIN10test_utils16custom_test_typeIfEELj32ELj2EENSt9enable_ifIXsr10test_utilsE35device_test_enabled_for_warp_size_vIXT1_EEEvE4typeEPT_S7_
    .private_segment_fixed_size: 0
    .sgpr_count:     12
    .sgpr_spill_count: 0
    .symbol:         _Z26warp_inclusive_scan_kernelIN10test_utils16custom_test_typeIfEELj32ELj2EENSt9enable_ifIXsr10test_utilsE35device_test_enabled_for_warp_size_vIXT1_EEEvE4typeEPT_S7_.kd
    .uniform_work_group_size: 1
    .uses_dynamic_stack: false
    .vgpr_count:     8
    .vgpr_spill_count: 0
    .wavefront_size: 64
  - .args:
      - .address_space:  global
        .offset:         0
        .size:           8
        .value_kind:     global_buffer
      - .address_space:  global
        .offset:         8
        .size:           8
        .value_kind:     global_buffer
      - .offset:         16
        .size:           4
        .value_kind:     hidden_block_count_x
      - .offset:         20
        .size:           4
        .value_kind:     hidden_block_count_y
      - .offset:         24
        .size:           4
        .value_kind:     hidden_block_count_z
      - .offset:         28
        .size:           2
        .value_kind:     hidden_group_size_x
      - .offset:         30
        .size:           2
        .value_kind:     hidden_group_size_y
      - .offset:         32
        .size:           2
        .value_kind:     hidden_group_size_z
      - .offset:         34
        .size:           2
        .value_kind:     hidden_remainder_x
      - .offset:         36
        .size:           2
        .value_kind:     hidden_remainder_y
      - .offset:         38
        .size:           2
        .value_kind:     hidden_remainder_z
      - .offset:         56
        .size:           8
        .value_kind:     hidden_global_offset_x
      - .offset:         64
        .size:           8
        .value_kind:     hidden_global_offset_y
      - .offset:         72
        .size:           8
        .value_kind:     hidden_global_offset_z
      - .offset:         80
        .size:           2
        .value_kind:     hidden_grid_dims
    .group_segment_fixed_size: 0
    .kernarg_segment_align: 8
    .kernarg_segment_size: 272
    .language:       OpenCL C
    .language_version:
      - 2
      - 0
    .max_flat_workgroup_size: 64
    .name:           _Z26warp_inclusive_scan_kernelIN10test_utils16custom_test_typeIfEELj64ELj2EENSt9enable_ifIXsr10test_utilsE35device_test_enabled_for_warp_size_vIXT1_EEEvE4typeEPT_S7_
    .private_segment_fixed_size: 0
    .sgpr_count:     12
    .sgpr_spill_count: 0
    .symbol:         _Z26warp_inclusive_scan_kernelIN10test_utils16custom_test_typeIfEELj64ELj2EENSt9enable_ifIXsr10test_utilsE35device_test_enabled_for_warp_size_vIXT1_EEEvE4typeEPT_S7_.kd
    .uniform_work_group_size: 1
    .uses_dynamic_stack: false
    .vgpr_count:     8
    .vgpr_spill_count: 0
    .wavefront_size: 64
  - .args:
      - .address_space:  global
        .offset:         0
        .size:           8
        .value_kind:     global_buffer
      - .address_space:  global
        .offset:         8
        .size:           8
        .value_kind:     global_buffer
      - .offset:         16
        .size:           4
        .value_kind:     hidden_block_count_x
      - .offset:         20
        .size:           4
        .value_kind:     hidden_block_count_y
      - .offset:         24
        .size:           4
        .value_kind:     hidden_block_count_z
      - .offset:         28
        .size:           2
        .value_kind:     hidden_group_size_x
      - .offset:         30
        .size:           2
        .value_kind:     hidden_group_size_y
      - .offset:         32
        .size:           2
        .value_kind:     hidden_group_size_z
      - .offset:         34
        .size:           2
        .value_kind:     hidden_remainder_x
      - .offset:         36
        .size:           2
        .value_kind:     hidden_remainder_y
      - .offset:         38
        .size:           2
        .value_kind:     hidden_remainder_z
      - .offset:         56
        .size:           8
        .value_kind:     hidden_global_offset_x
      - .offset:         64
        .size:           8
        .value_kind:     hidden_global_offset_y
      - .offset:         72
        .size:           8
        .value_kind:     hidden_global_offset_z
      - .offset:         80
        .size:           2
        .value_kind:     hidden_grid_dims
    .group_segment_fixed_size: 0
    .kernarg_segment_align: 8
    .kernarg_segment_size: 272
    .language:       OpenCL C
    .language_version:
      - 2
      - 0
    .max_flat_workgroup_size: 256
    .name:           _Z26warp_inclusive_scan_kernelIN10test_utils16custom_test_typeIiEELj256ELj64EENSt9enable_ifIXsr10test_utilsE35device_test_enabled_for_warp_size_vIXT1_EEEvE4typeEPT_S7_
    .private_segment_fixed_size: 0
    .sgpr_count:     12
    .sgpr_spill_count: 0
    .symbol:         _Z26warp_inclusive_scan_kernelIN10test_utils16custom_test_typeIiEELj256ELj64EENSt9enable_ifIXsr10test_utilsE35device_test_enabled_for_warp_size_vIXT1_EEEvE4typeEPT_S7_.kd
    .uniform_work_group_size: 1
    .uses_dynamic_stack: false
    .vgpr_count:     10
    .vgpr_spill_count: 0
    .wavefront_size: 64
  - .args:
      - .address_space:  global
        .offset:         0
        .size:           8
        .value_kind:     global_buffer
      - .address_space:  global
        .offset:         8
        .size:           8
        .value_kind:     global_buffer
      - .offset:         16
        .size:           4
        .value_kind:     hidden_block_count_x
      - .offset:         20
        .size:           4
        .value_kind:     hidden_block_count_y
      - .offset:         24
        .size:           4
        .value_kind:     hidden_block_count_z
      - .offset:         28
        .size:           2
        .value_kind:     hidden_group_size_x
      - .offset:         30
        .size:           2
        .value_kind:     hidden_group_size_y
      - .offset:         32
        .size:           2
        .value_kind:     hidden_group_size_z
      - .offset:         34
        .size:           2
        .value_kind:     hidden_remainder_x
      - .offset:         36
        .size:           2
        .value_kind:     hidden_remainder_y
      - .offset:         38
        .size:           2
        .value_kind:     hidden_remainder_z
      - .offset:         56
        .size:           8
        .value_kind:     hidden_global_offset_x
      - .offset:         64
        .size:           8
        .value_kind:     hidden_global_offset_y
      - .offset:         72
        .size:           8
        .value_kind:     hidden_global_offset_z
      - .offset:         80
        .size:           2
        .value_kind:     hidden_grid_dims
    .group_segment_fixed_size: 0
    .kernarg_segment_align: 8
    .kernarg_segment_size: 272
    .language:       OpenCL C
    .language_version:
      - 2
      - 0
    .max_flat_workgroup_size: 128
    .name:           _Z26warp_inclusive_scan_kernelIN10test_utils16custom_test_typeIiEELj128ELj32EENSt9enable_ifIXsr10test_utilsE35device_test_enabled_for_warp_size_vIXT1_EEEvE4typeEPT_S7_
    .private_segment_fixed_size: 0
    .sgpr_count:     12
    .sgpr_spill_count: 0
    .symbol:         _Z26warp_inclusive_scan_kernelIN10test_utils16custom_test_typeIiEELj128ELj32EENSt9enable_ifIXsr10test_utilsE35device_test_enabled_for_warp_size_vIXT1_EEEvE4typeEPT_S7_.kd
    .uniform_work_group_size: 1
    .uses_dynamic_stack: false
    .vgpr_count:     9
    .vgpr_spill_count: 0
    .wavefront_size: 64
  - .args:
      - .address_space:  global
        .offset:         0
        .size:           8
        .value_kind:     global_buffer
      - .address_space:  global
        .offset:         8
        .size:           8
        .value_kind:     global_buffer
      - .offset:         16
        .size:           4
        .value_kind:     hidden_block_count_x
      - .offset:         20
        .size:           4
        .value_kind:     hidden_block_count_y
      - .offset:         24
        .size:           4
        .value_kind:     hidden_block_count_z
      - .offset:         28
        .size:           2
        .value_kind:     hidden_group_size_x
      - .offset:         30
        .size:           2
        .value_kind:     hidden_group_size_y
      - .offset:         32
        .size:           2
        .value_kind:     hidden_group_size_z
      - .offset:         34
        .size:           2
        .value_kind:     hidden_remainder_x
      - .offset:         36
        .size:           2
        .value_kind:     hidden_remainder_y
      - .offset:         38
        .size:           2
        .value_kind:     hidden_remainder_z
      - .offset:         56
        .size:           8
        .value_kind:     hidden_global_offset_x
      - .offset:         64
        .size:           8
        .value_kind:     hidden_global_offset_y
      - .offset:         72
        .size:           8
        .value_kind:     hidden_global_offset_z
      - .offset:         80
        .size:           2
        .value_kind:     hidden_grid_dims
    .group_segment_fixed_size: 0
    .kernarg_segment_align: 8
    .kernarg_segment_size: 272
    .language:       OpenCL C
    .language_version:
      - 2
      - 0
    .max_flat_workgroup_size: 64
    .name:           _Z26warp_inclusive_scan_kernelIN10test_utils16custom_test_typeIiEELj64ELj16EENSt9enable_ifIXsr10test_utilsE35device_test_enabled_for_warp_size_vIXT1_EEEvE4typeEPT_S7_
    .private_segment_fixed_size: 0
    .sgpr_count:     12
    .sgpr_spill_count: 0
    .symbol:         _Z26warp_inclusive_scan_kernelIN10test_utils16custom_test_typeIiEELj64ELj16EENSt9enable_ifIXsr10test_utilsE35device_test_enabled_for_warp_size_vIXT1_EEEvE4typeEPT_S7_.kd
    .uniform_work_group_size: 1
    .uses_dynamic_stack: false
    .vgpr_count:     8
    .vgpr_spill_count: 0
    .wavefront_size: 64
  - .args:
      - .address_space:  global
        .offset:         0
        .size:           8
        .value_kind:     global_buffer
      - .address_space:  global
        .offset:         8
        .size:           8
        .value_kind:     global_buffer
      - .offset:         16
        .size:           4
        .value_kind:     hidden_block_count_x
      - .offset:         20
        .size:           4
        .value_kind:     hidden_block_count_y
      - .offset:         24
        .size:           4
        .value_kind:     hidden_block_count_z
      - .offset:         28
        .size:           2
        .value_kind:     hidden_group_size_x
      - .offset:         30
        .size:           2
        .value_kind:     hidden_group_size_y
      - .offset:         32
        .size:           2
        .value_kind:     hidden_group_size_z
      - .offset:         34
        .size:           2
        .value_kind:     hidden_remainder_x
      - .offset:         36
        .size:           2
        .value_kind:     hidden_remainder_y
      - .offset:         38
        .size:           2
        .value_kind:     hidden_remainder_z
      - .offset:         56
        .size:           8
        .value_kind:     hidden_global_offset_x
      - .offset:         64
        .size:           8
        .value_kind:     hidden_global_offset_y
      - .offset:         72
        .size:           8
        .value_kind:     hidden_global_offset_z
      - .offset:         80
        .size:           2
        .value_kind:     hidden_grid_dims
    .group_segment_fixed_size: 0
    .kernarg_segment_align: 8
    .kernarg_segment_size: 272
    .language:       OpenCL C
    .language_version:
      - 2
      - 0
    .max_flat_workgroup_size: 32
    .name:           _Z26warp_inclusive_scan_kernelIN10test_utils16custom_test_typeIiEELj32ELj8EENSt9enable_ifIXsr10test_utilsE35device_test_enabled_for_warp_size_vIXT1_EEEvE4typeEPT_S7_
    .private_segment_fixed_size: 0
    .sgpr_count:     12
    .sgpr_spill_count: 0
    .symbol:         _Z26warp_inclusive_scan_kernelIN10test_utils16custom_test_typeIiEELj32ELj8EENSt9enable_ifIXsr10test_utilsE35device_test_enabled_for_warp_size_vIXT1_EEEvE4typeEPT_S7_.kd
    .uniform_work_group_size: 1
    .uses_dynamic_stack: false
    .vgpr_count:     8
    .vgpr_spill_count: 0
    .wavefront_size: 64
  - .args:
      - .address_space:  global
        .offset:         0
        .size:           8
        .value_kind:     global_buffer
      - .address_space:  global
        .offset:         8
        .size:           8
        .value_kind:     global_buffer
      - .offset:         16
        .size:           4
        .value_kind:     hidden_block_count_x
      - .offset:         20
        .size:           4
        .value_kind:     hidden_block_count_y
      - .offset:         24
        .size:           4
        .value_kind:     hidden_block_count_z
      - .offset:         28
        .size:           2
        .value_kind:     hidden_group_size_x
      - .offset:         30
        .size:           2
        .value_kind:     hidden_group_size_y
      - .offset:         32
        .size:           2
        .value_kind:     hidden_group_size_z
      - .offset:         34
        .size:           2
        .value_kind:     hidden_remainder_x
      - .offset:         36
        .size:           2
        .value_kind:     hidden_remainder_y
      - .offset:         38
        .size:           2
        .value_kind:     hidden_remainder_z
      - .offset:         56
        .size:           8
        .value_kind:     hidden_global_offset_x
      - .offset:         64
        .size:           8
        .value_kind:     hidden_global_offset_y
      - .offset:         72
        .size:           8
        .value_kind:     hidden_global_offset_z
      - .offset:         80
        .size:           2
        .value_kind:     hidden_grid_dims
    .group_segment_fixed_size: 0
    .kernarg_segment_align: 8
    .kernarg_segment_size: 272
    .language:       OpenCL C
    .language_version:
      - 2
      - 0
    .max_flat_workgroup_size: 64
    .name:           _Z26warp_inclusive_scan_kernelIN10test_utils16custom_test_typeIiEELj64ELj8EENSt9enable_ifIXsr10test_utilsE35device_test_enabled_for_warp_size_vIXT1_EEEvE4typeEPT_S7_
    .private_segment_fixed_size: 0
    .sgpr_count:     12
    .sgpr_spill_count: 0
    .symbol:         _Z26warp_inclusive_scan_kernelIN10test_utils16custom_test_typeIiEELj64ELj8EENSt9enable_ifIXsr10test_utilsE35device_test_enabled_for_warp_size_vIXT1_EEEvE4typeEPT_S7_.kd
    .uniform_work_group_size: 1
    .uses_dynamic_stack: false
    .vgpr_count:     8
    .vgpr_spill_count: 0
    .wavefront_size: 64
  - .args:
      - .address_space:  global
        .offset:         0
        .size:           8
        .value_kind:     global_buffer
      - .address_space:  global
        .offset:         8
        .size:           8
        .value_kind:     global_buffer
      - .offset:         16
        .size:           4
        .value_kind:     hidden_block_count_x
      - .offset:         20
        .size:           4
        .value_kind:     hidden_block_count_y
      - .offset:         24
        .size:           4
        .value_kind:     hidden_block_count_z
      - .offset:         28
        .size:           2
        .value_kind:     hidden_group_size_x
      - .offset:         30
        .size:           2
        .value_kind:     hidden_group_size_y
      - .offset:         32
        .size:           2
        .value_kind:     hidden_group_size_z
      - .offset:         34
        .size:           2
        .value_kind:     hidden_remainder_x
      - .offset:         36
        .size:           2
        .value_kind:     hidden_remainder_y
      - .offset:         38
        .size:           2
        .value_kind:     hidden_remainder_z
      - .offset:         56
        .size:           8
        .value_kind:     hidden_global_offset_x
      - .offset:         64
        .size:           8
        .value_kind:     hidden_global_offset_y
      - .offset:         72
        .size:           8
        .value_kind:     hidden_global_offset_z
      - .offset:         80
        .size:           2
        .value_kind:     hidden_grid_dims
    .group_segment_fixed_size: 0
    .kernarg_segment_align: 8
    .kernarg_segment_size: 272
    .language:       OpenCL C
    .language_version:
      - 2
      - 0
    .max_flat_workgroup_size: 32
    .name:           _Z26warp_inclusive_scan_kernelIN10test_utils16custom_test_typeIiEELj32ELj4EENSt9enable_ifIXsr10test_utilsE35device_test_enabled_for_warp_size_vIXT1_EEEvE4typeEPT_S7_
    .private_segment_fixed_size: 0
    .sgpr_count:     12
    .sgpr_spill_count: 0
    .symbol:         _Z26warp_inclusive_scan_kernelIN10test_utils16custom_test_typeIiEELj32ELj4EENSt9enable_ifIXsr10test_utilsE35device_test_enabled_for_warp_size_vIXT1_EEEvE4typeEPT_S7_.kd
    .uniform_work_group_size: 1
    .uses_dynamic_stack: false
    .vgpr_count:     8
    .vgpr_spill_count: 0
    .wavefront_size: 64
  - .args:
      - .address_space:  global
        .offset:         0
        .size:           8
        .value_kind:     global_buffer
      - .address_space:  global
        .offset:         8
        .size:           8
        .value_kind:     global_buffer
      - .offset:         16
        .size:           4
        .value_kind:     hidden_block_count_x
      - .offset:         20
        .size:           4
        .value_kind:     hidden_block_count_y
      - .offset:         24
        .size:           4
        .value_kind:     hidden_block_count_z
      - .offset:         28
        .size:           2
        .value_kind:     hidden_group_size_x
      - .offset:         30
        .size:           2
        .value_kind:     hidden_group_size_y
      - .offset:         32
        .size:           2
        .value_kind:     hidden_group_size_z
      - .offset:         34
        .size:           2
        .value_kind:     hidden_remainder_x
      - .offset:         36
        .size:           2
        .value_kind:     hidden_remainder_y
      - .offset:         38
        .size:           2
        .value_kind:     hidden_remainder_z
      - .offset:         56
        .size:           8
        .value_kind:     hidden_global_offset_x
      - .offset:         64
        .size:           8
        .value_kind:     hidden_global_offset_y
      - .offset:         72
        .size:           8
        .value_kind:     hidden_global_offset_z
      - .offset:         80
        .size:           2
        .value_kind:     hidden_grid_dims
    .group_segment_fixed_size: 0
    .kernarg_segment_align: 8
    .kernarg_segment_size: 272
    .language:       OpenCL C
    .language_version:
      - 2
      - 0
    .max_flat_workgroup_size: 64
    .name:           _Z26warp_inclusive_scan_kernelIN10test_utils16custom_test_typeIiEELj64ELj4EENSt9enable_ifIXsr10test_utilsE35device_test_enabled_for_warp_size_vIXT1_EEEvE4typeEPT_S7_
    .private_segment_fixed_size: 0
    .sgpr_count:     12
    .sgpr_spill_count: 0
    .symbol:         _Z26warp_inclusive_scan_kernelIN10test_utils16custom_test_typeIiEELj64ELj4EENSt9enable_ifIXsr10test_utilsE35device_test_enabled_for_warp_size_vIXT1_EEEvE4typeEPT_S7_.kd
    .uniform_work_group_size: 1
    .uses_dynamic_stack: false
    .vgpr_count:     8
    .vgpr_spill_count: 0
    .wavefront_size: 64
  - .args:
      - .address_space:  global
        .offset:         0
        .size:           8
        .value_kind:     global_buffer
      - .address_space:  global
        .offset:         8
        .size:           8
        .value_kind:     global_buffer
      - .offset:         16
        .size:           4
        .value_kind:     hidden_block_count_x
      - .offset:         20
        .size:           4
        .value_kind:     hidden_block_count_y
      - .offset:         24
        .size:           4
        .value_kind:     hidden_block_count_z
      - .offset:         28
        .size:           2
        .value_kind:     hidden_group_size_x
      - .offset:         30
        .size:           2
        .value_kind:     hidden_group_size_y
      - .offset:         32
        .size:           2
        .value_kind:     hidden_group_size_z
      - .offset:         34
        .size:           2
        .value_kind:     hidden_remainder_x
      - .offset:         36
        .size:           2
        .value_kind:     hidden_remainder_y
      - .offset:         38
        .size:           2
        .value_kind:     hidden_remainder_z
      - .offset:         56
        .size:           8
        .value_kind:     hidden_global_offset_x
      - .offset:         64
        .size:           8
        .value_kind:     hidden_global_offset_y
      - .offset:         72
        .size:           8
        .value_kind:     hidden_global_offset_z
      - .offset:         80
        .size:           2
        .value_kind:     hidden_grid_dims
    .group_segment_fixed_size: 0
    .kernarg_segment_align: 8
    .kernarg_segment_size: 272
    .language:       OpenCL C
    .language_version:
      - 2
      - 0
    .max_flat_workgroup_size: 32
    .name:           _Z26warp_inclusive_scan_kernelIN10test_utils16custom_test_typeIiEELj32ELj2EENSt9enable_ifIXsr10test_utilsE35device_test_enabled_for_warp_size_vIXT1_EEEvE4typeEPT_S7_
    .private_segment_fixed_size: 0
    .sgpr_count:     12
    .sgpr_spill_count: 0
    .symbol:         _Z26warp_inclusive_scan_kernelIN10test_utils16custom_test_typeIiEELj32ELj2EENSt9enable_ifIXsr10test_utilsE35device_test_enabled_for_warp_size_vIXT1_EEEvE4typeEPT_S7_.kd
    .uniform_work_group_size: 1
    .uses_dynamic_stack: false
    .vgpr_count:     8
    .vgpr_spill_count: 0
    .wavefront_size: 64
  - .args:
      - .address_space:  global
        .offset:         0
        .size:           8
        .value_kind:     global_buffer
      - .address_space:  global
        .offset:         8
        .size:           8
        .value_kind:     global_buffer
      - .offset:         16
        .size:           4
        .value_kind:     hidden_block_count_x
      - .offset:         20
        .size:           4
        .value_kind:     hidden_block_count_y
      - .offset:         24
        .size:           4
        .value_kind:     hidden_block_count_z
      - .offset:         28
        .size:           2
        .value_kind:     hidden_group_size_x
      - .offset:         30
        .size:           2
        .value_kind:     hidden_group_size_y
      - .offset:         32
        .size:           2
        .value_kind:     hidden_group_size_z
      - .offset:         34
        .size:           2
        .value_kind:     hidden_remainder_x
      - .offset:         36
        .size:           2
        .value_kind:     hidden_remainder_y
      - .offset:         38
        .size:           2
        .value_kind:     hidden_remainder_z
      - .offset:         56
        .size:           8
        .value_kind:     hidden_global_offset_x
      - .offset:         64
        .size:           8
        .value_kind:     hidden_global_offset_y
      - .offset:         72
        .size:           8
        .value_kind:     hidden_global_offset_z
      - .offset:         80
        .size:           2
        .value_kind:     hidden_grid_dims
    .group_segment_fixed_size: 0
    .kernarg_segment_align: 8
    .kernarg_segment_size: 272
    .language:       OpenCL C
    .language_version:
      - 2
      - 0
    .max_flat_workgroup_size: 64
    .name:           _Z26warp_inclusive_scan_kernelIN10test_utils16custom_test_typeIiEELj64ELj2EENSt9enable_ifIXsr10test_utilsE35device_test_enabled_for_warp_size_vIXT1_EEEvE4typeEPT_S7_
    .private_segment_fixed_size: 0
    .sgpr_count:     12
    .sgpr_spill_count: 0
    .symbol:         _Z26warp_inclusive_scan_kernelIN10test_utils16custom_test_typeIiEELj64ELj2EENSt9enable_ifIXsr10test_utilsE35device_test_enabled_for_warp_size_vIXT1_EEEvE4typeEPT_S7_.kd
    .uniform_work_group_size: 1
    .uses_dynamic_stack: false
    .vgpr_count:     8
    .vgpr_spill_count: 0
    .wavefront_size: 64
amdhsa.target:   amdgcn-amd-amdhsa--gfx906
amdhsa.version:
  - 1
  - 2
...

	.end_amdgpu_metadata
